;; amdgpu-corpus repo=ggml-org/llama.cpp kind=compiled arch=gfx1250 opt=O3
	.amdgcn_target "amdgcn-amd-amdhsa--gfx1250"
	.amdhsa_code_object_version 6
	.section	.text._ZL18flash_attn_ext_vecILi64ELi1EL9ggml_type6ELS0_6ELb0EEvPKcS2_S2_S2_S2_PKiPfP15HIP_vector_typeIfLj2EEffffjfiS6_IjLj3EEiiiiiiiiiiiliiliiiiil,"axG",@progbits,_ZL18flash_attn_ext_vecILi64ELi1EL9ggml_type6ELS0_6ELb0EEvPKcS2_S2_S2_S2_PKiPfP15HIP_vector_typeIfLj2EEffffjfiS6_IjLj3EEiiiiiiiiiiiliiliiiiil,comdat
	.globl	_ZL18flash_attn_ext_vecILi64ELi1EL9ggml_type6ELS0_6ELb0EEvPKcS2_S2_S2_S2_PKiPfP15HIP_vector_typeIfLj2EEffffjfiS6_IjLj3EEiiiiiiiiiiiliiliiiiil ; -- Begin function _ZL18flash_attn_ext_vecILi64ELi1EL9ggml_type6ELS0_6ELb0EEvPKcS2_S2_S2_S2_PKiPfP15HIP_vector_typeIfLj2EEffffjfiS6_IjLj3EEiiiiiiiiiiiliiliiiiil
	.p2align	8
	.type	_ZL18flash_attn_ext_vecILi64ELi1EL9ggml_type6ELS0_6ELb0EEvPKcS2_S2_S2_S2_PKiPfP15HIP_vector_typeIfLj2EEffffjfiS6_IjLj3EEiiiiiiiiiiiliiliiiiil,@function
_ZL18flash_attn_ext_vecILi64ELi1EL9ggml_type6ELS0_6ELb0EEvPKcS2_S2_S2_S2_PKiPfP15HIP_vector_typeIfLj2EEffffjfiS6_IjLj3EEiiiiiiiiiiiliiliiiiil: ; @_ZL18flash_attn_ext_vecILi64ELi1EL9ggml_type6ELS0_6ELb0EEvPKcS2_S2_S2_S2_PKiPfP15HIP_vector_typeIfLj2EEffffjfiS6_IjLj3EEiiiiiiiiiiiliiliiiiil
; %bb.0:
	s_clause 0x2
	s_load_b64 s[24:25], s[0:1], 0x64
	s_load_b64 s[30:31], s[0:1], 0x80
	;; [unrolled: 1-line block ×3, first 2 shown]
	s_bfe_u32 s4, ttmp6, 0x40014
	s_lshr_b32 s3, ttmp7, 16
	s_add_co_i32 s4, s4, 1
	s_bfe_u32 s5, ttmp6, 0x40008
	s_mul_i32 s4, s3, s4
	s_getreg_b32 s33, hwreg(HW_REG_IB_STS2, 6, 4)
	s_add_co_i32 s5, s5, s4
	s_load_b128 s[20:23], s[0:1], 0x40
	v_mov_b32_e32 v94, 1.0
	s_mov_b32 s39, 0
	s_wait_kmcnt 0x0
	s_cvt_f32_u32 s2, s25
	s_sub_co_i32 s6, 0, s25
	s_delay_alu instid0(SALU_CYCLE_2) | instskip(SKIP_1) | instid1(TRANS32_DEP_1)
	v_rcp_iflag_f32_e32 v1, s2
	v_nop
	v_readfirstlane_b32 s2, v1
	s_mul_f32 s2, s2, 0x4f7ffffe
	s_delay_alu instid0(SALU_CYCLE_3) | instskip(NEXT) | instid1(SALU_CYCLE_3)
	s_cvt_u32_f32 s2, s2
	s_mul_i32 s6, s6, s2
	s_delay_alu instid0(SALU_CYCLE_1) | instskip(NEXT) | instid1(SALU_CYCLE_1)
	s_mul_hi_u32 s6, s2, s6
	s_add_co_i32 s2, s2, s6
	s_cmp_eq_u32 s33, 0
	s_cselect_b32 s3, s3, s5
	s_delay_alu instid0(SALU_CYCLE_1) | instskip(NEXT) | instid1(SALU_CYCLE_1)
	s_mul_hi_u32 s2, s3, s2
	s_mul_i32 s4, s2, s25
	s_add_co_i32 s5, s2, 1
	s_sub_co_i32 s4, s3, s4
	s_delay_alu instid0(SALU_CYCLE_1)
	s_sub_co_i32 s6, s4, s25
	s_cmp_ge_u32 s4, s25
	s_cselect_b32 s2, s5, s2
	s_cselect_b32 s4, s6, s4
	s_add_co_i32 s5, s2, 1
	s_cmp_ge_u32 s4, s25
	s_cselect_b32 s26, s5, s2
	s_abs_i32 s2, s31
	s_abs_i32 s7, s25
	s_cvt_f32_u32 s4, s2
	s_sub_co_i32 s5, 0, s2
	s_xor_b32 s6, s25, s31
	s_delay_alu instid0(SALU_CYCLE_1) | instskip(SKIP_2) | instid1(TRANS32_DEP_1)
	v_rcp_iflag_f32_e32 v1, s4
	s_ashr_i32 s6, s6, 31
	v_nop
	v_readfirstlane_b32 s4, v1
	s_mul_f32 s4, s4, 0x4f7ffffe
	s_delay_alu instid0(SALU_CYCLE_3) | instskip(NEXT) | instid1(SALU_CYCLE_3)
	s_cvt_u32_f32 s4, s4
	s_mul_i32 s5, s5, s4
	s_delay_alu instid0(SALU_CYCLE_1) | instskip(NEXT) | instid1(SALU_CYCLE_1)
	s_mul_hi_u32 s5, s4, s5
	s_add_co_i32 s4, s4, s5
	s_mul_i32 s5, s26, s25
	s_mul_hi_u32 s4, s7, s4
	s_sub_co_i32 s28, s3, s5
	s_mul_i32 s8, s4, s2
	s_add_co_i32 s5, s4, 1
	s_sub_co_i32 s3, s7, s8
	s_delay_alu instid0(SALU_CYCLE_1)
	s_sub_co_i32 s7, s3, s2
	s_cmp_ge_u32 s3, s2
	s_cselect_b32 s4, s5, s4
	s_cselect_b32 s3, s7, s3
	s_add_co_i32 s5, s4, 1
	s_cmp_ge_u32 s3, s2
	s_cselect_b32 s2, s5, s4
	s_abs_i32 s34, s34
	s_xor_b32 s2, s2, s6
	s_sub_co_i32 s5, 0, s34
	s_sub_co_i32 s27, s2, s6
	s_cvt_f32_u32 s2, s34
	s_abs_i32 s44, s27
	s_abs_i32 s38, s28
	s_cvt_f32_u32 s3, s44
	v_rcp_iflag_f32_e32 v1, s2
	s_load_b32 s2, s[0:1], 0x50
	s_sub_co_i32 s6, 0, s44
	v_rcp_iflag_f32_e32 v2, s3
	s_abs_i32 s36, s26
	v_nop
	s_delay_alu instid0(TRANS32_DEP_2) | instskip(NEXT) | instid1(TRANS32_DEP_1)
	v_readfirstlane_b32 s3, v1
	v_readfirstlane_b32 s4, v2
	s_mul_f32 s3, s3, 0x4f7ffffe
	s_mul_f32 s4, s4, 0x4f7ffffe
	s_delay_alu instid0(SALU_CYCLE_2) | instskip(NEXT) | instid1(SALU_CYCLE_2)
	s_cvt_u32_f32 s3, s3
	s_cvt_u32_f32 s4, s4
	s_delay_alu instid0(SALU_CYCLE_2) | instskip(NEXT) | instid1(SALU_CYCLE_1)
	s_mul_i32 s5, s5, s3
	s_mul_hi_u32 s5, s3, s5
	s_delay_alu instid0(SALU_CYCLE_1) | instskip(SKIP_2) | instid1(SALU_CYCLE_1)
	s_mul_i32 s6, s6, s4
	s_add_co_i32 s40, s3, s5
	s_mul_hi_u32 s6, s4, s6
	s_add_co_i32 s42, s4, s6
	s_cmp_le_f32 s21, 0
	s_cbranch_scc1 .LBB0_2
; %bb.1:
	s_wait_kmcnt 0x0
	v_sub_co_u32 v1, s2, s28, s2
	s_and_b32 s4, s2, exec_lo
	s_cselect_b32 s4, s22, s23
	s_add_co_i32 s5, s28, 1
	v_readfirstlane_b32 s3, v1
	s_lshl_b32 s3, s3, 1
	s_delay_alu instid0(SALU_CYCLE_1) | instskip(SKIP_4) | instid1(SALU_CYCLE_3)
	s_or_b32 s3, s3, 1
	s_and_b32 s2, s2, exec_lo
	s_cselect_b32 s2, s5, s3
	s_cmp_neq_f32 s4, 1.0
	s_cvt_f32_i32 s2, s2
	s_cselect_b32 s3, s2, 1.0
	s_delay_alu instid0(SALU_CYCLE_1) | instskip(SKIP_1) | instid1(SALU_CYCLE_1)
	s_cmp_neq_f32 s3, 0
	s_cselect_b32 s2, s4, 1.0
	v_cvt_f64_f32_e64 v[2:3], |s2|
	s_delay_alu instid0(VALU_DEP_1) | instskip(SKIP_1) | instid1(VALU_DEP_1)
	v_frexp_exp_i32_f64_e32 v1, v[2:3]
	v_frexp_mant_f32_e64 v2, |s2|
	v_readfirstlane_b32 s4, v2
	s_cmp_lt_f32 s4, 0x3f2aaaab
	s_cselect_b32 vcc_lo, -1, 0
	s_delay_alu instid0(SALU_CYCLE_1) | instskip(SKIP_1) | instid1(SALU_CYCLE_1)
	s_and_b32 s5, vcc_lo, exec_lo
	s_cselect_b32 s5, 2.0, 1.0
	s_mul_f32 s4, s4, s5
	s_delay_alu instid0(SALU_CYCLE_3) | instskip(SKIP_1) | instid1(SALU_CYCLE_2)
	s_add_f32 s5, s4, 1.0
	s_add_f32 s7, s4, -1.0
	v_s_rcp_f32 s6, s5
	s_add_f32 s10, s5, -1.0
	v_subrev_co_ci_u32_e64 v1, null, 0, v1, vcc_lo
	s_delay_alu instid0(SALU_CYCLE_2) | instskip(NEXT) | instid1(TRANS32_DEP_1)
	s_sub_f32 s4, s4, s10
	s_mul_f32 s8, s7, s6
	v_cvt_f32_i32_e32 v1, v1
	s_delay_alu instid0(SALU_CYCLE_2) | instskip(NEXT) | instid1(SALU_CYCLE_3)
	s_mul_f32 s9, s5, s8
	v_dual_mov_b32 v3, s7 :: v_dual_mov_b32 v4, s9
	s_xor_b32 s11, s9, 0x80000000
	s_delay_alu instid0(SALU_CYCLE_1) | instskip(NEXT) | instid1(SALU_CYCLE_3)
	s_fmac_f32 s11, s8, s5
	s_fmac_f32 s11, s8, s4
	s_delay_alu instid0(SALU_CYCLE_3) | instskip(SKIP_2) | instid1(SALU_CYCLE_1)
	s_add_f32 s4, s9, s11
	v_mov_b32_e32 v6, s11
	s_mov_b32 s9, 0x3e76c4e1
	s_sub_f32 s5, s7, s4
	v_dual_mov_b32 v2, s4 :: v_dual_mov_b32 v7, s4
	s_delay_alu instid0(SALU_CYCLE_2) | instskip(NEXT) | instid1(VALU_DEP_1)
	v_mov_b32_e32 v5, s5
	v_pk_add_f32 v[2:3], v[2:3], v[4:5] neg_lo:[0,1] neg_hi:[0,1]
	s_delay_alu instid0(VALU_DEP_1) | instskip(NEXT) | instid1(VALU_DEP_1)
	v_pk_add_f32 v[2:3], v[2:3], v[6:7] neg_lo:[0,1] neg_hi:[0,1]
	v_readfirstlane_b32 s4, v3
	s_delay_alu instid0(VALU_DEP_2) | instskip(SKIP_1) | instid1(SALU_CYCLE_3)
	v_readfirstlane_b32 s7, v2
	s_add_f32 s4, s7, s4
	s_add_f32 s4, s5, s4
	s_delay_alu instid0(SALU_CYCLE_3) | instskip(NEXT) | instid1(SALU_CYCLE_3)
	s_mul_f32 s5, s6, s4
	s_add_f32 s4, s8, s5
	s_delay_alu instid0(SALU_CYCLE_3) | instskip(SKIP_1) | instid1(SALU_CYCLE_2)
	s_sub_f32 s6, s4, s8
	s_mul_f32 s7, s4, s4
	s_sub_f32 s8, s5, s6
	s_delay_alu instid0(SALU_CYCLE_2) | instskip(NEXT) | instid1(SALU_CYCLE_1)
	s_xor_b32 s5, s7, 0x80000000
	s_fmac_f32 s5, s4, s4
	s_delay_alu instid0(SALU_CYCLE_1) | instskip(NEXT) | instid1(SALU_CYCLE_3)
	s_add_f32 s6, s8, s8
	s_fmac_f32 s5, s4, s6
	s_delay_alu instid0(SALU_CYCLE_3) | instskip(NEXT) | instid1(SALU_CYCLE_3)
	s_add_f32 s6, s7, s5
	s_fmaak_f32 s9, s6, s9, 0x3e91f4c4
	s_sub_f32 s7, s6, s7
	s_delay_alu instid0(SALU_CYCLE_2) | instskip(NEXT) | instid1(SALU_CYCLE_2)
	s_fmaak_f32 s9, s6, s9, 0x3ecccdef
	s_sub_f32 s12, s5, s7
	s_delay_alu instid0(SALU_CYCLE_2) | instskip(NEXT) | instid1(SALU_CYCLE_3)
	s_mul_f32 s10, s6, s9
	s_xor_b32 s11, s10, 0x80000000
	s_delay_alu instid0(SALU_CYCLE_1) | instskip(NEXT) | instid1(SALU_CYCLE_3)
	s_fmac_f32 s11, s6, s9
	s_fmac_f32 s11, s12, s9
	s_delay_alu instid0(SALU_CYCLE_3) | instskip(NEXT) | instid1(SALU_CYCLE_3)
	s_add_f32 s7, s10, s11
	s_sub_f32 s5, s7, s10
	s_add_f32 s9, s7, 0x3f2aaaaa
	s_delay_alu instid0(SALU_CYCLE_2) | instskip(NEXT) | instid1(SALU_CYCLE_2)
	s_sub_f32 s5, s11, s5
	s_add_f32 s10, s9, 0xbf2aaaaa
	s_delay_alu instid0(SALU_CYCLE_2) | instskip(NEXT) | instid1(SALU_CYCLE_2)
	s_add_f32 s5, s5, 0x31739010
	s_sub_f32 s7, s7, s10
	s_delay_alu instid0(SALU_CYCLE_2) | instskip(NEXT) | instid1(SALU_CYCLE_2)
	v_mov_b64_e32 v[2:3], s[4:5]
	v_mov_b64_e32 v[4:5], s[6:7]
	s_delay_alu instid0(VALU_DEP_1) | instskip(SKIP_2) | instid1(VALU_DEP_3)
	v_pk_mul_f32 v[6:7], v[2:3], v[4:5]
	v_pk_add_f32 v[2:3], v[2:3], v[4:5]
	v_mov_b32_e32 v9, s9
	v_xor_b32_e32 v8, 0x80000000, v6
	s_delay_alu instid0(VALU_DEP_3) | instskip(NEXT) | instid1(VALU_DEP_2)
	v_mov_b32_e32 v7, v3
	v_fmac_f32_e64 v8, s6, s4
	s_delay_alu instid0(VALU_DEP_1) | instskip(NEXT) | instid1(VALU_DEP_1)
	v_fmac_f32_e64 v8, s6, s8
	v_fmac_f32_e64 v8, s12, s4
	s_delay_alu instid0(VALU_DEP_1) | instskip(NEXT) | instid1(VALU_DEP_1)
	v_pk_add_f32 v[4:5], v[6:7], v[8:9]
	v_dual_mov_b32 v2, v5 :: v_dual_sub_f32 v7, s9, v5
	v_mul_f32_e32 v12, 0x3f317218, v1
	s_delay_alu instid0(VALU_DEP_2) | instskip(NEXT) | instid1(VALU_DEP_3)
	v_pk_mul_f32 v[10:11], v[4:5], v[2:3]
	v_add_f32_e32 v3, v3, v7
	s_delay_alu instid0(VALU_DEP_3) | instskip(NEXT) | instid1(VALU_DEP_3)
	v_xor_b32_e32 v7, 0x80000000, v12
	v_xor_b32_e32 v2, 0x80000000, v10
	s_delay_alu instid0(VALU_DEP_2) | instskip(NEXT) | instid1(VALU_DEP_2)
	v_dual_sub_f32 v6, v4, v6 :: v_dual_fmac_f32 v7, 0x3f317218, v1
	v_fmac_f32_e32 v2, v4, v5
	s_delay_alu instid0(VALU_DEP_2) | instskip(NEXT) | instid1(VALU_DEP_2)
	v_sub_f32_e32 v6, v8, v6
	v_fmac_f32_e32 v2, v4, v3
	s_delay_alu instid0(VALU_DEP_1) | instskip(SKIP_3) | instid1(VALU_DEP_2)
	v_fmac_f32_e32 v2, v6, v5
	v_fmamk_f32 v4, v1, 0xb102e308, v7
	v_ldexp_f32 v5, s4, 1
	v_ldexp_f32 v1, s8, 1
	v_dual_add_f32 v13, v10, v2 :: v_dual_mov_b32 v11, v5
	s_delay_alu instid0(VALU_DEP_1) | instskip(SKIP_1) | instid1(VALU_DEP_2)
	v_pk_add_f32 v[6:7], v[12:13], v[4:5]
	v_dual_mov_b32 v8, v13 :: v_dual_mov_b32 v3, v13
	v_dual_mov_b32 v9, v7 :: v_dual_mov_b32 v5, v6
	v_mov_b32_e32 v14, v7
	s_delay_alu instid0(VALU_DEP_2) | instskip(NEXT) | instid1(VALU_DEP_1)
	v_pk_add_f32 v[8:9], v[8:9], v[10:11] neg_lo:[0,1] neg_hi:[0,1]
	v_pk_add_f32 v[2:3], v[2:3], v[8:9] neg_lo:[0,1] neg_hi:[0,1]
	s_delay_alu instid0(VALU_DEP_1) | instskip(NEXT) | instid1(VALU_DEP_1)
	v_add_f32_e32 v1, v1, v2
	v_add_f32_e32 v13, v1, v3
	s_delay_alu instid0(VALU_DEP_1) | instskip(SKIP_1) | instid1(VALU_DEP_2)
	v_pk_add_f32 v[2:3], v[6:7], v[12:13]
	v_pk_add_f32 v[8:9], v[6:7], v[12:13] neg_lo:[0,1] neg_hi:[0,1]
	v_mov_b32_e32 v9, v3
	s_delay_alu instid0(VALU_DEP_1) | instskip(SKIP_2) | instid1(VALU_DEP_3)
	v_pk_add_f32 v[10:11], v[4:5], v[8:9]
	v_pk_add_f32 v[4:5], v[4:5], v[8:9] neg_lo:[0,1] neg_hi:[0,1]
	v_dual_mov_b32 v16, v3 :: v_dual_mov_b32 v5, v6
	v_dual_mov_b32 v12, v11 :: v_dual_mov_b32 v17, v11
	s_delay_alu instid0(VALU_DEP_3) | instskip(NEXT) | instid1(VALU_DEP_2)
	v_readfirstlane_b32 s4, v4
	v_pk_add_f32 v[8:9], v[12:13], v[6:7] neg_lo:[0,1] neg_hi:[0,1]
	s_delay_alu instid0(VALU_DEP_2) | instskip(NEXT) | instid1(VALU_DEP_2)
	v_dual_mov_b32 v4, v13 :: v_dual_mov_b32 v10, s4
	v_dual_mov_b32 v15, v8 :: v_dual_mov_b32 v1, v8
	s_delay_alu instid0(VALU_DEP_1) | instskip(NEXT) | instid1(VALU_DEP_2)
	v_pk_add_f32 v[6:7], v[16:17], v[14:15] neg_lo:[0,1] neg_hi:[0,1]
	v_pk_add_f32 v[2:3], v[2:3], v[0:1] neg_lo:[0,1] neg_hi:[0,1]
	v_mov_b32_e32 v2, s4
	s_delay_alu instid0(VALU_DEP_3) | instskip(NEXT) | instid1(VALU_DEP_1)
	v_pk_add_f32 v[4:5], v[4:5], v[6:7] neg_lo:[0,1] neg_hi:[0,1]
	v_pk_add_f32 v[2:3], v[2:3], v[4:5]
	s_delay_alu instid0(VALU_DEP_1) | instskip(NEXT) | instid1(VALU_DEP_2)
	v_readfirstlane_b32 s5, v2
	v_mov_b32_e32 v6, v3
	s_delay_alu instid0(VALU_DEP_1) | instskip(NEXT) | instid1(VALU_DEP_3)
	v_pk_add_f32 v[6:7], v[2:3], v[6:7]
	v_mov_b32_e32 v2, s5
	s_delay_alu instid0(VALU_DEP_2) | instskip(SKIP_1) | instid1(VALU_DEP_2)
	v_pk_add_f32 v[8:9], v[12:13], v[6:7]
	v_mov_b32_e32 v5, v6
	v_readfirstlane_b32 s6, v8
	s_delay_alu instid0(VALU_DEP_1) | instskip(NEXT) | instid1(VALU_DEP_1)
	v_mov_b32_e32 v3, s6
	v_pk_add_f32 v[2:3], v[2:3], v[10:11] neg_lo:[0,1] neg_hi:[0,1]
	s_delay_alu instid0(VALU_DEP_1) | instskip(NEXT) | instid1(VALU_DEP_2)
	v_readfirstlane_b32 s7, v2
	v_pk_add_f32 v[2:3], v[4:5], v[2:3] neg_lo:[0,1] neg_hi:[0,1]
	s_sub_f32 s5, s5, s7
	s_delay_alu instid0(VALU_DEP_1) | instskip(NEXT) | instid1(SALU_CYCLE_2)
	v_readfirstlane_b32 s7, v2
	s_sub_f32 s4, s4, s5
	v_readfirstlane_b32 s5, v3
	s_delay_alu instid0(SALU_CYCLE_2) | instskip(NEXT) | instid1(SALU_CYCLE_3)
	s_add_f32 s4, s7, s4
	s_add_f32 s4, s4, s5
	s_delay_alu instid0(SALU_CYCLE_3) | instskip(NEXT) | instid1(SALU_CYCLE_3)
	s_add_f32 s5, s6, s4
	s_mul_f32 s7, s3, s5
	s_sub_f32 s6, s5, s6
	s_delay_alu instid0(SALU_CYCLE_2) | instskip(NEXT) | instid1(SALU_CYCLE_2)
	s_xor_b32 s8, s7, 0x80000000
	s_sub_f32 s4, s4, s6
	s_fmac_f32 s8, s3, s5
	s_delay_alu instid0(SALU_CYCLE_3) | instskip(SKIP_1) | instid1(SALU_CYCLE_2)
	s_fmac_f32 s8, s3, s4
	v_cmp_class_f32_e64 s4, s7, 0x204
	s_add_f32 s5, s7, s8
	s_and_b32 s4, s4, exec_lo
	s_delay_alu instid0(SALU_CYCLE_2) | instskip(SKIP_1) | instid1(SALU_CYCLE_1)
	s_sub_f32 s4, s5, s7
	s_cselect_b32 s5, s7, s5
	s_and_b32 s6, s5, 0x7fffffff
	s_delay_alu instid0(SALU_CYCLE_1) | instskip(SKIP_1) | instid1(SALU_CYCLE_2)
	s_sub_f32 s4, s8, s4
	s_cmp_neq_f32 s6, 0x7f800000
	s_cselect_b32 s4, s4, 0
	s_cmp_eq_f32 s5, 0x42b17218
	s_cselect_b32 s6, 0x37000000, 0
	s_delay_alu instid0(SALU_CYCLE_1) | instskip(SKIP_1) | instid1(SALU_CYCLE_2)
	s_sub_f32 s5, s5, s6
	s_add_f32 s4, s6, s4
	s_mul_f32 s7, s5, 0x3fb8aa3b
	s_delay_alu instid0(SALU_CYCLE_3) | instskip(SKIP_3) | instid1(SALU_CYCLE_1)
	s_xor_b32 s8, s7, 0x80000000
	s_rndne_f32 s9, s7
	s_fmamk_f32 s8, s5, 0x3fb8aa3b, s8
	s_cmp_nlt_f32 s5, 0xc2ce8ed0
	s_sub_f32 s7, s7, s9
	s_delay_alu instid0(SALU_CYCLE_1)
	s_fmamk_f32 s8, s5, 0x32a5705f, s8
	s_cselect_b32 vcc_lo, -1, 0
	s_cmp_ngt_f32 s5, 0x42b17218
	s_trunc_f32 s5, s3
	s_add_f32 s7, s7, s8
	s_cvt_i32_f32 s8, s9
	s_delay_alu instid0(SALU_CYCLE_2)
	v_s_exp_f32 s7, s7
	v_nop
	s_delay_alu instid0(TRANS32_DEP_1) | instid1(SALU_CYCLE_1)
	v_ldexp_f32 v1, s7, s8
	s_mul_f32 s7, s3, 0.5
	s_delay_alu instid0(VALU_DEP_1) | instskip(SKIP_3) | instid1(VALU_DEP_1)
	v_cndmask_b32_e32 v1, 0, v1, vcc_lo
	s_cselect_b32 vcc_lo, -1, 0
	s_cmp_eq_f32 s5, s3
	s_trunc_f32 s8, s7
	v_cndmask_b32_e32 v1, 0x7f800000, v1, vcc_lo
	s_cselect_b32 s9, -1, 0
	s_delay_alu instid0(SALU_CYCLE_1) | instskip(NEXT) | instid1(VALU_DEP_1)
	s_cmp_neq_f32 s8, s7
	v_fma_f32 v2, s4, v1, v1
	v_cmp_class_f32_e64 vcc_lo, v1, 0x204
	s_cselect_b32 s6, -1, 0
	s_delay_alu instid0(SALU_CYCLE_1)
	s_and_b32 s4, s9, s6
	v_cndmask_b32_e32 v1, v2, v1, vcc_lo
	s_and_b32 s6, s4, exec_lo
	s_cselect_b32 s6, s2, 1.0
	s_cmp_eq_f32 s5, s3
	v_cmp_class_f32_e64 s5, s2, 0x204
	v_bfi_b32 v1, 0x7fffffff, v1, s6
	s_cselect_b32 vcc_lo, -1, 0
	s_cmp_lt_f32 s2, 0
	s_delay_alu instid0(VALU_DEP_1) | instskip(SKIP_2) | instid1(VALU_DEP_1)
	v_cndmask_b32_e32 v2, 0x7fc00000, v1, vcc_lo
	s_cselect_b32 vcc_lo, -1, 0
	s_cmp_eq_f32 s2, 0
	v_cndmask_b32_e32 v1, v1, v2, vcc_lo
	s_cselect_b32 s6, -1, 0
	s_delay_alu instid0(SALU_CYCLE_1) | instskip(SKIP_2) | instid1(SALU_CYCLE_1)
	s_or_b32 vcc_lo, s6, s5
	s_cmp_lt_f32 s3, 0
	s_cselect_b32 s3, -1, 0
	s_xor_b32 s3, s3, s6
	s_delay_alu instid0(SALU_CYCLE_1)
	s_and_b32 s3, s3, exec_lo
	s_cselect_b32 s3, 0, 0x7f800000
	s_and_b32 s4, s4, exec_lo
	s_cselect_b32 s4, s2, 0
	s_cmp_o_f32 s2, s2
	v_mov_b32_e32 v2, s4
	s_delay_alu instid0(VALU_DEP_1) | instskip(NEXT) | instid1(VALU_DEP_1)
	v_bfi_b32 v2, 0x7fffffff, s3, v2
	v_cndmask_b32_e32 v1, v1, v2, vcc_lo
	s_cselect_b32 vcc_lo, -1, 0
	s_delay_alu instid0(VALU_DEP_1)
	v_cndmask_b32_e32 v94, 0x7fc00000, v1, vcc_lo
.LBB0_2:
	s_load_b512 s[4:19], s[0:1], 0x0
	s_wait_kmcnt 0x0
	s_bfe_u32 s2, ttmp6, 0x4000c
	v_bfe_u32 v92, v0, 10, 10
	s_add_co_i32 s2, s2, 1
	s_and_b32 s3, ttmp6, 15
	s_mul_i32 s2, ttmp9, s2
	v_and_b32_e32 v93, 0x3ff, v0
	s_add_co_i32 s3, s3, s2
	v_cmp_eq_u32_e64 s2, 0, v92
	s_cmp_eq_u32 s33, 0
	s_mov_b32 s43, s39
	s_mov_b32 s37, s39
	;; [unrolled: 1-line block ×3, first 2 shown]
	s_cselect_b32 s31, ttmp9, s3
	s_and_saveexec_b32 s21, s2
	s_cbranch_execz .LBB0_15
; %bb.3:
	s_load_b96 s[48:50], s[0:1], 0x70
	v_dual_mov_b32 v1, 0 :: v_dual_lshlrev_b32 v0, 4, v93
	v_cmp_gt_u32_e32 vcc_lo, 16, v93
	v_mov_b32_e32 v4, 0
	s_wait_kmcnt 0x0
	s_mul_i32 s3, s26, s50
	s_mul_i32 s22, s48, s31
	s_mul_i32 s23, s28, s49
	s_add_co_i32 s3, s3, s22
	s_delay_alu instid0(SALU_CYCLE_1) | instskip(NEXT) | instid1(SALU_CYCLE_1)
	s_add_co_i32 s22, s3, s23
	s_ashr_i32 s23, s22, 31
	s_delay_alu instid0(SALU_CYCLE_1) | instskip(NEXT) | instid1(SALU_CYCLE_1)
	s_add_nc_u64 s[4:5], s[4:5], s[22:23]
	v_add_nc_u64_e32 v[2:3], s[4:5], v[0:1]
	s_and_saveexec_b32 s3, vcc_lo
	s_cbranch_execz .LBB0_5
; %bb.4:
	global_load_b32 v0, v[2:3], off
	s_wait_loadcnt 0x0
	v_mul_f32_e32 v4, s20, v0
.LBB0_5:
	s_or_b32 exec_lo, exec_lo, s3
	s_and_saveexec_b32 s3, vcc_lo
	s_cbranch_execz .LBB0_7
; %bb.6:
	global_load_b32 v0, v[2:3], off offset:4
	s_wait_loadcnt 0x0
	v_mul_f32_e32 v1, s20, v0
.LBB0_7:
	s_or_b32 exec_lo, exec_lo, s3
	v_dual_mov_b32 v5, 0 :: v_dual_mov_b32 v6, 0
	s_and_saveexec_b32 s3, vcc_lo
	s_cbranch_execz .LBB0_9
; %bb.8:
	global_load_b32 v0, v[2:3], off offset:8
	s_wait_loadcnt 0x0
	v_mul_f32_e32 v6, s20, v0
.LBB0_9:
	s_or_b32 exec_lo, exec_lo, s3
	s_and_saveexec_b32 s3, vcc_lo
	s_cbranch_execz .LBB0_11
; %bb.10:
	global_load_b32 v0, v[2:3], off offset:12
	s_wait_loadcnt 0x0
	v_mul_f32_e32 v5, s20, v0
.LBB0_11:
	s_or_b32 exec_lo, exec_lo, s3
	v_mbcnt_lo_u32_b32 v0, -1, 0
	v_max_num_f32_e64 v2, |v1|, |v1|
	v_max_num_f32_e64 v3, |v4|, |v4|
	s_mov_b32 s20, exec_lo
	s_delay_alu instid0(VALU_DEP_3) | instskip(NEXT) | instid1(VALU_DEP_2)
	v_xor_b32_e32 v7, 4, v0
	v_dual_max_num_f32 v2, v3, v2 :: v_dual_bitop2_b32 v8, 2, v0 bitop3:0x14
	v_xor_b32_e32 v9, 1, v0
	s_delay_alu instid0(VALU_DEP_3) | instskip(NEXT) | instid1(VALU_DEP_3)
	v_cmp_gt_i32_e32 vcc_lo, 32, v7
	v_max3_num_f32 v2, v2, |v6|, |v5|
	v_cndmask_b32_e32 v3, v0, v7, vcc_lo
	v_cmp_gt_i32_e32 vcc_lo, 32, v8
	s_delay_alu instid0(VALU_DEP_2) | instskip(SKIP_4) | instid1(VALU_DEP_1)
	v_dual_cndmask_b32 v8, v0, v8 :: v_dual_lshlrev_b32 v3, 2, v3
	v_cmp_gt_i32_e32 vcc_lo, 32, v9
	ds_bpermute_b32 v7, v3, v2
	s_wait_dscnt 0x0
	v_dual_max_num_f32 v7, v7, v7 :: v_dual_lshlrev_b32 v8, 2, v8
	v_max_num_f32_e32 v2, v2, v7
	ds_bpermute_b32 v7, v8, v2
	s_wait_dscnt 0x0
	v_dual_cndmask_b32 v0, v0, v9 :: v_dual_max_num_f32 v7, v7, v7
	s_delay_alu instid0(VALU_DEP_1) | instskip(SKIP_3) | instid1(VALU_DEP_1)
	v_dual_lshlrev_b32 v0, 2, v0 :: v_dual_max_num_f32 v2, v2, v7
	ds_bpermute_b32 v7, v0, v2
	s_wait_dscnt 0x0
	v_dual_add_f32 v9, v4, v1 :: v_dual_max_num_f32 v7, v7, v7
	v_dual_add_f32 v9, v9, v6 :: v_dual_max_num_f32 v7, v2, v7
	s_delay_alu instid0(VALU_DEP_1) | instskip(NEXT) | instid1(VALU_DEP_1)
	v_div_scale_f32 v10, null, 0x42fe0000, 0x42fe0000, v7
	v_rcp_f32_e32 v11, v10
	s_delay_alu instid0(VALU_DEP_2)
	v_add_f32_e32 v9, v9, v5
	ds_bpermute_b32 v3, v3, v9
	s_wait_dscnt 0x0
	v_add_f32_e32 v2, v9, v3
	v_fma_f32 v3, -v10, v11, 1.0
	v_div_scale_f32 v9, vcc_lo, v7, 0x42fe0000, v7
	s_delay_alu instid0(VALU_DEP_2) | instskip(NEXT) | instid1(VALU_DEP_1)
	v_fmac_f32_e32 v11, v3, v11
	v_mul_f32_e32 v12, v9, v11
	s_delay_alu instid0(VALU_DEP_1)
	v_fma_f32 v3, -v10, v12, v9
	ds_bpermute_b32 v8, v8, v2
	s_wait_dscnt 0x0
	v_dual_add_f32 v2, v2, v8 :: v_dual_fmac_f32 v12, v3, v11
	ds_bpermute_b32 v3, v0, v2
	v_fma_f32 v0, -v10, v12, v9
	s_delay_alu instid0(VALU_DEP_1) | instskip(NEXT) | instid1(VALU_DEP_1)
	v_div_fmas_f32 v0, v0, v11, v12
	v_div_fixup_f32 v0, v0, 0x42fe0000, v7
	v_mov_b32_e32 v7, 0
	s_delay_alu instid0(VALU_DEP_2)
	v_cmpx_neq_f32_e32 0, v0
	s_cbranch_execz .LBB0_13
; %bb.12:
	v_div_scale_f32 v7, null, v0, v0, v4
	v_div_scale_f32 v8, null, v0, v0, v1
	;; [unrolled: 1-line block ×3, first 2 shown]
	s_delay_alu instid0(VALU_DEP_3) | instskip(NEXT) | instid1(VALU_DEP_2)
	v_rcp_f32_e32 v9, v7
	v_rcp_f32_e32 v11, v8
	v_div_scale_f32 v16, null, v0, v0, v5
	s_delay_alu instid0(VALU_DEP_2) | instskip(SKIP_1) | instid1(TRANS32_DEP_3)
	v_rcp_f32_e32 v13, v10
	v_div_scale_f32 v12, vcc_lo, v4, v0, v4
	v_fma_f32 v14, -v7, v9, 1.0
	s_delay_alu instid0(TRANS32_DEP_2) | instskip(SKIP_1) | instid1(VALU_DEP_2)
	v_fma_f32 v15, -v8, v11, 1.0
	v_div_scale_f32 v17, s3, v1, v0, v1
	v_dual_fmac_f32 v9, v14, v9 :: v_dual_fmac_f32 v11, v15, v11
	v_rcp_f32_e32 v15, v16
	v_fma_f32 v14, -v10, v13, 1.0
	s_delay_alu instid0(VALU_DEP_2) | instskip(NEXT) | instid1(VALU_DEP_2)
	v_dual_mul_f32 v18, v12, v9 :: v_dual_mul_f32 v19, v17, v11
	v_fmac_f32_e32 v13, v14, v13
	v_div_scale_f32 v14, s4, v6, v0, v6
	s_delay_alu instid0(TRANS32_DEP_1) | instskip(NEXT) | instid1(VALU_DEP_4)
	v_fma_f32 v20, -v16, v15, 1.0
	v_dual_fma_f32 v21, -v7, v18, v12 :: v_dual_fma_f32 v22, -v8, v19, v17
	s_delay_alu instid0(VALU_DEP_2) | instskip(NEXT) | instid1(VALU_DEP_2)
	v_dual_mul_f32 v23, v14, v13 :: v_dual_fmac_f32 v15, v20, v15
	v_fmac_f32_e32 v18, v21, v9
	v_div_scale_f32 v20, s5, v5, v0, v5
	s_delay_alu instid0(VALU_DEP_2) | instskip(NEXT) | instid1(VALU_DEP_2)
	v_dual_fmac_f32 v19, v22, v11 :: v_dual_fma_f32 v7, -v7, v18, v12
	v_mul_f32_e32 v22, v20, v15
	v_fma_f32 v21, -v10, v23, v14
	s_delay_alu instid0(VALU_DEP_3) | instskip(NEXT) | instid1(VALU_DEP_4)
	v_fma_f32 v8, -v8, v19, v17
	v_div_fmas_f32 v7, v7, v9, v18
	s_delay_alu instid0(VALU_DEP_3) | instskip(SKIP_1) | instid1(VALU_DEP_3)
	v_dual_fma_f32 v12, -v16, v22, v20 :: v_dual_fmac_f32 v23, v21, v13
	s_mov_b32 vcc_lo, s3
	v_div_fmas_f32 v8, v8, v11, v19
	s_delay_alu instid0(VALU_DEP_2) | instskip(NEXT) | instid1(VALU_DEP_3)
	v_fmac_f32_e32 v22, v12, v15
	v_fma_f32 v9, -v10, v23, v14
	s_mov_b32 vcc_lo, s4
	v_div_fixup_f32 v4, v7, v0, v4
	v_div_fixup_f32 v1, v8, v0, v1
	v_fma_f32 v10, -v16, v22, v20
	v_div_fmas_f32 v9, v9, v13, v23
	s_mov_b32 vcc_lo, s5
	v_trunc_f32_e32 v12, v4
	s_delay_alu instid0(VALU_DEP_2) | instskip(SKIP_1) | instid1(VALU_DEP_2)
	v_div_fixup_f32 v6, v9, v0, v6
	v_div_fmas_f32 v9, v10, v15, v22
	v_trunc_f32_e32 v8, v6
	s_delay_alu instid0(VALU_DEP_2) | instskip(SKIP_1) | instid1(VALU_DEP_3)
	v_div_fixup_f32 v5, v9, v0, v5
	v_trunc_f32_e32 v9, v1
	v_sub_f32_e32 v10, v6, v8
	s_delay_alu instid0(VALU_DEP_3) | instskip(NEXT) | instid1(VALU_DEP_3)
	v_trunc_f32_e32 v7, v5
	v_sub_f32_e32 v11, v1, v9
	s_delay_alu instid0(VALU_DEP_3) | instskip(NEXT) | instid1(VALU_DEP_3)
	v_cmp_ge_f32_e64 s3, |v10|, 0.5
	v_sub_f32_e32 v13, v5, v7
	s_delay_alu instid0(VALU_DEP_2) | instskip(NEXT) | instid1(VALU_DEP_4)
	v_cndmask_b32_e64 v10, 0, 1.0, s3
	v_cmp_ge_f32_e64 s3, |v11|, 0.5
	s_delay_alu instid0(VALU_DEP_2) | instskip(NEXT) | instid1(VALU_DEP_2)
	v_bfi_b32 v6, 0x7fffffff, v10, v6
	v_cndmask_b32_e64 v11, 0, 1.0, s3
	v_sub_f32_e32 v10, v4, v12
	v_cmp_ge_f32_e64 s3, |v13|, 0.5
	s_delay_alu instid0(VALU_DEP_3) | instskip(SKIP_1) | instid1(VALU_DEP_3)
	v_bfi_b32 v1, 0x7fffffff, v11, v1
	v_add_f32_e32 v6, v8, v6
	v_cndmask_b32_e64 v13, 0, 1.0, s3
	v_cmp_ge_f32_e64 s3, |v10|, 0.5
	s_delay_alu instid0(VALU_DEP_4) | instskip(NEXT) | instid1(VALU_DEP_4)
	v_add_f32_e32 v1, v9, v1
	v_cvt_i32_f32_e32 v6, v6
	s_delay_alu instid0(VALU_DEP_4) | instskip(NEXT) | instid1(VALU_DEP_4)
	v_bfi_b32 v5, 0x7fffffff, v13, v5
	v_cndmask_b32_e64 v8, 0, 1.0, s3
	s_delay_alu instid0(VALU_DEP_4) | instskip(NEXT) | instid1(VALU_DEP_4)
	v_cvt_i32_f32_e32 v1, v1
	v_and_b32_e32 v6, 0xff, v6
	s_delay_alu instid0(VALU_DEP_3) | instskip(SKIP_1) | instid1(VALU_DEP_4)
	v_bfi_b32 v4, 0x7fffffff, v8, v4
	v_add_f32_e32 v5, v7, v5
	v_and_b32_e32 v1, 0xff, v1
	s_delay_alu instid0(VALU_DEP_3) | instskip(NEXT) | instid1(VALU_DEP_3)
	v_dual_lshlrev_b32 v6, 16, v6 :: v_dual_add_f32 v4, v12, v4
	v_cvt_i32_f32_e32 v5, v5
	s_delay_alu instid0(VALU_DEP_3) | instskip(NEXT) | instid1(VALU_DEP_3)
	v_lshlrev_b32_e32 v1, 8, v1
	v_cvt_i32_f32_e32 v4, v4
	s_delay_alu instid0(VALU_DEP_3) | instskip(NEXT) | instid1(VALU_DEP_2)
	v_lshl_or_b32 v5, v5, 24, v6
	v_and_b32_e32 v4, 0xff, v4
	s_delay_alu instid0(VALU_DEP_1)
	v_or3_b32 v7, v5, v1, v4
.LBB0_13:
	s_or_b32 exec_lo, exec_lo, s20
	v_and_b32_e32 v1, 0x77, v93
	v_lshlrev_b32_e32 v4, 2, v93
	s_delay_alu instid0(VALU_DEP_2)
	v_cmp_eq_u32_e32 vcc_lo, 0, v1
	ds_store_b32 v4, v7
	s_and_b32 exec_lo, exec_lo, vcc_lo
	s_cbranch_execz .LBB0_15
; %bb.14:
	s_wait_dscnt 0x1
	v_add_f32_e32 v1, v2, v3
	ds_store_b64 v93, v[0:1] offset:64
.LBB0_15:
	s_or_b32 exec_lo, exec_lo, s21
	v_dual_mov_b32 v99, 0 :: v_dual_bitop2_b32 v14, 1, v93 bitop3:0x40
	s_wait_dscnt 0x0
	s_barrier_signal -1
	s_barrier_wait -1
	s_delay_alu instid0(VALU_DEP_1)
	v_lshlrev_b32_e32 v4, 2, v14
	s_ashr_i32 s29, s28, 31
	s_ashr_i32 s3, s27, 31
	;; [unrolled: 1-line block ×3, first 2 shown]
	ds_load_2addr_b32 v[6:7], v4 offset1:2
	ds_load_2addr_b32 v[8:9], v4 offset0:4 offset1:6
	ds_load_2addr_b32 v[10:11], v4 offset0:8 offset1:10
	;; [unrolled: 1-line block ×3, first 2 shown]
	ds_load_b128 v[0:3], v99 offset:64
	s_mul_u64 s[42:43], s[38:39], s[42:43]
	s_mul_u64 s[40:41], s[36:37], s[40:41]
	s_cmp_eq_u64 s[14:15], 0
	s_wait_dscnt 0x0
	s_barrier_signal -1
	s_barrier_wait -1
	s_cbranch_scc1 .LBB0_17
; %bb.16:
	s_load_b32 s4, s[0:1], 0xd0
	s_wait_kmcnt 0x0
	s_mul_i32 s4, s4, s26
	s_delay_alu instid0(SALU_CYCLE_1)
	s_add_co_i32 s4, s4, s31
	s_load_b32 s30, s[14:15], s4 offset:0x0 scale_offset
.LBB0_17:
	v_lshlrev_b32_e32 v15, 5, v92
	s_wait_xcnt 0x0
	s_bfe_u32 s4, ttmp6, 0x40010
	s_and_b32 s5, ttmp7, 0xffff
	s_add_co_i32 s4, s4, 1
	s_bfe_u32 s14, ttmp6, 0x40004
	s_mul_i32 s4, s5, s4
	v_dual_add_nc_u32 v95, v15, v93 :: v_dual_lshlrev_b32 v97, 2, v93
	s_add_co_i32 s14, s14, s4
	s_cmp_eq_u32 s33, 0
	v_mbcnt_lo_u32_b32 v98, -1, 0
	s_cselect_b32 s33, s5, s14
	v_lshlrev_b32_e32 v96, 1, v95
	s_lshl_b32 s37, s33, 7
	s_mov_b32 s5, 0
	s_wait_kmcnt 0x0
	s_cmp_ge_i32 s37, s30
	s_cbranch_scc1 .LBB0_25
; %bb.18:
	s_clause 0x1
	s_load_b64 s[14:15], s[0:1], 0xa8
	s_load_b128 s[20:23], s[0:1], 0x98
	v_bfe_u32 v5, v93, 3, 1
	v_lshrrev_b32_e32 v99, 4, v93
	s_mul_i32 s4, s43, s44
	s_xor_b32 s3, s29, s3
	s_sub_co_i32 s4, s38, s4
	v_mul_hi_u32_u24_e32 v17, 22, v5
	v_mul_u32_u24_e32 v16, 22, v5
	v_dual_mov_b32 v5, 0 :: v_dual_add_nc_u32 v106, v15, v99
	v_and_b32_e32 v18, 12, v97
	s_add_co_i32 s38, s43, 1
	s_sub_co_i32 s39, s4, s44
	s_cmp_ge_u32 s4, s44
	v_dual_mov_b32 v19, v5 :: v_dual_add_nc_u32 v20, 30, v106
	s_cselect_b32 s38, s38, s43
	s_cselect_b32 s4, s39, s4
	s_add_co_i32 s39, s38, 1
	s_wait_kmcnt 0x0
	v_mad_nc_u64_u32 v[16:17], s14, s26, v[16:17]
	s_cmp_ge_u32 s4, s44
	v_dual_add_nc_u32 v21, 28, v106 :: v_dual_add_nc_u32 v23, 26, v106
	s_load_b64 s[44:45], s[0:1], 0x8c
	v_mul_lo_u32 v20, s22, v20
	s_mul_i32 s15, s15, s26
	s_mul_i32 s14, s14, s27
	v_mul_lo_u32 v22, s22, v21
	v_mul_lo_u32 v24, s22, v23
	v_dual_add_nc_u32 v23, 24, v106 :: v_dual_add_nc_u32 v25, 22, v106
	v_add3_u32 v17, s14, s15, v17
	s_cselect_b32 s4, s39, s38
	s_clause 0x1
	s_load_b64 s[38:39], s[0:1], 0xc8
	s_load_b32 s46, s[0:1], 0xd4
	v_mul_lo_u32 v26, s22, v23
	v_ashrrev_i32_e32 v21, 31, v20
	v_add_nc_u64_e32 v[18:19], v[16:17], v[18:19]
	v_mul_lo_u32 v28, s22, v25
	v_dual_ashrrev_i32 v23, 31, v22 :: v_dual_ashrrev_i32 v25, 31, v24
	s_delay_alu instid0(VALU_DEP_4) | instskip(SKIP_2) | instid1(VALU_DEP_4)
	v_add_nc_u64_e32 v[32:33], v[16:17], v[20:21]
	s_xor_b32 s4, s4, s3
	s_mul_u64 s[48:49], s[20:21], s[26:27]
	v_add_nc_u64_e32 v[30:31], v[18:19], v[20:21]
	v_add_nc_u32_e32 v20, 20, v106
	v_add_nc_u64_e32 v[34:35], v[18:19], v[22:23]
	v_add_nc_u64_e32 v[36:37], v[16:17], v[22:23]
	v_dual_add_nc_u32 v21, 18, v106 :: v_dual_add_nc_u32 v23, 16, v106
	s_delay_alu instid0(VALU_DEP_4)
	v_mul_lo_u32 v20, s22, v20
	v_add_nc_u64_e32 v[38:39], v[18:19], v[24:25]
	v_dual_ashrrev_i32 v27, 31, v26 :: v_dual_ashrrev_i32 v29, 31, v28
	v_add_nc_u64_e32 v[40:41], v[16:17], v[24:25]
	v_mul_lo_u32 v22, s22, v21
	v_add_nc_u32_e32 v25, 14, v106
	v_mul_lo_u32 v24, s22, v23
	v_add_nc_u32_e32 v23, 12, v106
	v_add_nc_u64_e32 v[42:43], v[18:19], v[26:27]
	v_add_nc_u64_e32 v[44:45], v[16:17], v[26:27]
	v_ashrrev_i32_e32 v21, 31, v20
	v_add_nc_u64_e32 v[46:47], v[18:19], v[28:29]
	v_add_nc_u64_e32 v[48:49], v[16:17], v[28:29]
	v_mul_lo_u32 v26, s22, v25
	v_add_nc_u32_e32 v25, 10, v106
	v_add_nc_u64_e32 v[50:51], v[18:19], v[20:21]
	v_mul_lo_u32 v28, s22, v23
	v_add_nc_u64_e32 v[56:57], v[16:17], v[20:21]
	v_dual_add_nc_u32 v20, 6, v106 :: v_dual_add_nc_u32 v21, 4, v106
	v_ashrrev_i32_e32 v23, 31, v22
	v_add_nc_u32_e32 v27, 8, v106
	v_mul_lo_u32 v52, s22, v25
	s_delay_alu instid0(VALU_DEP_4)
	v_mul_lo_u32 v20, s22, v20
	v_ashrrev_i32_e32 v25, 31, v24
	s_sub_co_i32 s3, s4, s3
	v_mul_lo_u32 v54, s22, v27
	v_ashrrev_i32_e32 v29, 31, v28
	v_add_nc_u64_e32 v[58:59], v[18:19], v[22:23]
	v_add_nc_u64_e32 v[60:61], v[16:17], v[22:23]
	v_add_nc_u32_e32 v23, 2, v106
	v_add_nc_u64_e32 v[62:63], v[18:19], v[24:25]
	v_add_nc_u64_e32 v[64:65], v[16:17], v[24:25]
	v_mul_lo_u32 v22, s22, v21
	v_ashrrev_i32_e32 v21, 31, v20
	v_mul_lo_u32 v24, s22, v23
	v_dual_ashrrev_i32 v27, 31, v26 :: v_dual_ashrrev_i32 v53, 31, v52
	v_ashrrev_i32_e32 v55, 31, v54
	s_mul_i32 s42, s3, s23
	v_add_nc_u64_e32 v[72:73], v[16:17], v[28:29]
	s_ashr_i32 s43, s42, 31
	v_add_nc_u64_e32 v[68:69], v[16:17], v[26:27]
	v_add_nc_u64_e32 v[76:77], v[16:17], v[52:53]
	v_ashrrev_i32_e32 v23, 31, v22
	v_add_nc_u64_e32 v[82:83], v[18:19], v[20:21]
	v_ashrrev_i32_e32 v25, 31, v24
	v_add_nc_u64_e32 v[80:81], v[16:17], v[54:55]
	v_add_nc_u64_e32 v[84:85], v[16:17], v[20:21]
	;; [unrolled: 1-line block ×6, first 2 shown]
	v_xor_b32_e32 v17, 1, v98
	v_and_b32_e32 v22, 30, v98
	v_add_nc_u64_e32 v[66:67], v[18:19], v[26:27]
	v_mul_lo_u32 v26, s22, v106
	s_mul_i32 s4, s41, s34
	v_add_nc_u64_e32 v[70:71], v[18:19], v[28:29]
	v_add_nc_u32_e32 v16, 2, v22
	v_add_nc_u64_e32 v[74:75], v[18:19], v[52:53]
	v_add_nc_u64_e32 v[78:79], v[18:19], v[54:55]
	;; [unrolled: 1-line block ×4, first 2 shown]
	s_wait_kmcnt 0x0
	s_mul_i32 s40, s3, s45
	s_sub_co_i32 s3, s36, s4
	v_and_b32_e32 v18, 0x7e, v93
	v_cmp_lt_i32_e32 vcc_lo, v17, v16
	s_ashr_i32 s41, s40, 31
	s_sub_co_i32 s4, s3, s34
	s_cmp_ge_u32 s3, s34
	v_ashrrev_i32_e32 v27, 31, v26
	s_cselect_b32 s4, s4, s3
	v_cmp_eq_u32_e64 s3, 0, v14
	v_dual_add_nc_u32 v22, v15, v18 :: v_dual_bitop2_b32 v14, v15, v99 bitop3:0x54
	v_dual_cndmask_b32 v15, v98, v17, vcc_lo :: v_dual_bitop2_b32 v16, 4, v98 bitop3:0x14
	v_add_nc_u64_e32 v[110:111], v[28:29], v[26:27]
	s_delay_alu instid0(VALU_DEP_3) | instskip(NEXT) | instid1(VALU_DEP_3)
	v_mul_lo_u32 v28, v22, s44
	v_dual_lshlrev_b32 v100, 2, v15 :: v_dual_bitop2_b32 v17, 8, v98 bitop3:0x14
	v_xor_b32_e32 v15, 2, v98
	v_add_nc_u64_e32 v[52:53], v[20:21], v[26:27]
	s_sub_co_i32 s14, s4, s34
	s_cmp_ge_u32 s4, s34
	s_mul_i32 s50, s35, s31
	v_cmp_gt_i32_e32 vcc_lo, 32, v15
	s_cselect_b32 s4, s14, s4
	s_ashr_i32 s51, s50, 31
	v_add_nc_u32_e32 v20, s44, v28
	s_xor_b32 s4, s4, s27
	v_cndmask_b32_e32 v15, v98, v15, vcc_lo
	v_cmp_gt_i32_e32 vcc_lo, 32, v16
	s_sub_co_i32 s14, s4, s27
	v_ashrrev_i32_e32 v21, 31, v20
	s_ashr_i32 s15, s14, 31
	s_cmp_lg_u64 s[10:11], 0
	v_cndmask_b32_e32 v16, v98, v16, vcc_lo
	v_cmp_gt_i32_e32 vcc_lo, 32, v17
	v_xor_b32_e32 v18, 16, v98
	v_dual_add_f32 v14, v3, v3 :: v_dual_lshlrev_b32 v105, 1, v14
	s_cselect_b32 s27, -1, 0
	v_cndmask_b32_e32 v17, v98, v17, vcc_lo
	s_delay_alu instid0(VALU_DEP_3)
	v_cmp_gt_i32_e32 vcc_lo, 32, v18
	s_lshl_b32 s20, s46, 7
	s_mul_u64 s[38:39], s[38:39], s[14:15]
	s_mul_i32 s14, s44, s37
	s_mul_i32 s34, s20, s44
	v_dual_cndmask_b32 v18, v98, v18 :: v_dual_lshlrev_b32 v103, 2, v17
	s_lshl_b32 s44, s37, 1
	s_mov_b32 s45, s5
	s_delay_alu instid0(VALU_DEP_1)
	v_dual_ashrrev_i32 v29, 31, v28 :: v_dual_lshlrev_b32 v104, 2, v18
	v_add_nc_u64_e32 v[18:19], s[48:49], v[4:5]
	v_dual_lshlrev_b32 v101, 2, v15 :: v_dual_lshlrev_b32 v102, 2, v16
	v_dual_mov_b32 v15, v14 :: v_dual_lshlrev_b32 v22, 1, v22
	v_mov_b32_e32 v23, v5
	s_add_nc_u64 s[38:39], s[38:39], s[44:45]
	s_delay_alu instid0(VALU_DEP_4)
	v_add_nc_u64_e32 v[24:25], s[40:41], v[18:19]
	v_add_nc_u64_e32 v[18:19], v[18:19], v[20:21]
	s_add_nc_u64 s[10:11], s[10:11], s[50:51]
	v_add_f32_e32 v16, v1, v1
	s_add_nc_u64 s[10:11], s[10:11], s[38:39]
	v_mov_b32_e32 v1, v0
	v_add_nc_u64_e32 v[22:23], s[10:11], v[22:23]
	s_add_nc_u64 s[10:11], s[6:7], s[40:41]
	v_add_nc_u64_e32 v[24:25], v[24:25], v[28:29]
	s_add_nc_u64 s[38:39], s[10:11], s[48:49]
	;; [unrolled: 2-line block ×3, first 2 shown]
	v_add_nc_u64_e32 v[20:21], s[38:39], v[20:21]
	v_add_nc_u64_e32 v[54:55], s[10:11], v[58:59]
	;; [unrolled: 1-line block ×17, first 2 shown]
	s_add_nc_u64 s[38:39], s[48:49], s[40:41]
	v_add_nc_u64_e32 v[26:27], s[8:9], v[52:53]
	v_add_nc_u64_e32 v[52:53], s[10:11], v[56:57]
	;; [unrolled: 1-line block ×12, first 2 shown]
	v_and_b32_e32 v107, 28, v97
	v_dual_mov_b32 v17, v16 :: v_dual_bitop2_b32 v108, 8, v4 bitop3:0x54
	v_add_nc_u64_e32 v[24:25], s[6:7], v[24:25]
	s_add_nc_u64 s[6:7], s[6:7], s[38:39]
	v_add_nc_u64_e32 v[22:23], 2, v[22:23]
	v_add_nc_u64_e32 v[28:29], s[6:7], v[28:29]
	;; [unrolled: 1-line block ×22, first 2 shown]
	v_dual_mov_b32 v3, v2 :: v_dual_lshlrev_b32 v106, 1, v106
	v_dual_mov_b32 v116, v5 :: v_dual_bitop2_b32 v109, 16, v4 bitop3:0x54
	v_dual_mov_b32 v99, v5 :: v_dual_bitop2_b32 v110, 24, v4 bitop3:0x54
	v_and_b32_e32 v111, 4, v93
	v_or_b32_e32 v112, 1, v107
	v_or_b32_e32 v113, 2, v107
	;; [unrolled: 1-line block ×3, first 2 shown]
	v_mov_b32_e32 v117, 0xfeffffff
	s_mov_b32 s21, s5
	s_mul_i32 s4, s22, s37
	s_mov_b32 s15, s5
	s_mov_b32 s35, s5
	s_mul_i32 s22, s20, s22
	s_mov_b32 s23, s5
	s_lshl_b64 s[6:7], s[20:21], 1
.LBB0_19:                               ; =>This Inner Loop Header: Depth=1
	v_add_nc_u64_e32 v[120:121], s[14:15], v[24:25]
	v_add_nc_u64_e32 v[118:119], s[14:15], v[28:29]
	s_and_b32 vcc_lo, exec_lo, s27
	global_load_b32 v115, v[120:121], off offset:6
	global_load_b32 v123, v[118:119], off offset:2
	s_wait_loadcnt 0x1
	v_and_b32_e32 v125, 0xf0f0f0f, v115
	s_wait_loadcnt 0x0
	v_ashrrev_i32_e32 v122, v4, v123
	s_delay_alu instid0(VALU_DEP_1) | instskip(NEXT) | instid1(VALU_DEP_1)
	v_dual_lshrrev_b32 v115, 4, v115 :: v_dual_lshlrev_b32 v124, 4, v122
	v_and_b32_e32 v115, 0xf0f0f0f, v115
	s_delay_alu instid0(VALU_DEP_2) | instskip(SKIP_1) | instid1(VALU_DEP_2)
	v_dual_lshlrev_b32 v126, 11, v122 :: v_dual_bitop2_b32 v124, 16, v124 bitop3:0x40
	v_dual_lshlrev_b32 v127, 18, v122 :: v_dual_lshlrev_b32 v122, 25, v122
	v_and_b32_e32 v126, 0x1000, v126
	s_delay_alu instid0(VALU_DEP_2) | instskip(NEXT) | instid1(VALU_DEP_3)
	v_and_b32_e32 v127, 0x100000, v127
	v_and_b32_e32 v122, 0x10000000, v122
	s_delay_alu instid0(VALU_DEP_1) | instskip(SKIP_1) | instid1(VALU_DEP_2)
	v_or3_b32 v122, v122, v125, v127
	v_ashrrev_i32_e32 v125, v108, v123
	v_or3_b32 v122, v122, v124, v126
	global_load_b32 v126, v[120:121], off offset:14
	v_dual_lshlrev_b32 v127, 4, v125 :: v_dual_lshlrev_b32 v129, 11, v125
	v_lshlrev_b32_e32 v130, 18, v125
	v_dot4_i32_iu8 v124, v122, v6, 0 neg_lo:[1,1,0]
	global_load_u16 v122, v[118:119], off
	v_dual_lshlrev_b32 v125, 25, v125 :: v_dual_bitop2_b32 v127, 16, v127 bitop3:0x40
	v_and_b32_e32 v130, 0x100000, v130
	v_and_b32_e32 v129, 0x1000, v129
	v_cvt_f32_i32_e32 v124, v124
	s_delay_alu instid0(VALU_DEP_4) | instskip(NEXT) | instid1(VALU_DEP_1)
	v_and_b32_e32 v125, 0x10000000, v125
	v_or3_b32 v125, v130, v125, v127
	s_wait_loadcnt 0x1
	v_and_b32_e32 v128, 0xf0f0f0f, v126
	s_delay_alu instid0(VALU_DEP_1) | instskip(SKIP_2) | instid1(VALU_DEP_2)
	v_or3_b32 v125, v125, v129, v128
	s_wait_loadcnt 0x0
	v_cvt_f32_f16_e32 v122, v122
	v_dot4_i32_iu8 v125, v125, v7, 0 neg_lo:[1,1,0]
	s_delay_alu instid0(VALU_DEP_1) | instskip(NEXT) | instid1(VALU_DEP_1)
	v_cvt_f32_i32_e32 v125, v125
	v_pk_fma_f32 v[124:125], v[0:1], v[124:125], v[16:17] neg_lo:[0,0,1] neg_hi:[0,0,1]
	s_delay_alu instid0(VALU_DEP_1) | instskip(NEXT) | instid1(VALU_DEP_1)
	v_pk_mul_f32 v[124:125], v[124:125], v[122:123] op_sel_hi:[1,0]
	v_add_f32_e32 v124, 0, v124
	s_delay_alu instid0(VALU_DEP_1) | instskip(NEXT) | instid1(VALU_DEP_1)
	v_dual_add_f32 v127, v124, v125 :: v_dual_ashrrev_i32 v124, v109, v123
	v_dual_ashrrev_i32 v123, v110, v123 :: v_dual_lshlrev_b32 v125, 4, v124
	v_dual_lshlrev_b32 v128, 11, v124 :: v_dual_lshlrev_b32 v129, 18, v124
	s_delay_alu instid0(VALU_DEP_2) | instskip(NEXT) | instid1(VALU_DEP_2)
	v_dual_lshlrev_b32 v124, 25, v124 :: v_dual_bitop2_b32 v125, 16, v125 bitop3:0x40
	v_and_b32_e32 v128, 0x1000, v128
	s_delay_alu instid0(VALU_DEP_3) | instskip(NEXT) | instid1(VALU_DEP_3)
	v_and_b32_e32 v129, 0x100000, v129
	v_and_b32_e32 v124, 0x10000000, v124
	s_delay_alu instid0(VALU_DEP_1) | instskip(SKIP_1) | instid1(VALU_DEP_2)
	v_or3_b32 v115, v124, v115, v129
	v_dual_lshrrev_b32 v124, 4, v126 :: v_dual_lshlrev_b32 v126, 11, v123
	v_or3_b32 v115, v115, v125, v128
	v_dual_lshlrev_b32 v125, 4, v123 :: v_dual_lshlrev_b32 v128, 18, v123
	v_lshlrev_b32_e32 v123, 25, v123
	s_delay_alu instid0(VALU_DEP_4) | instskip(NEXT) | instid1(VALU_DEP_4)
	v_and_b32_e32 v124, 0xf0f0f0f, v124
	v_dot4_i32_iu8 v115, v115, v8, 0 neg_lo:[1,1,0]
	s_delay_alu instid0(VALU_DEP_4) | instskip(SKIP_3) | instid1(VALU_DEP_2)
	v_and_b32_e32 v125, 16, v125
	v_and_b32_e32 v128, 0x100000, v128
	;; [unrolled: 1-line block ×4, first 2 shown]
	v_or3_b32 v123, v128, v123, v125
	s_delay_alu instid0(VALU_DEP_1) | instskip(SKIP_1) | instid1(VALU_DEP_2)
	v_or3_b32 v123, v123, v126, v124
	v_cvt_f32_i32_e32 v124, v115
	v_dot4_i32_iu8 v123, v123, v9, 0 neg_lo:[1,1,0]
	s_delay_alu instid0(VALU_DEP_1) | instskip(NEXT) | instid1(VALU_DEP_1)
	v_cvt_f32_i32_e32 v125, v123
	v_pk_fma_f32 v[124:125], v[0:1], v[124:125], v[16:17] neg_lo:[0,0,1] neg_hi:[0,0,1]
	s_delay_alu instid0(VALU_DEP_1) | instskip(NEXT) | instid1(VALU_DEP_1)
	v_pk_mul_f32 v[122:123], v[124:125], v[122:123] op_sel_hi:[1,0]
	v_add_f32_e32 v115, v122, v127
	s_delay_alu instid0(VALU_DEP_1)
	v_add_f32_e32 v115, v115, v123
	global_load_b32 v122, v[120:121], off offset:28
	s_clause 0x1
	global_load_b32 v123, v[118:119], off offset:24
	global_load_u16 v118, v[118:119], off offset:22
	global_load_b32 v119, v[120:121], off offset:36
	s_wait_loadcnt 0x3
	v_and_b32_e32 v126, 0xf0f0f0f, v122
	s_wait_loadcnt 0x2
	v_ashrrev_i32_e32 v124, v4, v123
	s_wait_xcnt 0x0
	v_ashrrev_i32_e32 v120, v108, v123
	s_wait_loadcnt 0x1
	v_cvt_f32_f16_e32 v118, v118
	v_dual_lshlrev_b32 v125, 4, v124 :: v_dual_lshlrev_b32 v128, 18, v124
	s_delay_alu instid0(VALU_DEP_3) | instskip(SKIP_1) | instid1(VALU_DEP_3)
	v_lshlrev_b32_e32 v121, 4, v120
	v_dual_lshlrev_b32 v127, 11, v124 :: v_dual_lshlrev_b32 v124, 25, v124
	v_and_b32_e32 v125, 16, v125
	s_delay_alu instid0(VALU_DEP_4) | instskip(NEXT) | instid1(VALU_DEP_4)
	v_and_b32_e32 v128, 0x100000, v128
	v_and_b32_e32 v121, 16, v121
	s_delay_alu instid0(VALU_DEP_4) | instskip(SKIP_1) | instid1(VALU_DEP_1)
	v_and_b32_e32 v127, 0x1000, v127
	v_and_b32_e32 v124, 0x10000000, v124
	v_or3_b32 v124, v124, v126, v128
	v_lshlrev_b32_e32 v126, 11, v120
	s_delay_alu instid0(VALU_DEP_2)
	v_or3_b32 v124, v124, v125, v127
	v_dual_lshlrev_b32 v127, 18, v120 :: v_dual_lshlrev_b32 v120, 25, v120
	s_wait_loadcnt 0x0
	v_and_b32_e32 v125, 0xf0f0f0f, v119
	v_and_b32_e32 v126, 0x1000, v126
	v_dot4_i32_iu8 v124, v124, v10, 0 neg_lo:[1,1,0]
	v_and_b32_e32 v127, 0x100000, v127
	v_and_b32_e32 v120, 0x10000000, v120
	s_delay_alu instid0(VALU_DEP_1) | instskip(NEXT) | instid1(VALU_DEP_1)
	v_or3_b32 v120, v127, v120, v121
	v_or3_b32 v120, v120, v126, v125
	s_delay_alu instid0(VALU_DEP_1) | instskip(NEXT) | instid1(VALU_DEP_1)
	v_dot4_i32_iu8 v120, v120, v11, 0 neg_lo:[1,1,0]
	v_cvt_f32_i32_e32 v121, v120
	v_cvt_f32_i32_e32 v120, v124
	s_delay_alu instid0(VALU_DEP_1) | instskip(NEXT) | instid1(VALU_DEP_1)
	v_pk_fma_f32 v[120:121], v[2:3], v[120:121], v[14:15] neg_lo:[0,0,1] neg_hi:[0,0,1]
	v_pk_mul_f32 v[120:121], v[120:121], v[118:119] op_sel_hi:[1,0]
	s_delay_alu instid0(VALU_DEP_1) | instskip(SKIP_1) | instid1(VALU_DEP_2)
	v_dual_lshrrev_b32 v119, 4, v119 :: v_dual_add_f32 v115, v115, v120
	v_lshrrev_b32_e32 v120, 4, v122
	v_and_b32_e32 v119, 0xf0f0f0f, v119
	s_delay_alu instid0(VALU_DEP_3) | instskip(NEXT) | instid1(VALU_DEP_3)
	v_dual_add_f32 v115, v115, v121 :: v_dual_ashrrev_i32 v121, v109, v123
	v_and_b32_e32 v120, 0xf0f0f0f, v120
	s_delay_alu instid0(VALU_DEP_2) | instskip(SKIP_1) | instid1(VALU_DEP_2)
	v_dual_lshlrev_b32 v122, 4, v121 :: v_dual_lshlrev_b32 v124, 11, v121
	v_dual_lshlrev_b32 v125, 18, v121 :: v_dual_lshlrev_b32 v121, 25, v121
	v_and_b32_e32 v122, 16, v122
	s_delay_alu instid0(VALU_DEP_3) | instskip(NEXT) | instid1(VALU_DEP_3)
	v_and_b32_e32 v124, 0x1000, v124
	v_and_b32_e32 v125, 0x100000, v125
	s_delay_alu instid0(VALU_DEP_4) | instskip(NEXT) | instid1(VALU_DEP_1)
	v_and_b32_e32 v121, 0x10000000, v121
	v_or3_b32 v120, v121, v120, v125
	v_ashrrev_i32_e32 v121, v110, v123
	s_delay_alu instid0(VALU_DEP_2) | instskip(NEXT) | instid1(VALU_DEP_2)
	v_or3_b32 v120, v120, v122, v124
	v_lshlrev_b32_e32 v122, 4, v121
	s_delay_alu instid0(VALU_DEP_2) | instskip(NEXT) | instid1(VALU_DEP_2)
	v_dot4_i32_iu8 v120, v120, v12, 0 neg_lo:[1,1,0]
	v_dual_lshlrev_b32 v123, 11, v121 :: v_dual_bitop2_b32 v122, 16, v122 bitop3:0x40
	v_dual_lshlrev_b32 v124, 18, v121 :: v_dual_lshlrev_b32 v121, 25, v121
	s_delay_alu instid0(VALU_DEP_3) | instskip(NEXT) | instid1(VALU_DEP_3)
	v_cvt_f32_i32_e32 v120, v120
	v_and_b32_e32 v123, 0x1000, v123
	s_delay_alu instid0(VALU_DEP_3) | instskip(NEXT) | instid1(VALU_DEP_4)
	v_and_b32_e32 v124, 0x100000, v124
	v_and_b32_e32 v121, 0x10000000, v121
	s_delay_alu instid0(VALU_DEP_1) | instskip(NEXT) | instid1(VALU_DEP_1)
	v_or3_b32 v121, v124, v121, v122
	v_or3_b32 v119, v121, v123, v119
	s_delay_alu instid0(VALU_DEP_1) | instskip(NEXT) | instid1(VALU_DEP_1)
	v_dot4_i32_iu8 v119, v119, v13, 0 neg_lo:[1,1,0]
	v_cvt_f32_i32_e32 v121, v119
	s_delay_alu instid0(VALU_DEP_1) | instskip(NEXT) | instid1(VALU_DEP_1)
	v_pk_fma_f32 v[120:121], v[2:3], v[120:121], v[14:15] neg_lo:[0,0,1] neg_hi:[0,0,1]
	v_pk_mul_f32 v[118:119], v[120:121], v[118:119] op_sel_hi:[1,0]
	s_delay_alu instid0(VALU_DEP_1) | instskip(NEXT) | instid1(VALU_DEP_1)
	v_add_f32_e32 v115, v118, v115
	v_add_f32_e32 v115, v115, v119
	ds_bpermute_b32 v118, v100, v115
	s_wait_dscnt 0x0
	v_add_f32_e32 v118, v115, v118
	s_cbranch_vccz .LBB0_21
; %bb.20:                               ;   in Loop: Header=BB0_19 Depth=1
	global_load_u16 v115, v[22:23], off offset:-2
	s_wait_loadcnt 0x0
	v_fma_mix_f32 v118, v94, v115, v118 op_sel_hi:[0,1,0]
.LBB0_21:                               ;   in Loop: Header=BB0_19 Depth=1
	v_add_nc_u64_e32 v[122:123], s[14:15], v[18:19]
	v_add_nc_u64_e32 v[120:121], s[14:15], v[20:21]
	s_and_not1_b32 vcc_lo, exec_lo, s27
	global_load_b32 v115, v[122:123], off offset:6
	global_load_b32 v119, v[120:121], off offset:2
	s_wait_loadcnt 0x1
	v_and_b32_e32 v126, 0xf0f0f0f, v115
	s_wait_loadcnt 0x0
	v_ashrrev_i32_e32 v124, v4, v119
	s_delay_alu instid0(VALU_DEP_1) | instskip(NEXT) | instid1(VALU_DEP_1)
	v_dual_lshrrev_b32 v115, 4, v115 :: v_dual_lshlrev_b32 v125, 4, v124
	v_and_b32_e32 v115, 0xf0f0f0f, v115
	s_delay_alu instid0(VALU_DEP_2) | instskip(SKIP_1) | instid1(VALU_DEP_2)
	v_dual_lshlrev_b32 v127, 11, v124 :: v_dual_bitop2_b32 v125, 16, v125 bitop3:0x40
	v_dual_lshlrev_b32 v128, 18, v124 :: v_dual_lshlrev_b32 v124, 25, v124
	v_and_b32_e32 v127, 0x1000, v127
	s_delay_alu instid0(VALU_DEP_2) | instskip(NEXT) | instid1(VALU_DEP_3)
	v_and_b32_e32 v128, 0x100000, v128
	v_and_b32_e32 v124, 0x10000000, v124
	s_delay_alu instid0(VALU_DEP_1) | instskip(SKIP_3) | instid1(VALU_DEP_2)
	v_or3_b32 v124, v124, v126, v128
	global_load_b32 v128, v[122:123], off offset:14
	v_ashrrev_i32_e32 v126, v108, v119
	v_or3_b32 v124, v124, v125, v127
	v_dual_lshlrev_b32 v127, 4, v126 :: v_dual_lshlrev_b32 v130, 11, v126
	v_lshlrev_b32_e32 v131, 18, v126
	s_delay_alu instid0(VALU_DEP_3) | instskip(SKIP_4) | instid1(VALU_DEP_3)
	v_dot4_i32_iu8 v125, v124, v6, 0 neg_lo:[1,1,0]
	global_load_u16 v124, v[120:121], off
	v_dual_lshlrev_b32 v126, 25, v126 :: v_dual_bitop2_b32 v127, 16, v127 bitop3:0x40
	v_and_b32_e32 v131, 0x100000, v131
	v_and_b32_e32 v130, 0x1000, v130
	;; [unrolled: 1-line block ×3, first 2 shown]
	s_delay_alu instid0(VALU_DEP_1) | instskip(SKIP_2) | instid1(VALU_DEP_1)
	v_or3_b32 v126, v131, v126, v127
	s_wait_loadcnt 0x1
	v_and_b32_e32 v129, 0xf0f0f0f, v128
	v_or3_b32 v126, v126, v130, v129
	s_delay_alu instid0(VALU_DEP_1) | instskip(SKIP_2) | instid1(VALU_DEP_2)
	v_dot4_i32_iu8 v126, v126, v7, 0 neg_lo:[1,1,0]
	s_wait_loadcnt 0x0
	v_cvt_f32_f16_e32 v124, v124
	v_cvt_f32_i32_e32 v127, v126
	v_cvt_f32_i32_e32 v126, v125
	s_delay_alu instid0(VALU_DEP_1) | instskip(NEXT) | instid1(VALU_DEP_1)
	v_pk_fma_f32 v[126:127], v[0:1], v[126:127], v[16:17] neg_lo:[0,0,1] neg_hi:[0,0,1]
	v_pk_mul_f32 v[126:127], v[126:127], v[124:125] op_sel_hi:[1,0]
	s_delay_alu instid0(VALU_DEP_1) | instskip(NEXT) | instid1(VALU_DEP_1)
	v_add_f32_e32 v125, 0, v126
	v_add_f32_e32 v129, v125, v127
	v_dual_ashrrev_i32 v125, v109, v119 :: v_dual_ashrrev_i32 v119, v110, v119
	s_delay_alu instid0(VALU_DEP_1) | instskip(SKIP_1) | instid1(VALU_DEP_2)
	v_dual_lshlrev_b32 v126, 4, v125 :: v_dual_lshlrev_b32 v127, 11, v125
	v_dual_lshlrev_b32 v130, 18, v125 :: v_dual_lshlrev_b32 v125, 25, v125
	v_and_b32_e32 v126, 16, v126
	s_delay_alu instid0(VALU_DEP_3) | instskip(NEXT) | instid1(VALU_DEP_3)
	v_and_b32_e32 v127, 0x1000, v127
	v_and_b32_e32 v130, 0x100000, v130
	s_delay_alu instid0(VALU_DEP_4) | instskip(NEXT) | instid1(VALU_DEP_1)
	v_and_b32_e32 v125, 0x10000000, v125
	v_or3_b32 v115, v125, v115, v130
	v_dual_lshrrev_b32 v125, 4, v128 :: v_dual_lshlrev_b32 v128, 18, v119
	s_delay_alu instid0(VALU_DEP_2) | instskip(SKIP_2) | instid1(VALU_DEP_4)
	v_or3_b32 v115, v115, v126, v127
	v_dual_lshlrev_b32 v126, 4, v119 :: v_dual_lshlrev_b32 v127, 11, v119
	v_lshlrev_b32_e32 v119, 25, v119
	v_and_b32_e32 v128, 0x100000, v128
	v_and_b32_e32 v125, 0xf0f0f0f, v125
	s_delay_alu instid0(VALU_DEP_4) | instskip(SKIP_3) | instid1(VALU_DEP_2)
	v_and_b32_e32 v126, 16, v126
	v_and_b32_e32 v127, 0x1000, v127
	;; [unrolled: 1-line block ×3, first 2 shown]
	v_dot4_i32_iu8 v115, v115, v8, 0 neg_lo:[1,1,0]
	v_or3_b32 v119, v128, v119, v126
	s_delay_alu instid0(VALU_DEP_2) | instskip(NEXT) | instid1(VALU_DEP_2)
	v_cvt_f32_i32_e32 v126, v115
	v_or3_b32 v119, v119, v127, v125
	s_delay_alu instid0(VALU_DEP_1) | instskip(NEXT) | instid1(VALU_DEP_1)
	v_dot4_i32_iu8 v119, v119, v9, 0 neg_lo:[1,1,0]
	v_cvt_f32_i32_e32 v127, v119
	s_delay_alu instid0(VALU_DEP_1) | instskip(NEXT) | instid1(VALU_DEP_1)
	v_pk_fma_f32 v[126:127], v[0:1], v[126:127], v[16:17] neg_lo:[0,0,1] neg_hi:[0,0,1]
	v_pk_mul_f32 v[124:125], v[126:127], v[124:125] op_sel_hi:[1,0]
	s_delay_alu instid0(VALU_DEP_1)
	v_add_f32_e32 v115, v124, v129
	global_load_b32 v119, v[122:123], off offset:28
	s_clause 0x1
	global_load_b32 v124, v[120:121], off offset:24
	global_load_u16 v120, v[120:121], off offset:22
	global_load_b32 v121, v[122:123], off offset:36
	v_add_f32_e32 v115, v115, v125
	s_wait_loadcnt 0x3
	v_and_b32_e32 v127, 0xf0f0f0f, v119
	s_wait_loadcnt 0x2
	v_ashrrev_i32_e32 v125, v4, v124
	s_wait_xcnt 0x0
	v_ashrrev_i32_e32 v122, v108, v124
	s_wait_loadcnt 0x1
	v_cvt_f32_f16_e32 v120, v120
	v_dual_lshrrev_b32 v119, 4, v119 :: v_dual_lshlrev_b32 v126, 4, v125
	v_dual_lshlrev_b32 v128, 11, v125 :: v_dual_lshlrev_b32 v129, 18, v125
	v_dual_lshlrev_b32 v125, 25, v125 :: v_dual_lshlrev_b32 v123, 4, v122
	s_delay_alu instid0(VALU_DEP_3) | instskip(NEXT) | instid1(VALU_DEP_3)
	v_and_b32_e32 v126, 16, v126
	v_and_b32_e32 v128, 0x1000, v128
	s_delay_alu instid0(VALU_DEP_4) | instskip(NEXT) | instid1(VALU_DEP_4)
	v_and_b32_e32 v129, 0x100000, v129
	v_and_b32_e32 v125, 0x10000000, v125
	v_and_b32_e32 v123, 16, v123
	v_and_b32_e32 v119, 0xf0f0f0f, v119
	s_delay_alu instid0(VALU_DEP_3) | instskip(SKIP_1) | instid1(VALU_DEP_2)
	v_or3_b32 v125, v125, v127, v129
	v_lshlrev_b32_e32 v127, 11, v122
	v_or3_b32 v125, v125, v126, v128
	v_dual_lshlrev_b32 v128, 18, v122 :: v_dual_lshlrev_b32 v122, 25, v122
	s_wait_loadcnt 0x0
	v_and_b32_e32 v126, 0xf0f0f0f, v121
	v_and_b32_e32 v127, 0x1000, v127
	v_dot4_i32_iu8 v125, v125, v10, 0 neg_lo:[1,1,0]
	v_and_b32_e32 v128, 0x100000, v128
	v_and_b32_e32 v122, 0x10000000, v122
	s_delay_alu instid0(VALU_DEP_1) | instskip(NEXT) | instid1(VALU_DEP_1)
	v_or3_b32 v122, v128, v122, v123
	v_or3_b32 v122, v122, v127, v126
	s_delay_alu instid0(VALU_DEP_1) | instskip(NEXT) | instid1(VALU_DEP_1)
	v_dot4_i32_iu8 v122, v122, v11, 0 neg_lo:[1,1,0]
	v_cvt_f32_i32_e32 v123, v122
	v_cvt_f32_i32_e32 v122, v125
	s_delay_alu instid0(VALU_DEP_1) | instskip(NEXT) | instid1(VALU_DEP_1)
	v_pk_fma_f32 v[122:123], v[2:3], v[122:123], v[14:15] neg_lo:[0,0,1] neg_hi:[0,0,1]
	v_pk_mul_f32 v[122:123], v[122:123], v[120:121] op_sel_hi:[1,0]
	s_delay_alu instid0(VALU_DEP_1) | instskip(SKIP_1) | instid1(VALU_DEP_2)
	v_dual_lshrrev_b32 v121, 4, v121 :: v_dual_add_f32 v115, v115, v122
	v_ashrrev_i32_e32 v122, v109, v124
	v_and_b32_e32 v121, 0xf0f0f0f, v121
	s_delay_alu instid0(VALU_DEP_2) | instskip(SKIP_1) | instid1(VALU_DEP_2)
	v_dual_add_f32 v115, v115, v123 :: v_dual_lshlrev_b32 v123, 4, v122
	v_dual_lshlrev_b32 v125, 11, v122 :: v_dual_lshlrev_b32 v126, 18, v122
	v_dual_lshlrev_b32 v122, 25, v122 :: v_dual_bitop2_b32 v123, 16, v123 bitop3:0x40
	s_delay_alu instid0(VALU_DEP_2) | instskip(NEXT) | instid1(VALU_DEP_3)
	v_and_b32_e32 v125, 0x1000, v125
	v_and_b32_e32 v126, 0x100000, v126
	s_delay_alu instid0(VALU_DEP_3) | instskip(NEXT) | instid1(VALU_DEP_1)
	v_and_b32_e32 v122, 0x10000000, v122
	v_or3_b32 v119, v122, v119, v126
	v_ashrrev_i32_e32 v122, v110, v124
	s_delay_alu instid0(VALU_DEP_2) | instskip(NEXT) | instid1(VALU_DEP_2)
	v_or3_b32 v119, v119, v123, v125
	v_lshlrev_b32_e32 v123, 4, v122
	s_delay_alu instid0(VALU_DEP_2) | instskip(NEXT) | instid1(VALU_DEP_2)
	v_dot4_i32_iu8 v119, v119, v12, 0 neg_lo:[1,1,0]
	v_dual_lshlrev_b32 v124, 11, v122 :: v_dual_bitop2_b32 v123, 16, v123 bitop3:0x40
	v_dual_lshlrev_b32 v125, 18, v122 :: v_dual_lshlrev_b32 v122, 25, v122
	s_delay_alu instid0(VALU_DEP_2) | instskip(NEXT) | instid1(VALU_DEP_2)
	v_and_b32_e32 v124, 0x1000, v124
	v_and_b32_e32 v125, 0x100000, v125
	s_delay_alu instid0(VALU_DEP_3) | instskip(NEXT) | instid1(VALU_DEP_1)
	v_and_b32_e32 v122, 0x10000000, v122
	v_or3_b32 v122, v125, v122, v123
	s_delay_alu instid0(VALU_DEP_1) | instskip(SKIP_1) | instid1(VALU_DEP_2)
	v_or3_b32 v121, v122, v124, v121
	v_cvt_f32_i32_e32 v122, v119
	v_dot4_i32_iu8 v121, v121, v13, 0 neg_lo:[1,1,0]
	s_delay_alu instid0(VALU_DEP_1) | instskip(NEXT) | instid1(VALU_DEP_1)
	v_cvt_f32_i32_e32 v123, v121
	v_pk_fma_f32 v[122:123], v[2:3], v[122:123], v[14:15] neg_lo:[0,0,1] neg_hi:[0,0,1]
	s_delay_alu instid0(VALU_DEP_1) | instskip(NEXT) | instid1(VALU_DEP_1)
	v_pk_mul_f32 v[120:121], v[122:123], v[120:121] op_sel_hi:[1,0]
	v_add_f32_e32 v115, v120, v115
	s_delay_alu instid0(VALU_DEP_1)
	v_add_f32_e32 v115, v115, v121
	ds_bpermute_b32 v119, v100, v115
	s_wait_dscnt 0x0
	v_add_f32_e32 v119, v115, v119
	s_cbranch_vccnz .LBB0_23
; %bb.22:                               ;   in Loop: Header=BB0_19 Depth=1
	global_load_u16 v115, v[22:23], off
	s_wait_loadcnt 0x0
	v_fma_mix_f32 v119, v94, v115, v119 op_sel_hi:[0,1,0]
.LBB0_23:                               ;   in Loop: Header=BB0_19 Depth=1
	s_delay_alu instid0(VALU_DEP_1)
	v_dual_add_f32 v115, 0x40051340, v118 :: v_dual_add_f32 v120, 0x40051340, v119
	v_add_nc_u64_e32 v[18:19], s[34:35], v[18:19]
	v_add_nc_u64_e32 v[20:21], s[34:35], v[20:21]
	;; [unrolled: 1-line block ×4, first 2 shown]
	v_max3_num_f32 v115, v117, v115, v120
	v_add_nc_u64_e32 v[28:29], s[34:35], v[28:29]
	s_add_co_i32 s37, s37, s20
	v_cndmask_b32_e64 v118, v119, v118, s3
	s_cmp_ge_i32 s37, s30
	ds_bpermute_b32 v120, v101, v115
	s_wait_dscnt 0x0
	v_max_num_f32_e32 v120, v120, v120
	s_delay_alu instid0(VALU_DEP_1) | instskip(SKIP_3) | instid1(VALU_DEP_1)
	v_max_num_f32_e32 v115, v115, v120
	ds_bpermute_b32 v120, v102, v115
	s_wait_dscnt 0x0
	v_max_num_f32_e32 v120, v120, v120
	v_max_num_f32_e32 v115, v115, v120
	ds_bpermute_b32 v120, v103, v115
	s_wait_dscnt 0x0
	v_max_num_f32_e32 v120, v120, v120
	s_delay_alu instid0(VALU_DEP_1) | instskip(SKIP_3) | instid1(VALU_DEP_1)
	v_max_num_f32_e32 v115, v115, v120
	ds_bpermute_b32 v120, v104, v115
	s_wait_dscnt 0x0
	v_max_num_f32_e32 v120, v120, v120
	v_max_num_f32_e32 v115, v115, v120
	s_delay_alu instid0(VALU_DEP_1) | instskip(NEXT) | instid1(VALU_DEP_1)
	v_sub_f32_e32 v117, v117, v115
	v_mul_f32_e32 v119, 0x3fb8aa3b, v117
	s_delay_alu instid0(VALU_DEP_1) | instskip(SKIP_1) | instid1(VALU_DEP_1)
	v_fma_f32 v120, 0x3fb8aa3b, v117, -v119
	v_rndne_f32_e32 v121, v119
	v_sub_f32_e32 v119, v119, v121
	s_delay_alu instid0(VALU_DEP_3) | instskip(SKIP_2) | instid1(VALU_DEP_3)
	v_fmac_f32_e32 v120, 0x32a5705f, v117
	v_sub_f32_e32 v118, v118, v115
	v_cmp_ngt_f32_e32 vcc_lo, 0xc2ce8ed0, v117
	v_add_f32_e32 v119, v119, v120
	v_cvt_i32_f32_e32 v120, v121
	s_delay_alu instid0(VALU_DEP_2) | instskip(SKIP_1) | instid1(TRANS32_DEP_1)
	v_exp_f32_e32 v119, v119
	v_nop
	v_ldexp_f32 v119, v119, v120
	s_delay_alu instid0(VALU_DEP_1) | instskip(SKIP_1) | instid1(VALU_DEP_2)
	v_cndmask_b32_e32 v119, 0, v119, vcc_lo
	v_cmp_nlt_f32_e32 vcc_lo, 0x42b17218, v117
	v_cndmask_b32_e32 v117, 0x7f800000, v119, vcc_lo
	v_mul_f32_e32 v119, 0x3fb8aa3b, v118
	v_cmp_ngt_f32_e32 vcc_lo, 0xc2ce8ed0, v118
	s_delay_alu instid0(VALU_DEP_2) | instskip(SKIP_1) | instid1(VALU_DEP_1)
	v_fma_f32 v120, 0x3fb8aa3b, v118, -v119
	v_rndne_f32_e32 v121, v119
	v_dual_fmac_f32 v120, 0x32a5705f, v118 :: v_dual_sub_f32 v119, v119, v121
	s_delay_alu instid0(VALU_DEP_1) | instskip(SKIP_1) | instid1(VALU_DEP_2)
	v_add_f32_e32 v119, v119, v120
	v_cvt_i32_f32_e32 v120, v121
	v_exp_f32_e32 v119, v119
	v_nop
	s_delay_alu instid0(TRANS32_DEP_1) | instskip(NEXT) | instid1(VALU_DEP_1)
	v_ldexp_f32 v119, v119, v120
	v_cndmask_b32_e32 v119, 0, v119, vcc_lo
	v_cmp_nlt_f32_e32 vcc_lo, 0x42b17218, v118
	s_delay_alu instid0(VALU_DEP_2) | instskip(NEXT) | instid1(VALU_DEP_1)
	v_cndmask_b32_e32 v118, 0x7f800000, v119, vcc_lo
	v_fma_f32 v99, v99, v117, v118
	v_cvt_f16_f32_e32 v117, v117
	s_delay_alu instid0(VALU_DEP_1) | instskip(NEXT) | instid1(VALU_DEP_1)
	v_and_b32_e32 v117, 0xffff, v117
	v_mul_u32_u24_e32 v117, 0x10001, v117
	s_delay_alu instid0(VALU_DEP_1)
	v_pk_mul_f16 v120, v116, v117
	v_cvt_f16_f32_e32 v116, v118
	v_pk_mul_f16 v5, v5, v117
	v_add_nc_u64_e32 v[118:119], s[4:5], v[90:91]
	v_add_nc_u64_e32 v[90:91], s[22:23], v[90:91]
	ds_store_b16 v96, v116
	ds_load_u16 v116, v105
	ds_load_u16 v122, v105 offset:16
	ds_load_u16 v123, v105 offset:32
	;; [unrolled: 1-line block ×3, first 2 shown]
	global_load_b32 v118, v[118:119], off
	s_wait_dscnt 0x3
	v_mul_u32_u24_e32 v121, 0x10001, v116
	v_add_nc_u64_e32 v[116:117], s[4:5], v[26:27]
	s_wait_dscnt 0x2
	v_mul_u32_u24_e32 v122, 0x10001, v122
	s_wait_dscnt 0x1
	v_mul_u32_u24_e32 v123, 0x10001, v123
	v_add_nc_u64_e32 v[26:27], s[22:23], v[26:27]
	s_clause 0x1
	global_load_b32 v119, v[116:117], off offset:2
	global_load_u16 v116, v[116:117], off
	s_wait_loadcnt 0x2
	v_ashrrev_i32_e32 v118, v111, v118
	s_delay_alu instid0(VALU_DEP_1) | instskip(SKIP_4) | instid1(VALU_DEP_2)
	v_and_b32_e32 v118, 0xf0f0f0f, v118
	s_wait_loadcnt 0x1
	v_dual_lshrrev_b32 v125, v107, v119 :: v_dual_lshrrev_b32 v126, v112, v119
	s_wait_loadcnt 0x0
	v_mul_u32_u24_e32 v116, 0x10001, v116
	v_dual_lshlrev_b32 v125, 4, v125 :: v_dual_lshlrev_b32 v126, 12, v126
	s_delay_alu instid0(VALU_DEP_1) | instskip(NEXT) | instid1(VALU_DEP_2)
	v_and_b32_e32 v125, 16, v125
	v_and_b32_e32 v126, 0x1000, v126
	s_delay_alu instid0(VALU_DEP_1) | instskip(SKIP_1) | instid1(VALU_DEP_1)
	v_or3_b32 v125, v125, v118, v126
	v_dual_lshrrev_b32 v126, v113, v119 :: v_dual_lshrrev_b32 v119, v114, v119
	v_dual_lshlrev_b32 v119, 28, v119 :: v_dual_lshlrev_b32 v126, 20, v126
	s_delay_alu instid0(VALU_DEP_1) | instskip(NEXT) | instid1(VALU_DEP_2)
	v_and_b32_e32 v119, 0x10000000, v119
	v_and_b32_e32 v126, 0x100000, v126
	s_delay_alu instid0(VALU_DEP_1) | instskip(SKIP_1) | instid1(VALU_DEP_2)
	v_or3_b32 v118, v118, v126, v119
	v_lshlrev_b16 v119, 8, v125
	v_lshrrev_b32_e32 v118, 16, v118
	s_delay_alu instid0(VALU_DEP_2) | instskip(NEXT) | instid1(VALU_DEP_1)
	v_add_nc_u16 v119, 0xf000, v119
	v_lshrrev_b16 v119, 8, v119
	s_delay_alu instid0(VALU_DEP_1) | instskip(NEXT) | instid1(VALU_DEP_4)
	v_bitop3_b16 v119, v125, v119, 0x1f00 bitop3:0xec
	v_lshlrev_b16 v125, 8, v118
	v_and_b32_e32 v118, 0x1f00, v118
	s_delay_alu instid0(VALU_DEP_3) | instskip(NEXT) | instid1(VALU_DEP_3)
	v_add_nc_u16 v119, 0xf000, v119
	v_add_nc_u16 v125, 0xf000, v125
	s_delay_alu instid0(VALU_DEP_3) | instskip(NEXT) | instid1(VALU_DEP_3)
	v_add_nc_u16 v118, 0xf000, v118
	v_lshrrev_b32_e32 v117, 8, v119
	v_bfe_i32 v119, v119, 0, 8
	s_delay_alu instid0(VALU_DEP_3) | instskip(NEXT) | instid1(VALU_DEP_3)
	v_lshrrev_b32_e32 v118, 8, v118
	v_bfe_i32 v117, v117, 0, 8
	s_delay_alu instid0(VALU_DEP_3) | instskip(NEXT) | instid1(VALU_DEP_3)
	v_cvt_f16_i16_e32 v119, v119
	v_bfe_i32 v118, v118, 0, 8
	s_delay_alu instid0(VALU_DEP_3) | instskip(NEXT) | instid1(VALU_DEP_2)
	v_cvt_f16_i16_e32 v117, v117
	v_cvt_f16_i16_e32 v118, v118
	s_delay_alu instid0(VALU_DEP_2) | instskip(SKIP_1) | instid1(VALU_DEP_2)
	v_pack_b32_f16 v117, v119, v117
	v_ashrrev_i16 v119, 8, v125
	v_pk_mul_f16 v117, v117, v116
	s_delay_alu instid0(VALU_DEP_2) | instskip(NEXT) | instid1(VALU_DEP_2)
	v_cvt_f16_i16_e32 v119, v119
	v_pk_fma_f16 v117, v117, v121, v120
	s_delay_alu instid0(VALU_DEP_2) | instskip(NEXT) | instid1(VALU_DEP_1)
	v_pack_b32_f16 v118, v119, v118
	v_pk_mul_f16 v116, v118, v116
	s_delay_alu instid0(VALU_DEP_1)
	v_pk_fma_f16 v125, v116, v121, v5
	ds_load_u16 v118, v106 offset:4
	ds_load_u16 v126, v106 offset:8
	;; [unrolled: 1-line block ×12, first 2 shown]
	v_add_nc_u64_e32 v[120:121], s[4:5], v[86:87]
	v_add_nc_u64_e32 v[86:87], s[22:23], v[86:87]
	global_load_b32 v120, v[120:121], off
	s_wait_dscnt 0xb
	v_mul_u32_u24_e32 v135, 0x10001, v118
	v_add_nc_u64_e32 v[118:119], s[4:5], v[88:89]
	s_wait_dscnt 0xa
	v_mul_u32_u24_e32 v126, 0x10001, v126
	v_add_nc_u64_e32 v[88:89], s[22:23], v[88:89]
	s_clause 0x1
	global_load_b32 v121, v[118:119], off offset:2
	global_load_u16 v118, v[118:119], off
	s_wait_dscnt 0x0
	v_mul_u32_u24_e32 v5, 0x10001, v5
	s_wait_loadcnt 0x2
	v_ashrrev_i32_e32 v120, v111, v120
	s_delay_alu instid0(VALU_DEP_1) | instskip(SKIP_4) | instid1(VALU_DEP_2)
	v_and_b32_e32 v120, 0xf0f0f0f, v120
	s_wait_loadcnt 0x1
	v_dual_lshrrev_b32 v136, v107, v121 :: v_dual_lshrrev_b32 v137, v112, v121
	s_wait_loadcnt 0x0
	v_mul_u32_u24_e32 v118, 0x10001, v118
	v_dual_lshlrev_b32 v136, 4, v136 :: v_dual_lshlrev_b32 v137, 12, v137
	s_delay_alu instid0(VALU_DEP_1) | instskip(NEXT) | instid1(VALU_DEP_2)
	v_and_b32_e32 v136, 16, v136
	v_and_b32_e32 v137, 0x1000, v137
	s_delay_alu instid0(VALU_DEP_1) | instskip(SKIP_1) | instid1(VALU_DEP_1)
	v_or3_b32 v136, v136, v120, v137
	v_dual_lshrrev_b32 v137, v113, v121 :: v_dual_lshrrev_b32 v121, v114, v121
	v_lshlrev_b32_e32 v137, 20, v137
	s_delay_alu instid0(VALU_DEP_2) | instskip(NEXT) | instid1(VALU_DEP_2)
	v_lshlrev_b32_e32 v121, 28, v121
	v_and_b32_e32 v137, 0x100000, v137
	s_delay_alu instid0(VALU_DEP_2) | instskip(NEXT) | instid1(VALU_DEP_1)
	v_and_b32_e32 v121, 0x10000000, v121
	v_or3_b32 v120, v120, v137, v121
	v_lshlrev_b16 v121, 8, v136
	s_delay_alu instid0(VALU_DEP_2) | instskip(NEXT) | instid1(VALU_DEP_2)
	v_lshrrev_b32_e32 v120, 16, v120
	v_add_nc_u16 v121, 0xf000, v121
	s_delay_alu instid0(VALU_DEP_1) | instskip(NEXT) | instid1(VALU_DEP_1)
	v_lshrrev_b16 v121, 8, v121
	v_bitop3_b16 v121, v136, v121, 0x1f00 bitop3:0xec
	s_delay_alu instid0(VALU_DEP_4) | instskip(SKIP_1) | instid1(VALU_DEP_3)
	v_lshlrev_b16 v136, 8, v120
	v_and_b32_e32 v120, 0x1f00, v120
	v_add_nc_u16 v121, 0xf000, v121
	s_delay_alu instid0(VALU_DEP_3) | instskip(NEXT) | instid1(VALU_DEP_3)
	v_add_nc_u16 v136, 0xf000, v136
	v_add_nc_u16 v120, 0xf000, v120
	s_delay_alu instid0(VALU_DEP_3) | instskip(SKIP_1) | instid1(VALU_DEP_3)
	v_lshrrev_b32_e32 v119, 8, v121
	v_bfe_i32 v121, v121, 0, 8
	v_lshrrev_b32_e32 v120, 8, v120
	s_delay_alu instid0(VALU_DEP_3) | instskip(NEXT) | instid1(VALU_DEP_3)
	v_bfe_i32 v119, v119, 0, 8
	v_cvt_f16_i16_e32 v121, v121
	s_delay_alu instid0(VALU_DEP_3) | instskip(NEXT) | instid1(VALU_DEP_3)
	v_bfe_i32 v120, v120, 0, 8
	v_cvt_f16_i16_e32 v119, v119
	s_delay_alu instid0(VALU_DEP_2) | instskip(NEXT) | instid1(VALU_DEP_2)
	v_cvt_f16_i16_e32 v120, v120
	v_pack_b32_f16 v119, v121, v119
	v_ashrrev_i16 v121, 8, v136
	s_delay_alu instid0(VALU_DEP_2) | instskip(NEXT) | instid1(VALU_DEP_2)
	v_pk_mul_f16 v119, v119, v118
	v_cvt_f16_i16_e32 v121, v121
	s_delay_alu instid0(VALU_DEP_2) | instskip(NEXT) | instid1(VALU_DEP_2)
	v_pk_fma_f16 v117, v119, v135, v117
	v_pack_b32_f16 v120, v121, v120
	s_delay_alu instid0(VALU_DEP_1) | instskip(SKIP_2) | instid1(VALU_DEP_3)
	v_pk_mul_f16 v118, v120, v118
	v_add_nc_u64_e32 v[120:121], s[4:5], v[82:83]
	v_add_nc_u64_e32 v[82:83], s[22:23], v[82:83]
	v_pk_fma_f16 v125, v118, v135, v125
	v_add_nc_u64_e32 v[118:119], s[4:5], v[84:85]
	v_add_nc_u64_e32 v[84:85], s[22:23], v[84:85]
	global_load_b32 v120, v[120:121], off
	s_clause 0x1
	global_load_b32 v121, v[118:119], off offset:2
	global_load_u16 v118, v[118:119], off
	s_wait_loadcnt 0x2
	v_ashrrev_i32_e32 v120, v111, v120
	s_wait_loadcnt 0x1
	v_dual_lshrrev_b32 v135, v107, v121 :: v_dual_lshrrev_b32 v136, v112, v121
	s_delay_alu instid0(VALU_DEP_2) | instskip(SKIP_2) | instid1(VALU_DEP_3)
	v_and_b32_e32 v120, 0xf0f0f0f, v120
	s_wait_loadcnt 0x0
	v_mul_u32_u24_e32 v118, 0x10001, v118
	v_dual_lshlrev_b32 v135, 4, v135 :: v_dual_lshlrev_b32 v136, 12, v136
	s_delay_alu instid0(VALU_DEP_1) | instskip(NEXT) | instid1(VALU_DEP_2)
	v_and_b32_e32 v135, 16, v135
	v_and_b32_e32 v136, 0x1000, v136
	s_delay_alu instid0(VALU_DEP_1) | instskip(SKIP_1) | instid1(VALU_DEP_1)
	v_or3_b32 v135, v135, v120, v136
	v_dual_lshrrev_b32 v136, v113, v121 :: v_dual_lshrrev_b32 v121, v114, v121
	v_dual_lshlrev_b32 v136, 20, v136 :: v_dual_lshlrev_b32 v121, 28, v121
	s_delay_alu instid0(VALU_DEP_1) | instskip(NEXT) | instid1(VALU_DEP_2)
	v_and_b32_e32 v136, 0x100000, v136
	v_and_b32_e32 v121, 0x10000000, v121
	s_delay_alu instid0(VALU_DEP_1) | instskip(SKIP_1) | instid1(VALU_DEP_1)
	v_or3_b32 v120, v120, v136, v121
	v_lshlrev_b16 v121, 8, v135
	v_add_nc_u16 v121, 0xf000, v121
	s_delay_alu instid0(VALU_DEP_1) | instskip(NEXT) | instid1(VALU_DEP_1)
	v_lshrrev_b16 v121, 8, v121
	v_bitop3_b16 v121, v135, v121, 0x1f00 bitop3:0xec
	s_delay_alu instid0(VALU_DEP_1) | instskip(NEXT) | instid1(VALU_DEP_1)
	v_add_nc_u16 v121, 0xf000, v121
	v_dual_lshrrev_b32 v120, 16, v120 :: v_dual_lshrrev_b32 v119, 8, v121
	s_delay_alu instid0(VALU_DEP_1) | instskip(SKIP_2) | instid1(VALU_DEP_4)
	v_lshlrev_b16 v135, 8, v120
	v_and_b32_e32 v120, 0x1f00, v120
	v_bfe_i32 v121, v121, 0, 8
	v_bfe_i32 v119, v119, 0, 8
	s_delay_alu instid0(VALU_DEP_4) | instskip(NEXT) | instid1(VALU_DEP_4)
	v_add_nc_u16 v135, 0xf000, v135
	v_add_nc_u16 v120, 0xf000, v120
	s_delay_alu instid0(VALU_DEP_4) | instskip(NEXT) | instid1(VALU_DEP_4)
	v_cvt_f16_i16_e32 v121, v121
	v_cvt_f16_i16_e32 v119, v119
	s_delay_alu instid0(VALU_DEP_3) | instskip(NEXT) | instid1(VALU_DEP_2)
	v_lshrrev_b32_e32 v120, 8, v120
	v_pack_b32_f16 v119, v121, v119
	v_ashrrev_i16 v121, 8, v135
	s_delay_alu instid0(VALU_DEP_3) | instskip(NEXT) | instid1(VALU_DEP_3)
	v_bfe_i32 v120, v120, 0, 8
	v_pk_mul_f16 v119, v119, v118
	s_delay_alu instid0(VALU_DEP_3) | instskip(NEXT) | instid1(VALU_DEP_3)
	v_cvt_f16_i16_e32 v121, v121
	v_cvt_f16_i16_e32 v120, v120
	s_delay_alu instid0(VALU_DEP_3) | instskip(NEXT) | instid1(VALU_DEP_2)
	v_pk_fma_f16 v117, v119, v126, v117
	v_pack_b32_f16 v120, v121, v120
	s_delay_alu instid0(VALU_DEP_1) | instskip(SKIP_2) | instid1(VALU_DEP_3)
	v_pk_mul_f16 v118, v120, v118
	v_add_nc_u64_e32 v[120:121], s[4:5], v[78:79]
	v_add_nc_u64_e32 v[78:79], s[22:23], v[78:79]
	v_pk_fma_f16 v125, v118, v126, v125
	v_add_nc_u64_e32 v[118:119], s[4:5], v[80:81]
	v_mul_u32_u24_e32 v126, 0x10001, v127
	global_load_b32 v120, v[120:121], off
	v_add_nc_u64_e32 v[80:81], s[22:23], v[80:81]
	s_clause 0x1
	global_load_b32 v121, v[118:119], off offset:2
	global_load_u16 v118, v[118:119], off
	s_wait_loadcnt 0x1
	v_lshrrev_b32_e32 v127, v107, v121
	v_dual_ashrrev_i32 v120, v111, v120 :: v_dual_lshrrev_b32 v135, v112, v121
	s_wait_loadcnt 0x0
	v_mul_u32_u24_e32 v118, 0x10001, v118
	s_delay_alu instid0(VALU_DEP_3) | instskip(NEXT) | instid1(VALU_DEP_3)
	v_lshlrev_b32_e32 v127, 4, v127
	v_and_b32_e32 v120, 0xf0f0f0f, v120
	v_lshlrev_b32_e32 v135, 12, v135
	s_delay_alu instid0(VALU_DEP_3) | instskip(NEXT) | instid1(VALU_DEP_2)
	v_and_b32_e32 v127, 16, v127
	v_and_b32_e32 v135, 0x1000, v135
	s_delay_alu instid0(VALU_DEP_1) | instskip(SKIP_1) | instid1(VALU_DEP_1)
	v_or3_b32 v127, v127, v120, v135
	v_dual_lshrrev_b32 v135, v113, v121 :: v_dual_lshrrev_b32 v121, v114, v121
	v_dual_lshlrev_b32 v121, 28, v121 :: v_dual_lshlrev_b32 v135, 20, v135
	s_delay_alu instid0(VALU_DEP_1) | instskip(NEXT) | instid1(VALU_DEP_2)
	v_and_b32_e32 v121, 0x10000000, v121
	v_and_b32_e32 v135, 0x100000, v135
	s_delay_alu instid0(VALU_DEP_1) | instskip(SKIP_1) | instid1(VALU_DEP_2)
	v_or3_b32 v120, v120, v135, v121
	v_lshlrev_b16 v121, 8, v127
	v_lshrrev_b32_e32 v120, 16, v120
	s_delay_alu instid0(VALU_DEP_2) | instskip(NEXT) | instid1(VALU_DEP_1)
	v_add_nc_u16 v121, 0xf000, v121
	v_lshrrev_b16 v121, 8, v121
	s_delay_alu instid0(VALU_DEP_1) | instskip(NEXT) | instid1(VALU_DEP_4)
	v_bitop3_b16 v121, v127, v121, 0x1f00 bitop3:0xec
	v_lshlrev_b16 v127, 8, v120
	v_and_b32_e32 v120, 0x1f00, v120
	s_delay_alu instid0(VALU_DEP_3) | instskip(NEXT) | instid1(VALU_DEP_3)
	v_add_nc_u16 v121, 0xf000, v121
	v_add_nc_u16 v127, 0xf000, v127
	s_delay_alu instid0(VALU_DEP_3) | instskip(NEXT) | instid1(VALU_DEP_3)
	v_add_nc_u16 v120, 0xf000, v120
	v_lshrrev_b32_e32 v119, 8, v121
	v_bfe_i32 v121, v121, 0, 8
	s_delay_alu instid0(VALU_DEP_3) | instskip(NEXT) | instid1(VALU_DEP_3)
	v_lshrrev_b32_e32 v120, 8, v120
	v_bfe_i32 v119, v119, 0, 8
	s_delay_alu instid0(VALU_DEP_3) | instskip(NEXT) | instid1(VALU_DEP_3)
	v_cvt_f16_i16_e32 v121, v121
	v_bfe_i32 v120, v120, 0, 8
	s_delay_alu instid0(VALU_DEP_3) | instskip(NEXT) | instid1(VALU_DEP_2)
	v_cvt_f16_i16_e32 v119, v119
	v_cvt_f16_i16_e32 v120, v120
	s_delay_alu instid0(VALU_DEP_2) | instskip(SKIP_1) | instid1(VALU_DEP_2)
	v_pack_b32_f16 v119, v121, v119
	v_ashrrev_i16 v121, 8, v127
	v_pk_mul_f16 v119, v119, v118
	s_delay_alu instid0(VALU_DEP_2) | instskip(NEXT) | instid1(VALU_DEP_2)
	v_cvt_f16_i16_e32 v121, v121
	v_pk_fma_f16 v117, v119, v126, v117
	s_delay_alu instid0(VALU_DEP_2) | instskip(NEXT) | instid1(VALU_DEP_1)
	v_pack_b32_f16 v120, v121, v120
	v_pk_mul_f16 v118, v120, v118
	v_add_nc_u64_e32 v[120:121], s[4:5], v[74:75]
	v_add_nc_u64_e32 v[74:75], s[22:23], v[74:75]
	s_delay_alu instid0(VALU_DEP_3)
	v_pk_fma_f16 v125, v118, v126, v125
	v_add_nc_u64_e32 v[118:119], s[4:5], v[76:77]
	v_add_nc_u64_e32 v[76:77], s[22:23], v[76:77]
	global_load_b32 v120, v[120:121], off
	s_clause 0x1
	global_load_b32 v121, v[118:119], off offset:2
	global_load_u16 v118, v[118:119], off
	s_wait_loadcnt 0x1
	v_dual_lshrrev_b32 v126, v107, v121 :: v_dual_lshrrev_b32 v127, v112, v121
	v_ashrrev_i32_e32 v120, v111, v120
	s_wait_loadcnt 0x0
	v_mul_u32_u24_e32 v118, 0x10001, v118
	s_delay_alu instid0(VALU_DEP_3) | instskip(NEXT) | instid1(VALU_DEP_3)
	v_dual_lshlrev_b32 v126, 4, v126 :: v_dual_lshlrev_b32 v127, 12, v127
	v_and_b32_e32 v120, 0xf0f0f0f, v120
	s_delay_alu instid0(VALU_DEP_2) | instskip(NEXT) | instid1(VALU_DEP_3)
	v_and_b32_e32 v126, 16, v126
	v_and_b32_e32 v127, 0x1000, v127
	s_delay_alu instid0(VALU_DEP_1) | instskip(SKIP_1) | instid1(VALU_DEP_1)
	v_or3_b32 v126, v126, v120, v127
	v_dual_lshrrev_b32 v127, v113, v121 :: v_dual_lshrrev_b32 v121, v114, v121
	v_dual_lshlrev_b32 v127, 20, v127 :: v_dual_lshlrev_b32 v121, 28, v121
	s_delay_alu instid0(VALU_DEP_1) | instskip(NEXT) | instid1(VALU_DEP_2)
	v_and_b32_e32 v127, 0x100000, v127
	v_and_b32_e32 v121, 0x10000000, v121
	s_delay_alu instid0(VALU_DEP_1) | instskip(SKIP_1) | instid1(VALU_DEP_1)
	v_or3_b32 v120, v120, v127, v121
	v_lshlrev_b16 v121, 8, v126
	v_add_nc_u16 v121, 0xf000, v121
	s_delay_alu instid0(VALU_DEP_1) | instskip(NEXT) | instid1(VALU_DEP_1)
	v_lshrrev_b16 v121, 8, v121
	v_bitop3_b16 v121, v126, v121, 0x1f00 bitop3:0xec
	s_delay_alu instid0(VALU_DEP_1) | instskip(NEXT) | instid1(VALU_DEP_1)
	v_add_nc_u16 v121, 0xf000, v121
	v_dual_lshrrev_b32 v120, 16, v120 :: v_dual_lshrrev_b32 v119, 8, v121
	s_delay_alu instid0(VALU_DEP_1) | instskip(SKIP_2) | instid1(VALU_DEP_4)
	v_lshlrev_b16 v126, 8, v120
	v_and_b32_e32 v120, 0x1f00, v120
	v_bfe_i32 v121, v121, 0, 8
	v_bfe_i32 v119, v119, 0, 8
	s_delay_alu instid0(VALU_DEP_4) | instskip(NEXT) | instid1(VALU_DEP_4)
	v_add_nc_u16 v126, 0xf000, v126
	v_add_nc_u16 v120, 0xf000, v120
	s_delay_alu instid0(VALU_DEP_4) | instskip(NEXT) | instid1(VALU_DEP_4)
	v_cvt_f16_i16_e32 v121, v121
	v_cvt_f16_i16_e32 v119, v119
	s_delay_alu instid0(VALU_DEP_3) | instskip(NEXT) | instid1(VALU_DEP_2)
	v_lshrrev_b32_e32 v120, 8, v120
	v_pack_b32_f16 v119, v121, v119
	v_ashrrev_i16 v121, 8, v126
	s_delay_alu instid0(VALU_DEP_3) | instskip(NEXT) | instid1(VALU_DEP_3)
	v_bfe_i32 v120, v120, 0, 8
	v_pk_mul_f16 v119, v119, v118
	s_delay_alu instid0(VALU_DEP_3) | instskip(NEXT) | instid1(VALU_DEP_3)
	v_cvt_f16_i16_e32 v121, v121
	v_cvt_f16_i16_e32 v120, v120
	s_delay_alu instid0(VALU_DEP_3) | instskip(NEXT) | instid1(VALU_DEP_2)
	v_pk_fma_f16 v117, v119, v122, v117
	v_pack_b32_f16 v120, v121, v120
	s_delay_alu instid0(VALU_DEP_1) | instskip(SKIP_2) | instid1(VALU_DEP_3)
	v_pk_mul_f16 v118, v120, v118
	v_add_nc_u64_e32 v[120:121], s[4:5], v[70:71]
	v_add_nc_u64_e32 v[70:71], s[22:23], v[70:71]
	v_pk_fma_f16 v122, v118, v122, v125
	v_add_nc_u64_e32 v[118:119], s[4:5], v[72:73]
	v_mul_u32_u24_e32 v125, 0x10001, v128
	global_load_b32 v120, v[120:121], off
	v_add_nc_u64_e32 v[72:73], s[22:23], v[72:73]
	s_clause 0x1
	global_load_b32 v121, v[118:119], off offset:2
	global_load_u16 v118, v[118:119], off
	s_wait_loadcnt 0x1
	v_lshrrev_b32_e32 v126, v107, v121
	v_dual_ashrrev_i32 v120, v111, v120 :: v_dual_lshrrev_b32 v127, v112, v121
	s_wait_loadcnt 0x0
	v_mul_u32_u24_e32 v118, 0x10001, v118
	s_delay_alu instid0(VALU_DEP_3) | instskip(NEXT) | instid1(VALU_DEP_3)
	v_lshlrev_b32_e32 v126, 4, v126
	v_and_b32_e32 v120, 0xf0f0f0f, v120
	s_delay_alu instid0(VALU_DEP_2) | instskip(NEXT) | instid1(VALU_DEP_1)
	v_dual_lshlrev_b32 v127, 12, v127 :: v_dual_bitop2_b32 v126, 16, v126 bitop3:0x40
	v_and_b32_e32 v127, 0x1000, v127
	s_delay_alu instid0(VALU_DEP_1) | instskip(SKIP_1) | instid1(VALU_DEP_1)
	v_or3_b32 v126, v126, v120, v127
	v_dual_lshrrev_b32 v127, v113, v121 :: v_dual_lshrrev_b32 v121, v114, v121
	v_dual_lshlrev_b32 v121, 28, v121 :: v_dual_lshlrev_b32 v127, 20, v127
	s_delay_alu instid0(VALU_DEP_1) | instskip(NEXT) | instid1(VALU_DEP_2)
	v_and_b32_e32 v121, 0x10000000, v121
	v_and_b32_e32 v127, 0x100000, v127
	s_delay_alu instid0(VALU_DEP_1) | instskip(SKIP_1) | instid1(VALU_DEP_2)
	v_or3_b32 v120, v120, v127, v121
	v_lshlrev_b16 v121, 8, v126
	v_lshrrev_b32_e32 v120, 16, v120
	s_delay_alu instid0(VALU_DEP_2) | instskip(NEXT) | instid1(VALU_DEP_1)
	v_add_nc_u16 v121, 0xf000, v121
	v_lshrrev_b16 v121, 8, v121
	s_delay_alu instid0(VALU_DEP_1) | instskip(NEXT) | instid1(VALU_DEP_4)
	v_bitop3_b16 v121, v126, v121, 0x1f00 bitop3:0xec
	v_lshlrev_b16 v126, 8, v120
	v_and_b32_e32 v120, 0x1f00, v120
	s_delay_alu instid0(VALU_DEP_3) | instskip(NEXT) | instid1(VALU_DEP_3)
	v_add_nc_u16 v121, 0xf000, v121
	v_add_nc_u16 v126, 0xf000, v126
	s_delay_alu instid0(VALU_DEP_3) | instskip(NEXT) | instid1(VALU_DEP_3)
	v_add_nc_u16 v120, 0xf000, v120
	v_lshrrev_b32_e32 v119, 8, v121
	v_bfe_i32 v121, v121, 0, 8
	s_delay_alu instid0(VALU_DEP_3) | instskip(NEXT) | instid1(VALU_DEP_3)
	v_lshrrev_b32_e32 v120, 8, v120
	v_bfe_i32 v119, v119, 0, 8
	s_delay_alu instid0(VALU_DEP_3) | instskip(NEXT) | instid1(VALU_DEP_3)
	v_cvt_f16_i16_e32 v121, v121
	v_bfe_i32 v120, v120, 0, 8
	s_delay_alu instid0(VALU_DEP_3) | instskip(NEXT) | instid1(VALU_DEP_2)
	v_cvt_f16_i16_e32 v119, v119
	v_cvt_f16_i16_e32 v120, v120
	s_delay_alu instid0(VALU_DEP_2) | instskip(SKIP_1) | instid1(VALU_DEP_2)
	v_pack_b32_f16 v119, v121, v119
	v_ashrrev_i16 v121, 8, v126
	v_pk_mul_f16 v119, v119, v118
	s_delay_alu instid0(VALU_DEP_2) | instskip(NEXT) | instid1(VALU_DEP_2)
	v_cvt_f16_i16_e32 v121, v121
	v_pk_fma_f16 v117, v119, v125, v117
	s_delay_alu instid0(VALU_DEP_2) | instskip(NEXT) | instid1(VALU_DEP_1)
	v_pack_b32_f16 v120, v121, v120
	v_pk_mul_f16 v118, v120, v118
	v_add_nc_u64_e32 v[120:121], s[4:5], v[66:67]
	v_add_nc_u64_e32 v[66:67], s[22:23], v[66:67]
	s_delay_alu instid0(VALU_DEP_3)
	v_pk_fma_f16 v122, v118, v125, v122
	v_add_nc_u64_e32 v[118:119], s[4:5], v[68:69]
	v_mul_u32_u24_e32 v125, 0x10001, v129
	global_load_b32 v120, v[120:121], off
	v_add_nc_u64_e32 v[68:69], s[22:23], v[68:69]
	s_clause 0x1
	global_load_b32 v121, v[118:119], off offset:2
	global_load_u16 v118, v[118:119], off
	s_wait_loadcnt 0x1
	v_dual_lshrrev_b32 v126, v107, v121 :: v_dual_lshrrev_b32 v127, v112, v121
	v_ashrrev_i32_e32 v120, v111, v120
	s_wait_loadcnt 0x0
	v_mul_u32_u24_e32 v118, 0x10001, v118
	s_delay_alu instid0(VALU_DEP_3) | instskip(NEXT) | instid1(VALU_DEP_3)
	v_dual_lshlrev_b32 v126, 4, v126 :: v_dual_lshlrev_b32 v127, 12, v127
	v_and_b32_e32 v120, 0xf0f0f0f, v120
	s_delay_alu instid0(VALU_DEP_2) | instskip(NEXT) | instid1(VALU_DEP_3)
	v_and_b32_e32 v126, 16, v126
	v_and_b32_e32 v127, 0x1000, v127
	s_delay_alu instid0(VALU_DEP_1) | instskip(SKIP_1) | instid1(VALU_DEP_1)
	v_or3_b32 v126, v126, v120, v127
	v_dual_lshrrev_b32 v127, v113, v121 :: v_dual_lshrrev_b32 v121, v114, v121
	v_dual_lshlrev_b32 v127, 20, v127 :: v_dual_lshlrev_b32 v121, 28, v121
	s_delay_alu instid0(VALU_DEP_1) | instskip(NEXT) | instid1(VALU_DEP_2)
	v_and_b32_e32 v127, 0x100000, v127
	v_and_b32_e32 v121, 0x10000000, v121
	s_delay_alu instid0(VALU_DEP_1) | instskip(SKIP_1) | instid1(VALU_DEP_1)
	v_or3_b32 v120, v120, v127, v121
	v_lshlrev_b16 v121, 8, v126
	v_add_nc_u16 v121, 0xf000, v121
	s_delay_alu instid0(VALU_DEP_1) | instskip(NEXT) | instid1(VALU_DEP_1)
	v_lshrrev_b16 v121, 8, v121
	v_bitop3_b16 v121, v126, v121, 0x1f00 bitop3:0xec
	s_delay_alu instid0(VALU_DEP_1) | instskip(NEXT) | instid1(VALU_DEP_1)
	v_add_nc_u16 v121, 0xf000, v121
	v_dual_lshrrev_b32 v120, 16, v120 :: v_dual_lshrrev_b32 v119, 8, v121
	s_delay_alu instid0(VALU_DEP_1) | instskip(SKIP_2) | instid1(VALU_DEP_4)
	v_lshlrev_b16 v126, 8, v120
	v_and_b32_e32 v120, 0x1f00, v120
	v_bfe_i32 v121, v121, 0, 8
	v_bfe_i32 v119, v119, 0, 8
	s_delay_alu instid0(VALU_DEP_4) | instskip(NEXT) | instid1(VALU_DEP_4)
	v_add_nc_u16 v126, 0xf000, v126
	v_add_nc_u16 v120, 0xf000, v120
	s_delay_alu instid0(VALU_DEP_4) | instskip(NEXT) | instid1(VALU_DEP_4)
	v_cvt_f16_i16_e32 v121, v121
	v_cvt_f16_i16_e32 v119, v119
	s_delay_alu instid0(VALU_DEP_3) | instskip(NEXT) | instid1(VALU_DEP_2)
	v_lshrrev_b32_e32 v120, 8, v120
	v_pack_b32_f16 v119, v121, v119
	v_ashrrev_i16 v121, 8, v126
	s_delay_alu instid0(VALU_DEP_3) | instskip(NEXT) | instid1(VALU_DEP_3)
	v_bfe_i32 v120, v120, 0, 8
	v_pk_mul_f16 v119, v119, v118
	s_delay_alu instid0(VALU_DEP_3) | instskip(NEXT) | instid1(VALU_DEP_3)
	v_cvt_f16_i16_e32 v121, v121
	v_cvt_f16_i16_e32 v120, v120
	s_delay_alu instid0(VALU_DEP_3) | instskip(NEXT) | instid1(VALU_DEP_2)
	v_pk_fma_f16 v117, v119, v125, v117
	v_pack_b32_f16 v120, v121, v120
	s_delay_alu instid0(VALU_DEP_1) | instskip(SKIP_2) | instid1(VALU_DEP_3)
	v_pk_mul_f16 v118, v120, v118
	v_add_nc_u64_e32 v[120:121], s[4:5], v[62:63]
	v_add_nc_u64_e32 v[62:63], s[22:23], v[62:63]
	v_pk_fma_f16 v122, v118, v125, v122
	v_add_nc_u64_e32 v[118:119], s[4:5], v[64:65]
	v_mul_u32_u24_e32 v125, 0x10001, v130
	global_load_b32 v120, v[120:121], off
	v_add_nc_u64_e32 v[64:65], s[22:23], v[64:65]
	s_clause 0x1
	global_load_b32 v121, v[118:119], off offset:2
	global_load_u16 v118, v[118:119], off
	s_wait_loadcnt 0x1
	v_lshrrev_b32_e32 v126, v107, v121
	v_dual_ashrrev_i32 v120, v111, v120 :: v_dual_lshrrev_b32 v127, v112, v121
	s_wait_loadcnt 0x0
	v_mul_u32_u24_e32 v118, 0x10001, v118
	s_delay_alu instid0(VALU_DEP_3) | instskip(NEXT) | instid1(VALU_DEP_3)
	v_lshlrev_b32_e32 v126, 4, v126
	v_and_b32_e32 v120, 0xf0f0f0f, v120
	s_delay_alu instid0(VALU_DEP_2) | instskip(NEXT) | instid1(VALU_DEP_1)
	v_dual_lshlrev_b32 v127, 12, v127 :: v_dual_bitop2_b32 v126, 16, v126 bitop3:0x40
	v_and_b32_e32 v127, 0x1000, v127
	s_delay_alu instid0(VALU_DEP_1) | instskip(SKIP_1) | instid1(VALU_DEP_1)
	v_or3_b32 v126, v126, v120, v127
	v_dual_lshrrev_b32 v127, v113, v121 :: v_dual_lshrrev_b32 v121, v114, v121
	v_dual_lshlrev_b32 v121, 28, v121 :: v_dual_lshlrev_b32 v127, 20, v127
	s_delay_alu instid0(VALU_DEP_1) | instskip(NEXT) | instid1(VALU_DEP_2)
	v_and_b32_e32 v121, 0x10000000, v121
	v_and_b32_e32 v127, 0x100000, v127
	s_delay_alu instid0(VALU_DEP_1) | instskip(SKIP_1) | instid1(VALU_DEP_2)
	v_or3_b32 v120, v120, v127, v121
	v_lshlrev_b16 v121, 8, v126
	v_lshrrev_b32_e32 v120, 16, v120
	s_delay_alu instid0(VALU_DEP_2) | instskip(NEXT) | instid1(VALU_DEP_1)
	v_add_nc_u16 v121, 0xf000, v121
	v_lshrrev_b16 v121, 8, v121
	s_delay_alu instid0(VALU_DEP_1) | instskip(NEXT) | instid1(VALU_DEP_4)
	v_bitop3_b16 v121, v126, v121, 0x1f00 bitop3:0xec
	v_lshlrev_b16 v126, 8, v120
	v_and_b32_e32 v120, 0x1f00, v120
	s_delay_alu instid0(VALU_DEP_3) | instskip(NEXT) | instid1(VALU_DEP_3)
	v_add_nc_u16 v121, 0xf000, v121
	v_add_nc_u16 v126, 0xf000, v126
	s_delay_alu instid0(VALU_DEP_3) | instskip(NEXT) | instid1(VALU_DEP_3)
	v_add_nc_u16 v120, 0xf000, v120
	v_lshrrev_b32_e32 v119, 8, v121
	v_bfe_i32 v121, v121, 0, 8
	s_delay_alu instid0(VALU_DEP_3) | instskip(NEXT) | instid1(VALU_DEP_3)
	v_lshrrev_b32_e32 v120, 8, v120
	v_bfe_i32 v119, v119, 0, 8
	s_delay_alu instid0(VALU_DEP_3) | instskip(NEXT) | instid1(VALU_DEP_3)
	v_cvt_f16_i16_e32 v121, v121
	v_bfe_i32 v120, v120, 0, 8
	s_delay_alu instid0(VALU_DEP_3) | instskip(NEXT) | instid1(VALU_DEP_2)
	v_cvt_f16_i16_e32 v119, v119
	v_cvt_f16_i16_e32 v120, v120
	s_delay_alu instid0(VALU_DEP_2) | instskip(SKIP_1) | instid1(VALU_DEP_2)
	v_pack_b32_f16 v119, v121, v119
	v_ashrrev_i16 v121, 8, v126
	v_pk_mul_f16 v119, v119, v118
	s_delay_alu instid0(VALU_DEP_2) | instskip(NEXT) | instid1(VALU_DEP_2)
	v_cvt_f16_i16_e32 v121, v121
	v_pk_fma_f16 v117, v119, v125, v117
	s_delay_alu instid0(VALU_DEP_2) | instskip(NEXT) | instid1(VALU_DEP_1)
	v_pack_b32_f16 v120, v121, v120
	v_pk_mul_f16 v118, v120, v118
	v_add_nc_u64_e32 v[120:121], s[4:5], v[58:59]
	v_add_nc_u64_e32 v[58:59], s[22:23], v[58:59]
	s_delay_alu instid0(VALU_DEP_3)
	v_pk_fma_f16 v122, v118, v125, v122
	v_add_nc_u64_e32 v[118:119], s[4:5], v[60:61]
	v_add_nc_u64_e32 v[60:61], s[22:23], v[60:61]
	global_load_b32 v120, v[120:121], off
	s_clause 0x1
	global_load_b32 v121, v[118:119], off offset:2
	global_load_u16 v118, v[118:119], off
	s_wait_loadcnt 0x1
	v_dual_lshrrev_b32 v125, v107, v121 :: v_dual_lshrrev_b32 v126, v112, v121
	v_ashrrev_i32_e32 v120, v111, v120
	s_wait_loadcnt 0x0
	v_mul_u32_u24_e32 v118, 0x10001, v118
	s_delay_alu instid0(VALU_DEP_3) | instskip(NEXT) | instid1(VALU_DEP_3)
	v_dual_lshlrev_b32 v125, 4, v125 :: v_dual_lshlrev_b32 v126, 12, v126
	v_and_b32_e32 v120, 0xf0f0f0f, v120
	s_delay_alu instid0(VALU_DEP_2) | instskip(NEXT) | instid1(VALU_DEP_3)
	v_and_b32_e32 v125, 16, v125
	v_and_b32_e32 v126, 0x1000, v126
	s_delay_alu instid0(VALU_DEP_1) | instskip(SKIP_1) | instid1(VALU_DEP_1)
	v_or3_b32 v125, v125, v120, v126
	v_dual_lshrrev_b32 v126, v113, v121 :: v_dual_lshrrev_b32 v121, v114, v121
	v_dual_lshlrev_b32 v126, 20, v126 :: v_dual_lshlrev_b32 v121, 28, v121
	s_delay_alu instid0(VALU_DEP_1) | instskip(NEXT) | instid1(VALU_DEP_2)
	v_and_b32_e32 v126, 0x100000, v126
	v_and_b32_e32 v121, 0x10000000, v121
	s_delay_alu instid0(VALU_DEP_1) | instskip(SKIP_1) | instid1(VALU_DEP_1)
	v_or3_b32 v120, v120, v126, v121
	v_lshlrev_b16 v121, 8, v125
	v_add_nc_u16 v121, 0xf000, v121
	s_delay_alu instid0(VALU_DEP_1) | instskip(NEXT) | instid1(VALU_DEP_1)
	v_lshrrev_b16 v121, 8, v121
	v_bitop3_b16 v121, v125, v121, 0x1f00 bitop3:0xec
	s_delay_alu instid0(VALU_DEP_1) | instskip(NEXT) | instid1(VALU_DEP_1)
	v_add_nc_u16 v121, 0xf000, v121
	v_dual_lshrrev_b32 v120, 16, v120 :: v_dual_lshrrev_b32 v119, 8, v121
	s_delay_alu instid0(VALU_DEP_1) | instskip(SKIP_2) | instid1(VALU_DEP_4)
	v_lshlrev_b16 v125, 8, v120
	v_and_b32_e32 v120, 0x1f00, v120
	v_bfe_i32 v121, v121, 0, 8
	v_bfe_i32 v119, v119, 0, 8
	s_delay_alu instid0(VALU_DEP_4) | instskip(NEXT) | instid1(VALU_DEP_4)
	v_add_nc_u16 v125, 0xf000, v125
	v_add_nc_u16 v120, 0xf000, v120
	s_delay_alu instid0(VALU_DEP_4) | instskip(NEXT) | instid1(VALU_DEP_4)
	v_cvt_f16_i16_e32 v121, v121
	v_cvt_f16_i16_e32 v119, v119
	s_delay_alu instid0(VALU_DEP_3) | instskip(NEXT) | instid1(VALU_DEP_2)
	v_lshrrev_b32_e32 v120, 8, v120
	v_pack_b32_f16 v119, v121, v119
	v_ashrrev_i16 v121, 8, v125
	s_delay_alu instid0(VALU_DEP_3) | instskip(NEXT) | instid1(VALU_DEP_3)
	v_bfe_i32 v120, v120, 0, 8
	v_pk_mul_f16 v119, v119, v118
	s_delay_alu instid0(VALU_DEP_3) | instskip(NEXT) | instid1(VALU_DEP_3)
	v_cvt_f16_i16_e32 v121, v121
	v_cvt_f16_i16_e32 v120, v120
	s_delay_alu instid0(VALU_DEP_3) | instskip(NEXT) | instid1(VALU_DEP_2)
	v_pk_fma_f16 v117, v119, v123, v117
	v_pack_b32_f16 v120, v121, v120
	s_delay_alu instid0(VALU_DEP_1) | instskip(SKIP_2) | instid1(VALU_DEP_3)
	v_pk_mul_f16 v118, v120, v118
	v_add_nc_u64_e32 v[120:121], s[4:5], v[54:55]
	v_add_nc_u64_e32 v[54:55], s[22:23], v[54:55]
	v_pk_fma_f16 v122, v118, v123, v122
	v_add_nc_u64_e32 v[118:119], s[4:5], v[56:57]
	v_mul_u32_u24_e32 v123, 0x10001, v131
	global_load_b32 v120, v[120:121], off
	v_add_nc_u64_e32 v[56:57], s[22:23], v[56:57]
	s_clause 0x1
	global_load_b32 v121, v[118:119], off offset:2
	global_load_u16 v118, v[118:119], off
	s_wait_loadcnt 0x1
	v_lshrrev_b32_e32 v125, v107, v121
	v_dual_ashrrev_i32 v120, v111, v120 :: v_dual_lshrrev_b32 v126, v112, v121
	s_wait_loadcnt 0x0
	v_mul_u32_u24_e32 v118, 0x10001, v118
	s_delay_alu instid0(VALU_DEP_3) | instskip(NEXT) | instid1(VALU_DEP_3)
	v_lshlrev_b32_e32 v125, 4, v125
	v_and_b32_e32 v120, 0xf0f0f0f, v120
	s_delay_alu instid0(VALU_DEP_2) | instskip(NEXT) | instid1(VALU_DEP_1)
	v_dual_lshlrev_b32 v126, 12, v126 :: v_dual_bitop2_b32 v125, 16, v125 bitop3:0x40
	v_and_b32_e32 v126, 0x1000, v126
	s_delay_alu instid0(VALU_DEP_1) | instskip(SKIP_1) | instid1(VALU_DEP_1)
	v_or3_b32 v125, v125, v120, v126
	v_dual_lshrrev_b32 v126, v113, v121 :: v_dual_lshrrev_b32 v121, v114, v121
	v_dual_lshlrev_b32 v121, 28, v121 :: v_dual_lshlrev_b32 v126, 20, v126
	s_delay_alu instid0(VALU_DEP_1) | instskip(NEXT) | instid1(VALU_DEP_2)
	v_and_b32_e32 v121, 0x10000000, v121
	v_and_b32_e32 v126, 0x100000, v126
	s_delay_alu instid0(VALU_DEP_1) | instskip(SKIP_1) | instid1(VALU_DEP_2)
	v_or3_b32 v120, v120, v126, v121
	v_lshlrev_b16 v121, 8, v125
	v_lshrrev_b32_e32 v120, 16, v120
	s_delay_alu instid0(VALU_DEP_2) | instskip(NEXT) | instid1(VALU_DEP_1)
	v_add_nc_u16 v121, 0xf000, v121
	v_lshrrev_b16 v121, 8, v121
	s_delay_alu instid0(VALU_DEP_1) | instskip(NEXT) | instid1(VALU_DEP_4)
	v_bitop3_b16 v121, v125, v121, 0x1f00 bitop3:0xec
	v_lshlrev_b16 v125, 8, v120
	v_and_b32_e32 v120, 0x1f00, v120
	s_delay_alu instid0(VALU_DEP_3) | instskip(NEXT) | instid1(VALU_DEP_3)
	v_add_nc_u16 v121, 0xf000, v121
	v_add_nc_u16 v125, 0xf000, v125
	s_delay_alu instid0(VALU_DEP_3) | instskip(NEXT) | instid1(VALU_DEP_3)
	v_add_nc_u16 v120, 0xf000, v120
	v_lshrrev_b32_e32 v119, 8, v121
	v_bfe_i32 v121, v121, 0, 8
	s_delay_alu instid0(VALU_DEP_3) | instskip(NEXT) | instid1(VALU_DEP_3)
	v_lshrrev_b32_e32 v120, 8, v120
	v_bfe_i32 v119, v119, 0, 8
	s_delay_alu instid0(VALU_DEP_3) | instskip(NEXT) | instid1(VALU_DEP_3)
	v_cvt_f16_i16_e32 v121, v121
	v_bfe_i32 v120, v120, 0, 8
	s_delay_alu instid0(VALU_DEP_3) | instskip(NEXT) | instid1(VALU_DEP_2)
	v_cvt_f16_i16_e32 v119, v119
	v_cvt_f16_i16_e32 v120, v120
	s_delay_alu instid0(VALU_DEP_2) | instskip(SKIP_1) | instid1(VALU_DEP_2)
	v_pack_b32_f16 v119, v121, v119
	v_ashrrev_i16 v121, 8, v125
	v_pk_mul_f16 v119, v119, v118
	s_delay_alu instid0(VALU_DEP_2) | instskip(NEXT) | instid1(VALU_DEP_2)
	v_cvt_f16_i16_e32 v121, v121
	v_pk_fma_f16 v117, v119, v123, v117
	s_delay_alu instid0(VALU_DEP_2) | instskip(NEXT) | instid1(VALU_DEP_1)
	v_pack_b32_f16 v120, v121, v120
	v_pk_mul_f16 v118, v120, v118
	v_add_nc_u64_e32 v[120:121], s[4:5], v[50:51]
	v_add_nc_u64_e32 v[50:51], s[22:23], v[50:51]
	s_delay_alu instid0(VALU_DEP_3)
	v_pk_fma_f16 v122, v118, v123, v122
	v_add_nc_u64_e32 v[118:119], s[4:5], v[52:53]
	v_mul_u32_u24_e32 v123, 0x10001, v132
	global_load_b32 v120, v[120:121], off
	v_add_nc_u64_e32 v[52:53], s[22:23], v[52:53]
	s_clause 0x1
	global_load_b32 v121, v[118:119], off offset:2
	global_load_u16 v118, v[118:119], off
	s_wait_loadcnt 0x1
	v_dual_lshrrev_b32 v125, v107, v121 :: v_dual_lshrrev_b32 v126, v112, v121
	v_ashrrev_i32_e32 v120, v111, v120
	s_wait_loadcnt 0x0
	v_mul_u32_u24_e32 v118, 0x10001, v118
	s_delay_alu instid0(VALU_DEP_3) | instskip(NEXT) | instid1(VALU_DEP_3)
	v_dual_lshlrev_b32 v125, 4, v125 :: v_dual_lshlrev_b32 v126, 12, v126
	v_and_b32_e32 v120, 0xf0f0f0f, v120
	s_delay_alu instid0(VALU_DEP_2) | instskip(NEXT) | instid1(VALU_DEP_3)
	v_and_b32_e32 v125, 16, v125
	v_and_b32_e32 v126, 0x1000, v126
	s_delay_alu instid0(VALU_DEP_1) | instskip(SKIP_1) | instid1(VALU_DEP_1)
	v_or3_b32 v125, v125, v120, v126
	v_dual_lshrrev_b32 v126, v113, v121 :: v_dual_lshrrev_b32 v121, v114, v121
	v_dual_lshlrev_b32 v126, 20, v126 :: v_dual_lshlrev_b32 v121, 28, v121
	s_delay_alu instid0(VALU_DEP_1) | instskip(NEXT) | instid1(VALU_DEP_2)
	v_and_b32_e32 v126, 0x100000, v126
	v_and_b32_e32 v121, 0x10000000, v121
	s_delay_alu instid0(VALU_DEP_1) | instskip(SKIP_1) | instid1(VALU_DEP_1)
	v_or3_b32 v120, v120, v126, v121
	v_lshlrev_b16 v121, 8, v125
	v_add_nc_u16 v121, 0xf000, v121
	s_delay_alu instid0(VALU_DEP_1) | instskip(NEXT) | instid1(VALU_DEP_1)
	v_lshrrev_b16 v121, 8, v121
	v_bitop3_b16 v121, v125, v121, 0x1f00 bitop3:0xec
	s_delay_alu instid0(VALU_DEP_1) | instskip(NEXT) | instid1(VALU_DEP_1)
	v_add_nc_u16 v121, 0xf000, v121
	v_dual_lshrrev_b32 v120, 16, v120 :: v_dual_lshrrev_b32 v119, 8, v121
	s_delay_alu instid0(VALU_DEP_1) | instskip(SKIP_2) | instid1(VALU_DEP_4)
	v_lshlrev_b16 v125, 8, v120
	v_and_b32_e32 v120, 0x1f00, v120
	v_bfe_i32 v121, v121, 0, 8
	v_bfe_i32 v119, v119, 0, 8
	s_delay_alu instid0(VALU_DEP_4) | instskip(NEXT) | instid1(VALU_DEP_4)
	v_add_nc_u16 v125, 0xf000, v125
	v_add_nc_u16 v120, 0xf000, v120
	s_delay_alu instid0(VALU_DEP_4) | instskip(NEXT) | instid1(VALU_DEP_4)
	v_cvt_f16_i16_e32 v121, v121
	v_cvt_f16_i16_e32 v119, v119
	s_delay_alu instid0(VALU_DEP_3) | instskip(NEXT) | instid1(VALU_DEP_2)
	v_lshrrev_b32_e32 v120, 8, v120
	v_pack_b32_f16 v119, v121, v119
	v_ashrrev_i16 v121, 8, v125
	s_delay_alu instid0(VALU_DEP_3) | instskip(NEXT) | instid1(VALU_DEP_3)
	v_bfe_i32 v120, v120, 0, 8
	v_pk_mul_f16 v119, v119, v118
	s_delay_alu instid0(VALU_DEP_3) | instskip(NEXT) | instid1(VALU_DEP_3)
	v_cvt_f16_i16_e32 v121, v121
	v_cvt_f16_i16_e32 v120, v120
	s_delay_alu instid0(VALU_DEP_3) | instskip(NEXT) | instid1(VALU_DEP_2)
	v_pk_fma_f16 v117, v119, v123, v117
	v_pack_b32_f16 v120, v121, v120
	s_delay_alu instid0(VALU_DEP_1) | instskip(SKIP_2) | instid1(VALU_DEP_3)
	v_pk_mul_f16 v118, v120, v118
	v_add_nc_u64_e32 v[120:121], s[4:5], v[46:47]
	v_add_nc_u64_e32 v[46:47], s[22:23], v[46:47]
	v_pk_fma_f16 v122, v118, v123, v122
	v_add_nc_u64_e32 v[118:119], s[4:5], v[48:49]
	v_mul_u32_u24_e32 v123, 0x10001, v133
	global_load_b32 v120, v[120:121], off
	v_add_nc_u64_e32 v[48:49], s[22:23], v[48:49]
	s_clause 0x1
	global_load_b32 v121, v[118:119], off offset:2
	global_load_u16 v118, v[118:119], off
	s_wait_loadcnt 0x1
	v_lshrrev_b32_e32 v125, v107, v121
	v_dual_ashrrev_i32 v120, v111, v120 :: v_dual_lshrrev_b32 v126, v112, v121
	s_wait_loadcnt 0x0
	v_mul_u32_u24_e32 v118, 0x10001, v118
	s_delay_alu instid0(VALU_DEP_3) | instskip(NEXT) | instid1(VALU_DEP_3)
	v_lshlrev_b32_e32 v125, 4, v125
	v_and_b32_e32 v120, 0xf0f0f0f, v120
	s_delay_alu instid0(VALU_DEP_2) | instskip(NEXT) | instid1(VALU_DEP_1)
	v_dual_lshlrev_b32 v126, 12, v126 :: v_dual_bitop2_b32 v125, 16, v125 bitop3:0x40
	v_and_b32_e32 v126, 0x1000, v126
	s_delay_alu instid0(VALU_DEP_1) | instskip(SKIP_1) | instid1(VALU_DEP_1)
	v_or3_b32 v125, v125, v120, v126
	v_dual_lshrrev_b32 v126, v113, v121 :: v_dual_lshrrev_b32 v121, v114, v121
	v_dual_lshlrev_b32 v121, 28, v121 :: v_dual_lshlrev_b32 v126, 20, v126
	s_delay_alu instid0(VALU_DEP_1) | instskip(NEXT) | instid1(VALU_DEP_2)
	v_and_b32_e32 v121, 0x10000000, v121
	v_and_b32_e32 v126, 0x100000, v126
	s_delay_alu instid0(VALU_DEP_1) | instskip(SKIP_1) | instid1(VALU_DEP_2)
	v_or3_b32 v120, v120, v126, v121
	v_lshlrev_b16 v121, 8, v125
	v_lshrrev_b32_e32 v120, 16, v120
	s_delay_alu instid0(VALU_DEP_2) | instskip(NEXT) | instid1(VALU_DEP_1)
	v_add_nc_u16 v121, 0xf000, v121
	v_lshrrev_b16 v121, 8, v121
	s_delay_alu instid0(VALU_DEP_1) | instskip(NEXT) | instid1(VALU_DEP_4)
	v_bitop3_b16 v121, v125, v121, 0x1f00 bitop3:0xec
	v_lshlrev_b16 v125, 8, v120
	v_and_b32_e32 v120, 0x1f00, v120
	s_delay_alu instid0(VALU_DEP_3) | instskip(NEXT) | instid1(VALU_DEP_3)
	v_add_nc_u16 v121, 0xf000, v121
	v_add_nc_u16 v125, 0xf000, v125
	s_delay_alu instid0(VALU_DEP_3) | instskip(NEXT) | instid1(VALU_DEP_3)
	v_add_nc_u16 v120, 0xf000, v120
	v_lshrrev_b32_e32 v119, 8, v121
	v_bfe_i32 v121, v121, 0, 8
	s_delay_alu instid0(VALU_DEP_3) | instskip(NEXT) | instid1(VALU_DEP_3)
	v_lshrrev_b32_e32 v120, 8, v120
	v_bfe_i32 v119, v119, 0, 8
	s_delay_alu instid0(VALU_DEP_3) | instskip(NEXT) | instid1(VALU_DEP_3)
	v_cvt_f16_i16_e32 v121, v121
	v_bfe_i32 v120, v120, 0, 8
	s_delay_alu instid0(VALU_DEP_3) | instskip(NEXT) | instid1(VALU_DEP_2)
	v_cvt_f16_i16_e32 v119, v119
	v_cvt_f16_i16_e32 v120, v120
	s_delay_alu instid0(VALU_DEP_2) | instskip(SKIP_1) | instid1(VALU_DEP_2)
	v_pack_b32_f16 v119, v121, v119
	v_ashrrev_i16 v121, 8, v125
	v_pk_mul_f16 v119, v119, v118
	s_delay_alu instid0(VALU_DEP_2) | instskip(NEXT) | instid1(VALU_DEP_2)
	v_cvt_f16_i16_e32 v121, v121
	v_pk_fma_f16 v117, v119, v123, v117
	s_delay_alu instid0(VALU_DEP_2) | instskip(NEXT) | instid1(VALU_DEP_1)
	v_pack_b32_f16 v120, v121, v120
	v_pk_mul_f16 v118, v120, v118
	v_add_nc_u64_e32 v[120:121], s[4:5], v[42:43]
	v_add_nc_u64_e32 v[42:43], s[22:23], v[42:43]
	s_delay_alu instid0(VALU_DEP_3)
	v_pk_fma_f16 v122, v118, v123, v122
	v_add_nc_u64_e32 v[118:119], s[4:5], v[44:45]
	v_mul_u32_u24_e32 v123, 0x10001, v124
	global_load_b32 v120, v[120:121], off
	v_add_nc_u64_e32 v[44:45], s[22:23], v[44:45]
	s_clause 0x1
	global_load_b32 v121, v[118:119], off offset:2
	global_load_u16 v118, v[118:119], off
	s_wait_loadcnt 0x1
	v_dual_ashrrev_i32 v120, v111, v120 :: v_dual_lshrrev_b32 v125, v112, v121
	v_lshrrev_b32_e32 v124, v107, v121
	s_delay_alu instid0(VALU_DEP_2) | instskip(SKIP_2) | instid1(VALU_DEP_3)
	v_and_b32_e32 v120, 0xf0f0f0f, v120
	s_wait_loadcnt 0x0
	v_mul_u32_u24_e32 v118, 0x10001, v118
	v_dual_lshlrev_b32 v125, 12, v125 :: v_dual_lshlrev_b32 v124, 4, v124
	s_delay_alu instid0(VALU_DEP_1) | instskip(NEXT) | instid1(VALU_DEP_2)
	v_and_b32_e32 v125, 0x1000, v125
	v_and_b32_e32 v124, 16, v124
	s_delay_alu instid0(VALU_DEP_1) | instskip(SKIP_1) | instid1(VALU_DEP_1)
	v_or3_b32 v124, v124, v120, v125
	v_dual_lshrrev_b32 v125, v113, v121 :: v_dual_lshrrev_b32 v121, v114, v121
	v_lshlrev_b32_e32 v125, 20, v125
	s_delay_alu instid0(VALU_DEP_2) | instskip(NEXT) | instid1(VALU_DEP_2)
	v_lshlrev_b32_e32 v121, 28, v121
	v_and_b32_e32 v125, 0x100000, v125
	s_delay_alu instid0(VALU_DEP_2) | instskip(NEXT) | instid1(VALU_DEP_1)
	v_and_b32_e32 v121, 0x10000000, v121
	v_or3_b32 v120, v120, v125, v121
	v_lshlrev_b16 v121, 8, v124
	s_delay_alu instid0(VALU_DEP_2) | instskip(NEXT) | instid1(VALU_DEP_2)
	v_lshrrev_b32_e32 v120, 16, v120
	v_add_nc_u16 v121, 0xf000, v121
	s_delay_alu instid0(VALU_DEP_1) | instskip(NEXT) | instid1(VALU_DEP_1)
	v_lshrrev_b16 v121, 8, v121
	v_bitop3_b16 v121, v124, v121, 0x1f00 bitop3:0xec
	s_delay_alu instid0(VALU_DEP_4) | instskip(SKIP_1) | instid1(VALU_DEP_3)
	v_lshlrev_b16 v124, 8, v120
	v_and_b32_e32 v120, 0x1f00, v120
	v_add_nc_u16 v121, 0xf000, v121
	s_delay_alu instid0(VALU_DEP_3) | instskip(NEXT) | instid1(VALU_DEP_3)
	v_add_nc_u16 v124, 0xf000, v124
	v_add_nc_u16 v120, 0xf000, v120
	s_delay_alu instid0(VALU_DEP_3) | instskip(SKIP_1) | instid1(VALU_DEP_3)
	v_lshrrev_b32_e32 v119, 8, v121
	v_bfe_i32 v121, v121, 0, 8
	v_lshrrev_b32_e32 v120, 8, v120
	s_delay_alu instid0(VALU_DEP_3) | instskip(NEXT) | instid1(VALU_DEP_3)
	v_bfe_i32 v119, v119, 0, 8
	v_cvt_f16_i16_e32 v121, v121
	s_delay_alu instid0(VALU_DEP_3) | instskip(NEXT) | instid1(VALU_DEP_3)
	v_bfe_i32 v120, v120, 0, 8
	v_cvt_f16_i16_e32 v119, v119
	s_delay_alu instid0(VALU_DEP_2) | instskip(NEXT) | instid1(VALU_DEP_2)
	v_cvt_f16_i16_e32 v120, v120
	v_pack_b32_f16 v119, v121, v119
	v_ashrrev_i16 v121, 8, v124
	s_delay_alu instid0(VALU_DEP_2) | instskip(NEXT) | instid1(VALU_DEP_2)
	v_pk_mul_f16 v119, v119, v118
	v_cvt_f16_i16_e32 v121, v121
	s_delay_alu instid0(VALU_DEP_2) | instskip(NEXT) | instid1(VALU_DEP_2)
	v_pk_fma_f16 v117, v119, v123, v117
	v_pack_b32_f16 v120, v121, v120
	s_delay_alu instid0(VALU_DEP_1) | instskip(SKIP_2) | instid1(VALU_DEP_3)
	v_pk_mul_f16 v118, v120, v118
	v_add_nc_u64_e32 v[120:121], s[4:5], v[38:39]
	v_add_nc_u64_e32 v[38:39], s[22:23], v[38:39]
	v_pk_fma_f16 v122, v118, v123, v122
	v_add_nc_u64_e32 v[118:119], s[4:5], v[40:41]
	v_mul_u32_u24_e32 v123, 0x10001, v134
	global_load_b32 v120, v[120:121], off
	v_add_nc_u64_e32 v[40:41], s[22:23], v[40:41]
	s_clause 0x1
	global_load_b32 v121, v[118:119], off offset:2
	global_load_u16 v118, v[118:119], off
	s_wait_loadcnt 0x2
	v_ashrrev_i32_e32 v120, v111, v120
	s_wait_loadcnt 0x1
	v_dual_lshrrev_b32 v124, v107, v121 :: v_dual_lshrrev_b32 v125, v112, v121
	s_delay_alu instid0(VALU_DEP_2) | instskip(SKIP_2) | instid1(VALU_DEP_3)
	v_and_b32_e32 v120, 0xf0f0f0f, v120
	s_wait_loadcnt 0x0
	v_mul_u32_u24_e32 v118, 0x10001, v118
	v_dual_lshlrev_b32 v124, 4, v124 :: v_dual_lshlrev_b32 v125, 12, v125
	s_delay_alu instid0(VALU_DEP_1) | instskip(NEXT) | instid1(VALU_DEP_2)
	v_and_b32_e32 v124, 16, v124
	v_and_b32_e32 v125, 0x1000, v125
	s_delay_alu instid0(VALU_DEP_1) | instskip(SKIP_1) | instid1(VALU_DEP_1)
	v_or3_b32 v124, v124, v120, v125
	v_dual_lshrrev_b32 v125, v113, v121 :: v_dual_lshrrev_b32 v121, v114, v121
	v_lshlrev_b32_e32 v125, 20, v125
	s_delay_alu instid0(VALU_DEP_2) | instskip(NEXT) | instid1(VALU_DEP_2)
	v_lshlrev_b32_e32 v121, 28, v121
	v_and_b32_e32 v125, 0x100000, v125
	s_delay_alu instid0(VALU_DEP_2) | instskip(NEXT) | instid1(VALU_DEP_1)
	v_and_b32_e32 v121, 0x10000000, v121
	v_or3_b32 v120, v120, v125, v121
	v_lshlrev_b16 v121, 8, v124
	s_delay_alu instid0(VALU_DEP_2) | instskip(NEXT) | instid1(VALU_DEP_2)
	v_lshrrev_b32_e32 v120, 16, v120
	v_add_nc_u16 v121, 0xf000, v121
	s_delay_alu instid0(VALU_DEP_1) | instskip(NEXT) | instid1(VALU_DEP_1)
	v_lshrrev_b16 v121, 8, v121
	v_bitop3_b16 v121, v124, v121, 0x1f00 bitop3:0xec
	s_delay_alu instid0(VALU_DEP_4) | instskip(SKIP_1) | instid1(VALU_DEP_3)
	v_lshlrev_b16 v124, 8, v120
	v_and_b32_e32 v120, 0x1f00, v120
	v_add_nc_u16 v121, 0xf000, v121
	s_delay_alu instid0(VALU_DEP_3) | instskip(NEXT) | instid1(VALU_DEP_3)
	v_add_nc_u16 v124, 0xf000, v124
	v_add_nc_u16 v120, 0xf000, v120
	s_delay_alu instid0(VALU_DEP_3) | instskip(SKIP_1) | instid1(VALU_DEP_3)
	v_lshrrev_b32_e32 v119, 8, v121
	v_bfe_i32 v121, v121, 0, 8
	v_lshrrev_b32_e32 v120, 8, v120
	s_delay_alu instid0(VALU_DEP_3) | instskip(NEXT) | instid1(VALU_DEP_3)
	v_bfe_i32 v119, v119, 0, 8
	v_cvt_f16_i16_e32 v121, v121
	s_delay_alu instid0(VALU_DEP_3) | instskip(NEXT) | instid1(VALU_DEP_3)
	v_bfe_i32 v120, v120, 0, 8
	v_cvt_f16_i16_e32 v119, v119
	s_delay_alu instid0(VALU_DEP_2) | instskip(NEXT) | instid1(VALU_DEP_2)
	v_cvt_f16_i16_e32 v120, v120
	v_pack_b32_f16 v119, v121, v119
	v_ashrrev_i16 v121, 8, v124
	s_delay_alu instid0(VALU_DEP_2) | instskip(NEXT) | instid1(VALU_DEP_2)
	v_pk_mul_f16 v119, v119, v118
	v_cvt_f16_i16_e32 v121, v121
	s_delay_alu instid0(VALU_DEP_1) | instskip(NEXT) | instid1(VALU_DEP_1)
	v_pack_b32_f16 v120, v121, v120
	v_pk_mul_f16 v118, v120, v118
	s_delay_alu instid0(VALU_DEP_4) | instskip(NEXT) | instid1(VALU_DEP_2)
	v_pk_fma_f16 v120, v119, v123, v117
	v_pk_fma_f16 v121, v118, v123, v122
	v_mul_u32_u24_e32 v122, 0x10001, v116
	v_add_nc_u64_e32 v[116:117], s[4:5], v[36:37]
	v_add_nc_u64_e32 v[118:119], s[4:5], v[34:35]
	;; [unrolled: 1-line block ×4, first 2 shown]
	global_load_b32 v118, v[118:119], off
	s_clause 0x1
	global_load_b32 v119, v[116:117], off offset:2
	global_load_u16 v116, v[116:117], off
	s_wait_loadcnt 0x2
	v_ashrrev_i32_e32 v118, v111, v118
	s_wait_loadcnt 0x1
	v_dual_lshrrev_b32 v123, v107, v119 :: v_dual_lshrrev_b32 v124, v112, v119
	s_wait_loadcnt 0x0
	v_mul_u32_u24_e32 v116, 0x10001, v116
	v_and_b32_e32 v118, 0xf0f0f0f, v118
	s_delay_alu instid0(VALU_DEP_3) | instskip(NEXT) | instid1(VALU_DEP_1)
	v_dual_lshlrev_b32 v123, 4, v123 :: v_dual_lshlrev_b32 v124, 12, v124
	v_and_b32_e32 v123, 16, v123
	s_delay_alu instid0(VALU_DEP_2) | instskip(NEXT) | instid1(VALU_DEP_1)
	v_and_b32_e32 v124, 0x1000, v124
	v_or3_b32 v123, v123, v118, v124
	v_dual_lshrrev_b32 v124, v113, v119 :: v_dual_lshrrev_b32 v119, v114, v119
	s_delay_alu instid0(VALU_DEP_1) | instskip(NEXT) | instid1(VALU_DEP_1)
	v_dual_lshlrev_b32 v124, 20, v124 :: v_dual_lshlrev_b32 v119, 28, v119
	v_and_b32_e32 v124, 0x100000, v124
	s_delay_alu instid0(VALU_DEP_2) | instskip(NEXT) | instid1(VALU_DEP_1)
	v_and_b32_e32 v119, 0x10000000, v119
	v_or3_b32 v118, v118, v124, v119
	v_lshlrev_b16 v119, 8, v123
	s_delay_alu instid0(VALU_DEP_1) | instskip(NEXT) | instid1(VALU_DEP_1)
	v_add_nc_u16 v119, 0xf000, v119
	v_lshrrev_b16 v119, 8, v119
	s_delay_alu instid0(VALU_DEP_1) | instskip(NEXT) | instid1(VALU_DEP_1)
	v_bitop3_b16 v119, v123, v119, 0x1f00 bitop3:0xec
	v_add_nc_u16 v119, 0xf000, v119
	s_delay_alu instid0(VALU_DEP_1) | instskip(NEXT) | instid1(VALU_DEP_1)
	v_dual_lshrrev_b32 v118, 16, v118 :: v_dual_lshrrev_b32 v117, 8, v119
	v_lshlrev_b16 v123, 8, v118
	v_and_b32_e32 v118, 0x1f00, v118
	v_bfe_i32 v119, v119, 0, 8
	s_delay_alu instid0(VALU_DEP_4) | instskip(NEXT) | instid1(VALU_DEP_4)
	v_bfe_i32 v117, v117, 0, 8
	v_add_nc_u16 v123, 0xf000, v123
	s_delay_alu instid0(VALU_DEP_4) | instskip(NEXT) | instid1(VALU_DEP_4)
	v_add_nc_u16 v118, 0xf000, v118
	v_cvt_f16_i16_e32 v119, v119
	s_delay_alu instid0(VALU_DEP_4) | instskip(NEXT) | instid1(VALU_DEP_3)
	v_cvt_f16_i16_e32 v117, v117
	v_lshrrev_b32_e32 v118, 8, v118
	s_delay_alu instid0(VALU_DEP_2) | instskip(SKIP_1) | instid1(VALU_DEP_3)
	v_pack_b32_f16 v117, v119, v117
	v_ashrrev_i16 v119, 8, v123
	v_bfe_i32 v118, v118, 0, 8
	s_delay_alu instid0(VALU_DEP_3) | instskip(NEXT) | instid1(VALU_DEP_3)
	v_pk_mul_f16 v117, v117, v116
	v_cvt_f16_i16_e32 v119, v119
	s_delay_alu instid0(VALU_DEP_3) | instskip(NEXT) | instid1(VALU_DEP_3)
	v_cvt_f16_i16_e32 v118, v118
	v_pk_fma_f16 v120, v117, v122, v120
	s_delay_alu instid0(VALU_DEP_2) | instskip(NEXT) | instid1(VALU_DEP_1)
	v_pack_b32_f16 v118, v119, v118
	v_pk_mul_f16 v116, v118, v116
	v_add_nc_u64_e32 v[118:119], s[4:5], v[30:31]
	v_add_nc_u64_e32 v[30:31], s[22:23], v[30:31]
	s_delay_alu instid0(VALU_DEP_3)
	v_pk_fma_f16 v121, v116, v122, v121
	v_add_nc_u64_e32 v[116:117], s[4:5], v[32:33]
	v_add_nc_u64_e32 v[32:33], s[22:23], v[32:33]
	global_load_b32 v118, v[118:119], off
	s_clause 0x1
	global_load_b32 v119, v[116:117], off offset:2
	global_load_u16 v116, v[116:117], off
	s_wait_loadcnt 0x1
	v_dual_ashrrev_i32 v118, v111, v118 :: v_dual_lshrrev_b32 v123, v112, v119
	v_lshrrev_b32_e32 v122, v107, v119
	s_delay_alu instid0(VALU_DEP_2) | instskip(SKIP_2) | instid1(VALU_DEP_3)
	v_and_b32_e32 v118, 0xf0f0f0f, v118
	s_wait_loadcnt 0x0
	v_mul_u32_u24_e32 v116, 0x10001, v116
	v_dual_lshlrev_b32 v123, 12, v123 :: v_dual_lshlrev_b32 v122, 4, v122
	s_delay_alu instid0(VALU_DEP_1) | instskip(NEXT) | instid1(VALU_DEP_2)
	v_and_b32_e32 v123, 0x1000, v123
	v_and_b32_e32 v122, 16, v122
	s_delay_alu instid0(VALU_DEP_1) | instskip(SKIP_1) | instid1(VALU_DEP_1)
	v_or3_b32 v122, v122, v118, v123
	v_dual_lshrrev_b32 v123, v113, v119 :: v_dual_lshrrev_b32 v119, v114, v119
	v_lshlrev_b32_e32 v123, 20, v123
	s_delay_alu instid0(VALU_DEP_2) | instskip(NEXT) | instid1(VALU_DEP_2)
	v_lshlrev_b32_e32 v119, 28, v119
	v_and_b32_e32 v123, 0x100000, v123
	s_delay_alu instid0(VALU_DEP_2) | instskip(NEXT) | instid1(VALU_DEP_1)
	v_and_b32_e32 v119, 0x10000000, v119
	v_or3_b32 v118, v118, v123, v119
	v_lshlrev_b16 v119, 8, v122
	s_delay_alu instid0(VALU_DEP_2) | instskip(NEXT) | instid1(VALU_DEP_2)
	v_lshrrev_b32_e32 v118, 16, v118
	v_add_nc_u16 v119, 0xf000, v119
	s_delay_alu instid0(VALU_DEP_1) | instskip(NEXT) | instid1(VALU_DEP_1)
	v_lshrrev_b16 v119, 8, v119
	v_bitop3_b16 v119, v122, v119, 0x1f00 bitop3:0xec
	s_delay_alu instid0(VALU_DEP_4) | instskip(SKIP_1) | instid1(VALU_DEP_3)
	v_lshlrev_b16 v122, 8, v118
	v_and_b32_e32 v118, 0x1f00, v118
	v_add_nc_u16 v119, 0xf000, v119
	s_delay_alu instid0(VALU_DEP_3) | instskip(NEXT) | instid1(VALU_DEP_3)
	v_add_nc_u16 v122, 0xf000, v122
	v_add_nc_u16 v118, 0xf000, v118
	s_delay_alu instid0(VALU_DEP_3) | instskip(SKIP_1) | instid1(VALU_DEP_3)
	v_lshrrev_b32_e32 v117, 8, v119
	v_bfe_i32 v119, v119, 0, 8
	v_lshrrev_b32_e32 v118, 8, v118
	s_delay_alu instid0(VALU_DEP_3) | instskip(NEXT) | instid1(VALU_DEP_3)
	v_bfe_i32 v117, v117, 0, 8
	v_cvt_f16_i16_e32 v119, v119
	s_delay_alu instid0(VALU_DEP_3) | instskip(NEXT) | instid1(VALU_DEP_3)
	v_bfe_i32 v118, v118, 0, 8
	v_cvt_f16_i16_e32 v117, v117
	s_delay_alu instid0(VALU_DEP_2) | instskip(NEXT) | instid1(VALU_DEP_2)
	v_cvt_f16_i16_e32 v118, v118
	v_pack_b32_f16 v117, v119, v117
	v_ashrrev_i16 v119, 8, v122
	s_delay_alu instid0(VALU_DEP_2) | instskip(NEXT) | instid1(VALU_DEP_2)
	v_pk_mul_f16 v117, v117, v116
	v_cvt_f16_i16_e32 v119, v119
	s_delay_alu instid0(VALU_DEP_1) | instskip(NEXT) | instid1(VALU_DEP_1)
	v_pack_b32_f16 v118, v119, v118
	v_pk_mul_f16 v118, v118, v116
	s_delay_alu instid0(VALU_DEP_4) | instskip(NEXT) | instid1(VALU_DEP_2)
	v_pk_fma_f16 v116, v117, v5, v120
	v_pk_fma_f16 v5, v118, v5, v121
	s_cbranch_scc1 .LBB0_26
; %bb.24:                               ;   in Loop: Header=BB0_19 Depth=1
	v_mov_b32_e32 v117, v115
	s_branch .LBB0_19
.LBB0_25:
	v_dual_mov_b32 v116, 0 :: v_dual_mov_b32 v115, 0xfeffffff
	v_mov_b32_e32 v5, 0
.LBB0_26:
	v_or_b32_e32 v0, s33, v92
	s_cmp_lg_u64 s[12:13], 0
	s_cselect_b32 s3, -1, 0
	s_delay_alu instid0(VALU_DEP_1) | instskip(SKIP_1) | instid1(SALU_CYCLE_1)
	v_cmp_eq_u32_e32 vcc_lo, 0, v0
	s_and_b32 s4, vcc_lo, s3
	s_and_saveexec_b32 s3, s4
	s_cbranch_execz .LBB0_28
; %bb.27:
	s_lshl_b64 s[4:5], s[28:29], 2
	v_max_num_f32_e32 v0, v115, v115
	s_add_nc_u64 s[4:5], s[12:13], s[4:5]
	s_load_b32 s4, s[4:5], 0x0
	s_wait_kmcnt 0x0
	v_max_num_f32_e64 v1, s4, s4
	s_delay_alu instid0(VALU_DEP_1) | instskip(NEXT) | instid1(VALU_DEP_1)
	v_max_num_f32_e32 v0, v0, v1
	v_sub_f32_e32 v1, v115, v0
	s_delay_alu instid0(VALU_DEP_1) | instskip(NEXT) | instid1(VALU_DEP_1)
	v_mul_f32_e32 v3, 0x3fb8aa3b, v1
	v_fma_f32 v6, 0x3fb8aa3b, v1, -v3
	v_rndne_f32_e32 v7, v3
	s_delay_alu instid0(VALU_DEP_1) | instskip(NEXT) | instid1(VALU_DEP_3)
	v_dual_sub_f32 v3, v3, v7 :: v_dual_sub_f32 v2, s4, v0
	v_fmac_f32_e32 v6, 0x32a5705f, v1
	v_cmp_ngt_f32_e32 vcc_lo, 0xc2ce8ed0, v1
	s_delay_alu instid0(VALU_DEP_2) | instskip(SKIP_1) | instid1(VALU_DEP_2)
	v_dual_mov_b32 v115, v0 :: v_dual_add_f32 v3, v3, v6
	v_cvt_i32_f32_e32 v6, v7
	v_exp_f32_e32 v3, v3
	v_nop
	s_delay_alu instid0(TRANS32_DEP_1) | instskip(NEXT) | instid1(VALU_DEP_1)
	v_ldexp_f32 v3, v3, v6
	v_dual_mul_f32 v4, 0x3fb8aa3b, v2 :: v_dual_cndmask_b32 v3, 0, v3
	s_delay_alu instid0(VALU_DEP_1) | instskip(SKIP_2) | instid1(VALU_DEP_3)
	v_fma_f32 v8, 0x3fb8aa3b, v2, -v4
	v_rndne_f32_e32 v9, v4
	v_cmp_ngt_f32_e32 vcc_lo, 0xc2ce8ed0, v2
	v_fmac_f32_e32 v8, 0x32a5705f, v2
	s_delay_alu instid0(VALU_DEP_3) | instskip(SKIP_1) | instid1(VALU_DEP_2)
	v_sub_f32_e32 v4, v4, v9
	v_cvt_i32_f32_e32 v7, v9
	v_add_f32_e32 v4, v4, v8
	s_delay_alu instid0(VALU_DEP_1) | instskip(SKIP_1) | instid1(TRANS32_DEP_1)
	v_exp_f32_e32 v4, v4
	v_nop
	v_ldexp_f32 v4, v4, v7
	s_delay_alu instid0(VALU_DEP_1) | instskip(SKIP_3) | instid1(VALU_DEP_2)
	v_cndmask_b32_e32 v4, 0, v4, vcc_lo
	v_cmp_nlt_f32_e32 vcc_lo, 0x42b17218, v1
	v_cndmask_b32_e32 v1, 0x7f800000, v3, vcc_lo
	v_cmp_nlt_f32_e32 vcc_lo, 0x42b17218, v2
	v_cvt_f16_f32_e32 v3, v1
	v_cndmask_b32_e32 v2, 0x7f800000, v4, vcc_lo
	v_cmp_eq_u32_e32 vcc_lo, 0, v93
	s_delay_alu instid0(VALU_DEP_3) | instskip(NEXT) | instid1(VALU_DEP_3)
	v_and_b32_e32 v3, 0xffff, v3
	v_cndmask_b32_e32 v2, 0, v2, vcc_lo
	s_delay_alu instid0(VALU_DEP_1) | instskip(NEXT) | instid1(VALU_DEP_3)
	v_fmac_f32_e32 v2, v99, v1
	v_mul_u32_u24_e32 v1, 0x10001, v3
	s_delay_alu instid0(VALU_DEP_2) | instskip(NEXT) | instid1(VALU_DEP_2)
	v_mov_b32_e32 v99, v2
	v_pk_mul_f16 v116, v116, v1
	v_pk_mul_f16 v5, v5, v1
.LBB0_28:
	s_or_b32 exec_lo, exec_lo, s3
	s_and_saveexec_b32 s3, s2
; %bb.29:
	v_dual_mov_b32 v0, 0xfeffffff :: v_dual_mov_b32 v1, 0
	v_add_nc_u32_e32 v2, 0x400, v97
	ds_store_2addr_b32 v2, v0, v1 offset1:32
; %bb.30:
	s_or_b32 exec_lo, exec_lo, s3
	v_cmp_eq_u32_e32 vcc_lo, 0, v93
	v_lshlrev_b32_e32 v8, 2, v92
	s_wait_dscnt 0x0
	s_barrier_signal -1
	s_barrier_wait -1
	s_and_saveexec_b32 s2, vcc_lo
; %bb.31:
	ds_store_b32 v8, v115 offset:1024
; %bb.32:
	s_or_b32 exec_lo, exec_lo, s2
	s_wait_dscnt 0x0
	s_barrier_signal -1
	s_barrier_wait -1
	ds_load_b32 v0, v97 offset:1024
	v_xor_b32_e32 v1, 16, v98
	v_xor_b32_e32 v2, 8, v98
	v_xor_b32_e32 v7, 1, v98
	s_delay_alu instid0(VALU_DEP_3) | instskip(NEXT) | instid1(VALU_DEP_1)
	v_cmp_gt_i32_e64 s2, 32, v1
	v_cndmask_b32_e64 v1, v98, v1, s2
	s_delay_alu instid0(VALU_DEP_4) | instskip(NEXT) | instid1(VALU_DEP_1)
	v_cmp_gt_i32_e64 s2, 32, v2
	v_dual_lshlrev_b32 v6, 2, v1 :: v_dual_cndmask_b32 v2, v98, v2, s2
	s_wait_dscnt 0x0
	ds_bpermute_b32 v1, v6, v0
	s_wait_dscnt 0x0
	v_dual_max_num_f32 v0, v0, v0 :: v_dual_max_num_f32 v3, v1, v1
	s_delay_alu instid0(VALU_DEP_1)
	v_dual_max_num_f32 v0, v0, v3 :: v_dual_lshlrev_b32 v1, 2, v2
	v_xor_b32_e32 v3, 4, v98
	ds_bpermute_b32 v2, v1, v0
	v_cmp_gt_i32_e64 s2, 32, v3
	s_wait_dscnt 0x0
	v_max_num_f32_e32 v4, v2, v2
	s_delay_alu instid0(VALU_DEP_1) | instskip(NEXT) | instid1(VALU_DEP_1)
	v_dual_cndmask_b32 v3, v98, v3, s2 :: v_dual_max_num_f32 v0, v0, v4
	v_lshlrev_b32_e32 v2, 2, v3
	ds_bpermute_b32 v3, v2, v0
	s_wait_dscnt 0x0
	v_dual_max_num_f32 v3, v3, v3 :: v_dual_bitop2_b32 v4, 2, v98 bitop3:0x14
	s_delay_alu instid0(VALU_DEP_1) | instskip(NEXT) | instid1(VALU_DEP_1)
	v_cmp_gt_i32_e64 s2, 32, v4
	v_dual_max_num_f32 v0, v0, v3 :: v_dual_cndmask_b32 v4, v98, v4, s2
	v_cmp_gt_i32_e64 s2, 32, v7
	s_delay_alu instid0(VALU_DEP_1) | instskip(SKIP_4) | instid1(VALU_DEP_1)
	v_dual_lshlrev_b32 v4, 2, v4 :: v_dual_cndmask_b32 v7, v98, v7, s2
	ds_bpermute_b32 v3, v4, v0
	v_lshlrev_b32_e32 v7, 2, v7
	s_wait_dscnt 0x0
	v_max_num_f32_e32 v3, v3, v3
	v_max_num_f32_e32 v0, v0, v3
	ds_bpermute_b32 v3, v7, v0
	s_wait_dscnt 0x0
	v_max_num_f32_e32 v3, v3, v3
	s_delay_alu instid0(VALU_DEP_1) | instskip(NEXT) | instid1(VALU_DEP_1)
	v_max_num_f32_e32 v0, v0, v3
	v_sub_f32_e32 v3, v115, v0
	s_delay_alu instid0(VALU_DEP_1) | instskip(SKIP_1) | instid1(VALU_DEP_2)
	v_mul_f32_e32 v9, 0x3fb8aa3b, v3
	v_cmp_ngt_f32_e64 s2, 0xc2ce8ed0, v3
	v_fma_f32 v10, 0x3fb8aa3b, v3, -v9
	v_rndne_f32_e32 v11, v9
	s_delay_alu instid0(VALU_DEP_1) | instskip(NEXT) | instid1(VALU_DEP_1)
	v_dual_fmamk_f32 v10, v3, 0x32a5705f, v10 :: v_dual_sub_f32 v9, v9, v11
	v_add_f32_e32 v9, v9, v10
	v_cvt_i32_f32_e32 v10, v11
	s_delay_alu instid0(VALU_DEP_2) | instskip(SKIP_1) | instid1(TRANS32_DEP_1)
	v_exp_f32_e32 v9, v9
	v_nop
	v_ldexp_f32 v9, v9, v10
	s_delay_alu instid0(VALU_DEP_1) | instskip(SKIP_1) | instid1(VALU_DEP_1)
	v_cndmask_b32_e64 v9, 0, v9, s2
	v_cmp_nlt_f32_e64 s2, 0x42b17218, v3
	v_cndmask_b32_e64 v3, 0x7f800000, v9, s2
	s_delay_alu instid0(VALU_DEP_1)
	v_mul_f32_e32 v9, v99, v3
	ds_bpermute_b32 v9, v6, v9
	s_wait_dscnt 0x0
	v_fmac_f32_e32 v9, v99, v3
	v_cvt_f16_f32_e32 v3, v3
	ds_bpermute_b32 v10, v1, v9
	v_and_b32_e32 v3, 0xffff, v3
	s_delay_alu instid0(VALU_DEP_1)
	v_mul_u32_u24_e32 v3, 0x10001, v3
	s_wait_dscnt 0x0
	v_add_f32_e32 v9, v9, v10
	ds_bpermute_b32 v10, v2, v9
	s_wait_dscnt 0x0
	v_add_f32_e32 v9, v9, v10
	ds_bpermute_b32 v10, v4, v9
	s_wait_dscnt 0x0
	v_dual_add_f32 v9, v9, v10 :: v_dual_lshlrev_b32 v10, 3, v93
	ds_bpermute_b32 v12, v7, v9
	v_and_b32_e32 v11, 0x380, v10
	s_delay_alu instid0(VALU_DEP_1) | instskip(NEXT) | instid1(VALU_DEP_1)
	v_lshl_add_u32 v11, v92, 8, v11
	v_and_or_b32 v13, 0x78, v10, v11
	v_pk_mul_f16 v10, v116, v3
	v_pk_mul_f16 v11, v5, v3
	ds_store_b64 v13, v[10:11]
	s_wait_dscnt 0x1
	v_add_f32_e32 v3, v9, v12
	s_and_saveexec_b32 s2, vcc_lo
; %bb.33:
	ds_store_b32 v8, v3 offset:1152
; %bb.34:
	s_or_b32 exec_lo, exec_lo, s2
	s_wait_dscnt 0x0
	s_barrier_signal -1
	s_barrier_wait -1
	s_load_b32 s1, s[0:1], 0xd4
	s_wait_xcnt 0x0
	s_mul_i32 s0, s26, s24
	s_mov_b32 s2, exec_lo
	s_add_co_i32 s0, s0, s31
	s_delay_alu instid0(SALU_CYCLE_1) | instskip(NEXT) | instid1(SALU_CYCLE_1)
	s_mul_i32 s0, s0, s25
	s_add_co_i32 s0, s0, s28
	s_wait_kmcnt 0x0
	s_mul_i32 s0, s1, s0
	v_cmpx_gt_u32_e32 64, v95
	s_cbranch_execz .LBB0_36
; %bb.35:
	ds_load_b32 v9, v97 offset:1152
	ds_load_u16 v3, v96
	ds_load_u16 v5, v96 offset:128
	ds_load_u16 v8, v96 offset:256
	;; [unrolled: 1-line block ×7, first 2 shown]
	s_add_co_i32 s3, s0, s33
	s_cmp_eq_u32 s1, 1
	s_wait_dscnt 0x8
	ds_bpermute_b32 v11, v6, v9
	s_wait_dscnt 0x8
	v_cvt_f32_f16_e32 v3, v3
	s_wait_dscnt 0x7
	v_cvt_f32_f16_e32 v5, v5
	;; [unrolled: 2-line block ×4, first 2 shown]
	v_add_f32_e32 v3, 0, v3
	s_delay_alu instid0(VALU_DEP_1) | instskip(NEXT) | instid1(VALU_DEP_1)
	v_add_f32_e32 v3, v3, v5
	v_add_f32_e32 v8, v3, v6
	s_wait_dscnt 0x0
	s_delay_alu instid0(VALU_DEP_1)
	v_pk_add_f32 v[8:9], v[8:9], v[10:11]
	v_cvt_f32_f16_e32 v10, v12
	ds_bpermute_b32 v11, v1, v9
	s_wait_dscnt 0x0
	v_pk_add_f32 v[8:9], v[8:9], v[10:11]
	ds_bpermute_b32 v3, v2, v9
	v_cvt_f32_f16_e32 v2, v13
	s_wait_dscnt 0x0
	s_delay_alu instid0(VALU_DEP_1) | instskip(SKIP_3) | instid1(VALU_DEP_1)
	v_pk_add_f32 v[2:3], v[8:9], v[2:3]
	ds_bpermute_b32 v5, v4, v3
	v_cvt_f32_f16_e32 v4, v14
	s_wait_dscnt 0x0
	v_pk_add_f32 v[2:3], v[2:3], v[4:5]
	v_cvt_f32_f16_e32 v4, v15
	ds_bpermute_b32 v5, v7, v3
	s_wait_dscnt 0x0
	v_pk_add_f32 v[2:3], v[2:3], v[4:5]
	s_delay_alu instid0(VALU_DEP_1) | instskip(NEXT) | instid1(VALU_DEP_1)
	v_div_scale_f32 v1, null, v3, v3, v2
	v_rcp_f32_e32 v4, v1
	v_nop
	s_delay_alu instid0(TRANS32_DEP_1) | instskip(NEXT) | instid1(VALU_DEP_1)
	v_fma_f32 v5, -v1, v4, 1.0
	v_fmac_f32_e32 v4, v5, v4
	v_div_scale_f32 v5, vcc_lo, v2, v3, v2
	s_delay_alu instid0(VALU_DEP_1) | instskip(NEXT) | instid1(VALU_DEP_1)
	v_mul_f32_e32 v6, v5, v4
	v_fma_f32 v7, -v1, v6, v5
	s_delay_alu instid0(VALU_DEP_1) | instskip(NEXT) | instid1(VALU_DEP_1)
	v_fmac_f32_e32 v6, v7, v4
	v_fma_f32 v1, -v1, v6, v5
	s_delay_alu instid0(VALU_DEP_1) | instskip(SKIP_2) | instid1(VALU_DEP_2)
	v_div_fmas_f32 v1, v1, v4, v6
	s_cselect_b32 vcc_lo, -1, 0
	v_lshl_or_b32 v4, s3, 6, v95
	v_div_fixup_f32 v1, v1, v3, v2
	s_delay_alu instid0(VALU_DEP_1)
	v_cndmask_b32_e32 v1, v2, v1, vcc_lo
	global_store_b32 v4, v1, s[16:17] scale_offset
.LBB0_36:
	s_wait_xcnt 0x0
	s_or_b32 exec_lo, exec_lo, s2
	v_cmp_eq_u32_e32 vcc_lo, 0, v95
	s_cmp_lg_u32 s1, 1
	s_cselect_b32 s1, -1, 0
	s_delay_alu instid0(SALU_CYCLE_1) | instskip(NEXT) | instid1(SALU_CYCLE_1)
	s_and_b32 s1, vcc_lo, s1
	s_and_saveexec_b32 s2, s1
	s_cbranch_execz .LBB0_38
; %bb.37:
	s_add_co_i32 s0, s0, s33
	s_delay_alu instid0(SALU_CYCLE_1)
	v_dual_mov_b32 v1, v3 :: v_dual_mov_b32 v2, s0
	global_store_b64 v2, v[0:1], s[18:19] scale_offset
.LBB0_38:
	s_sendmsg sendmsg(MSG_DEALLOC_VGPRS)
	s_endpgm
	.section	.rodata,"a",@progbits
	.p2align	6, 0x0
	.amdhsa_kernel _ZL18flash_attn_ext_vecILi64ELi1EL9ggml_type6ELS0_6ELb0EEvPKcS2_S2_S2_S2_PKiPfP15HIP_vector_typeIfLj2EEffffjfiS6_IjLj3EEiiiiiiiiiiiliiliiiiil
		.amdhsa_group_segment_fixed_size 1280
		.amdhsa_private_segment_fixed_size 0
		.amdhsa_kernarg_size 464
		.amdhsa_user_sgpr_count 2
		.amdhsa_user_sgpr_dispatch_ptr 0
		.amdhsa_user_sgpr_queue_ptr 0
		.amdhsa_user_sgpr_kernarg_segment_ptr 1
		.amdhsa_user_sgpr_dispatch_id 0
		.amdhsa_user_sgpr_kernarg_preload_length 0
		.amdhsa_user_sgpr_kernarg_preload_offset 0
		.amdhsa_user_sgpr_private_segment_size 0
		.amdhsa_wavefront_size32 1
		.amdhsa_uses_dynamic_stack 0
		.amdhsa_enable_private_segment 0
		.amdhsa_system_sgpr_workgroup_id_x 1
		.amdhsa_system_sgpr_workgroup_id_y 1
		.amdhsa_system_sgpr_workgroup_id_z 1
		.amdhsa_system_sgpr_workgroup_info 0
		.amdhsa_system_vgpr_workitem_id 1
		.amdhsa_next_free_vgpr 138
		.amdhsa_next_free_sgpr 52
		.amdhsa_named_barrier_count 0
		.amdhsa_reserve_vcc 1
		.amdhsa_float_round_mode_32 0
		.amdhsa_float_round_mode_16_64 0
		.amdhsa_float_denorm_mode_32 3
		.amdhsa_float_denorm_mode_16_64 3
		.amdhsa_fp16_overflow 0
		.amdhsa_memory_ordered 1
		.amdhsa_forward_progress 1
		.amdhsa_inst_pref_size 130
		.amdhsa_round_robin_scheduling 0
		.amdhsa_exception_fp_ieee_invalid_op 0
		.amdhsa_exception_fp_denorm_src 0
		.amdhsa_exception_fp_ieee_div_zero 0
		.amdhsa_exception_fp_ieee_overflow 0
		.amdhsa_exception_fp_ieee_underflow 0
		.amdhsa_exception_fp_ieee_inexact 0
		.amdhsa_exception_int_div_zero 0
	.end_amdhsa_kernel
	.section	.text._ZL18flash_attn_ext_vecILi64ELi1EL9ggml_type6ELS0_6ELb0EEvPKcS2_S2_S2_S2_PKiPfP15HIP_vector_typeIfLj2EEffffjfiS6_IjLj3EEiiiiiiiiiiiliiliiiiil,"axG",@progbits,_ZL18flash_attn_ext_vecILi64ELi1EL9ggml_type6ELS0_6ELb0EEvPKcS2_S2_S2_S2_PKiPfP15HIP_vector_typeIfLj2EEffffjfiS6_IjLj3EEiiiiiiiiiiiliiliiiiil,comdat
.Lfunc_end0:
	.size	_ZL18flash_attn_ext_vecILi64ELi1EL9ggml_type6ELS0_6ELb0EEvPKcS2_S2_S2_S2_PKiPfP15HIP_vector_typeIfLj2EEffffjfiS6_IjLj3EEiiiiiiiiiiiliiliiiiil, .Lfunc_end0-_ZL18flash_attn_ext_vecILi64ELi1EL9ggml_type6ELS0_6ELb0EEvPKcS2_S2_S2_S2_PKiPfP15HIP_vector_typeIfLj2EEffffjfiS6_IjLj3EEiiiiiiiiiiiliiliiiiil
                                        ; -- End function
	.set _ZL18flash_attn_ext_vecILi64ELi1EL9ggml_type6ELS0_6ELb0EEvPKcS2_S2_S2_S2_PKiPfP15HIP_vector_typeIfLj2EEffffjfiS6_IjLj3EEiiiiiiiiiiiliiliiiiil.num_vgpr, 138
	.set _ZL18flash_attn_ext_vecILi64ELi1EL9ggml_type6ELS0_6ELb0EEvPKcS2_S2_S2_S2_PKiPfP15HIP_vector_typeIfLj2EEffffjfiS6_IjLj3EEiiiiiiiiiiiliiliiiiil.num_agpr, 0
	.set _ZL18flash_attn_ext_vecILi64ELi1EL9ggml_type6ELS0_6ELb0EEvPKcS2_S2_S2_S2_PKiPfP15HIP_vector_typeIfLj2EEffffjfiS6_IjLj3EEiiiiiiiiiiiliiliiiiil.numbered_sgpr, 52
	.set _ZL18flash_attn_ext_vecILi64ELi1EL9ggml_type6ELS0_6ELb0EEvPKcS2_S2_S2_S2_PKiPfP15HIP_vector_typeIfLj2EEffffjfiS6_IjLj3EEiiiiiiiiiiiliiliiiiil.num_named_barrier, 0
	.set _ZL18flash_attn_ext_vecILi64ELi1EL9ggml_type6ELS0_6ELb0EEvPKcS2_S2_S2_S2_PKiPfP15HIP_vector_typeIfLj2EEffffjfiS6_IjLj3EEiiiiiiiiiiiliiliiiiil.private_seg_size, 0
	.set _ZL18flash_attn_ext_vecILi64ELi1EL9ggml_type6ELS0_6ELb0EEvPKcS2_S2_S2_S2_PKiPfP15HIP_vector_typeIfLj2EEffffjfiS6_IjLj3EEiiiiiiiiiiiliiliiiiil.uses_vcc, 1
	.set _ZL18flash_attn_ext_vecILi64ELi1EL9ggml_type6ELS0_6ELb0EEvPKcS2_S2_S2_S2_PKiPfP15HIP_vector_typeIfLj2EEffffjfiS6_IjLj3EEiiiiiiiiiiiliiliiiiil.uses_flat_scratch, 0
	.set _ZL18flash_attn_ext_vecILi64ELi1EL9ggml_type6ELS0_6ELb0EEvPKcS2_S2_S2_S2_PKiPfP15HIP_vector_typeIfLj2EEffffjfiS6_IjLj3EEiiiiiiiiiiiliiliiiiil.has_dyn_sized_stack, 0
	.set _ZL18flash_attn_ext_vecILi64ELi1EL9ggml_type6ELS0_6ELb0EEvPKcS2_S2_S2_S2_PKiPfP15HIP_vector_typeIfLj2EEffffjfiS6_IjLj3EEiiiiiiiiiiiliiliiiiil.has_recursion, 0
	.set _ZL18flash_attn_ext_vecILi64ELi1EL9ggml_type6ELS0_6ELb0EEvPKcS2_S2_S2_S2_PKiPfP15HIP_vector_typeIfLj2EEffffjfiS6_IjLj3EEiiiiiiiiiiiliiliiiiil.has_indirect_call, 0
	.section	.AMDGPU.csdata,"",@progbits
; Kernel info:
; codeLenInByte = 16552
; TotalNumSgprs: 54
; NumVgprs: 138
; ScratchSize: 0
; MemoryBound: 0
; FloatMode: 240
; IeeeMode: 1
; LDSByteSize: 1280 bytes/workgroup (compile time only)
; SGPRBlocks: 0
; VGPRBlocks: 8
; NumSGPRsForWavesPerEU: 54
; NumVGPRsForWavesPerEU: 138
; NamedBarCnt: 0
; Occupancy: 7
; WaveLimiterHint : 0
; COMPUTE_PGM_RSRC2:SCRATCH_EN: 0
; COMPUTE_PGM_RSRC2:USER_SGPR: 2
; COMPUTE_PGM_RSRC2:TRAP_HANDLER: 0
; COMPUTE_PGM_RSRC2:TGID_X_EN: 1
; COMPUTE_PGM_RSRC2:TGID_Y_EN: 1
; COMPUTE_PGM_RSRC2:TGID_Z_EN: 1
; COMPUTE_PGM_RSRC2:TIDIG_COMP_CNT: 1
	.section	.text._ZL25flash_attn_mask_to_KV_maxILi1EEvPK7__half2Piiii,"axG",@progbits,_ZL25flash_attn_mask_to_KV_maxILi1EEvPK7__half2Piiii,comdat
	.globl	_ZL25flash_attn_mask_to_KV_maxILi1EEvPK7__half2Piiii ; -- Begin function _ZL25flash_attn_mask_to_KV_maxILi1EEvPK7__half2Piiii
	.p2align	8
	.type	_ZL25flash_attn_mask_to_KV_maxILi1EEvPK7__half2Piiii,@function
_ZL25flash_attn_mask_to_KV_maxILi1EEvPK7__half2Piiii: ; @_ZL25flash_attn_mask_to_KV_maxILi1EEvPK7__half2Piiii
; %bb.0:
	s_load_b128 s[4:7], s[0:1], 0x0
	s_mov_b32 s2, exec_lo
	v_cmpx_gt_u32_e32 32, v0
; %bb.1:
	v_dual_mov_b32 v2, 1 :: v_dual_lshlrev_b32 v1, 2, v0
	ds_store_b32 v1, v2
; %bb.2:
	s_or_b32 exec_lo, exec_lo, s2
	s_clause 0x1
	s_load_b96 s[8:10], s[0:1], 0x10
	s_load_b32 s11, s[0:1], 0x20
	s_wait_xcnt 0x0
	s_bfe_u32 s1, ttmp6, 0x4000c
	s_bfe_u32 s2, ttmp6, 0x40010
	s_add_co_i32 s1, s1, 1
	s_add_co_i32 s2, s2, 1
	s_and_b32 s0, ttmp6, 15
	s_bfe_u32 s3, ttmp6, 0x40004
	s_mul_i32 s1, ttmp9, s1
	s_mul_i32 s2, ttmp7, s2
	s_getreg_b32 s12, hwreg(HW_REG_IB_STS2, 6, 4)
	s_add_co_i32 s0, s0, s1
	s_add_co_i32 s3, s3, s2
	s_cmp_eq_u32 s12, 0
	v_dual_lshrrev_b32 v1, 3, v0 :: v_dual_bitop2_b32 v2, 31, v0 bitop3:0x40
	s_cselect_b32 s1, ttmp7, s3
	s_cselect_b32 s12, ttmp9, s0
	s_wait_dscnt 0x0
	s_barrier_signal -1
	s_wait_kmcnt 0x0
	s_mul_i32 s0, s10, s1
	s_mul_i32 s2, s9, s12
	s_barrier_wait -1
	s_add_co_i32 s2, s0, s2
	v_cmp_eq_u32_e64 s0, 0, v2
	s_ashr_i32 s3, s2, 31
	v_lshlrev_b32_e32 v2, 2, v2
	s_lshl_b64 s[2:3], s[2:3], 2
	s_delay_alu instid0(SALU_CYCLE_1)
	s_add_nc_u64 s[2:3], s[4:5], s[2:3]
	s_lshl_b32 s5, s8, 8
	s_branch .LBB1_4
.LBB1_3:                                ;   in Loop: Header=BB1_4 Depth=1
	s_or_b32 exec_lo, exec_lo, s9
	s_wait_dscnt 0x0
	s_barrier_signal -1
	s_barrier_wait -1
	ds_load_b32 v3, v2
	s_wait_dscnt 0x0
	s_barrier_signal -1
	s_barrier_wait -1
	v_cmp_ne_u32_e32 vcc_lo, 0, v3
	s_cmp_lg_u32 vcc_lo, exec_lo
	s_cselect_b32 s8, -1, 0
	s_delay_alu instid0(SALU_CYCLE_1)
	s_and_b32 vcc_lo, exec_lo, s8
	s_cbranch_vccnz .LBB1_8
.LBB1_4:                                ; =>This Inner Loop Header: Depth=1
	s_mov_b32 s4, s5
	s_addk_co_i32 s5, 0xff00
	s_delay_alu instid0(SALU_CYCLE_1)
	s_cmp_lt_i32 s5, 0
	s_cbranch_scc1 .LBB1_7
; %bb.5:                                ;   in Loop: Header=BB1_4 Depth=1
	s_lshr_b32 s9, s5, 1
	s_mov_b32 s8, exec_lo
	v_add_nc_u32_e32 v3, s9, v0
	global_load_b32 v3, v3, s[2:3] scale_offset
	s_wait_loadcnt 0x0
	v_lshrrev_b32_e32 v4, 16, v3
	v_cmp_class_f16_e64 s9, v3, 0x204
	s_delay_alu instid0(VALU_DEP_2) | instskip(SKIP_1) | instid1(SALU_CYCLE_1)
	v_cmp_class_f16_e64 s10, v4, 0x204
	s_and_b32 s9, s9, s10
	v_cndmask_b32_e64 v3, 0, 1, s9
	s_delay_alu instid0(VALU_DEP_1)
	v_cmp_ne_u32_e32 vcc_lo, 0, v3
	s_and_saveexec_b32 s9, s0
	s_cbranch_execz .LBB1_3
; %bb.6:                                ;   in Loop: Header=BB1_4 Depth=1
	s_cmp_eq_u32 vcc_lo, s8
	s_cselect_b32 s8, -1, 0
	s_delay_alu instid0(SALU_CYCLE_1)
	v_cndmask_b32_e64 v3, 0, 1, s8
	ds_store_b32 v1, v3
	s_branch .LBB1_3
.LBB1_7:                                ;   in Loop: Header=BB1_4 Depth=1
	s_cbranch_execz .LBB1_4
.LBB1_8:
	s_mov_b32 s0, exec_lo
	v_cmpx_eq_u32_e32 0, v0
	s_cbranch_execz .LBB1_10
; %bb.9:
	s_mul_i32 s0, s11, s1
	v_mov_b32_e32 v1, s4
	s_add_co_i32 s0, s0, s12
	s_delay_alu instid0(SALU_CYCLE_1)
	v_mov_b32_e32 v0, s0
	global_store_b32 v0, v1, s[6:7] scale_offset
.LBB1_10:
	s_endpgm
	.section	.rodata,"a",@progbits
	.p2align	6, 0x0
	.amdhsa_kernel _ZL25flash_attn_mask_to_KV_maxILi1EEvPK7__half2Piiii
		.amdhsa_group_segment_fixed_size 128
		.amdhsa_private_segment_fixed_size 0
		.amdhsa_kernarg_size 288
		.amdhsa_user_sgpr_count 2
		.amdhsa_user_sgpr_dispatch_ptr 0
		.amdhsa_user_sgpr_queue_ptr 0
		.amdhsa_user_sgpr_kernarg_segment_ptr 1
		.amdhsa_user_sgpr_dispatch_id 0
		.amdhsa_user_sgpr_kernarg_preload_length 0
		.amdhsa_user_sgpr_kernarg_preload_offset 0
		.amdhsa_user_sgpr_private_segment_size 0
		.amdhsa_wavefront_size32 1
		.amdhsa_uses_dynamic_stack 0
		.amdhsa_enable_private_segment 0
		.amdhsa_system_sgpr_workgroup_id_x 1
		.amdhsa_system_sgpr_workgroup_id_y 1
		.amdhsa_system_sgpr_workgroup_id_z 0
		.amdhsa_system_sgpr_workgroup_info 0
		.amdhsa_system_vgpr_workitem_id 0
		.amdhsa_next_free_vgpr 5
		.amdhsa_next_free_sgpr 13
		.amdhsa_named_barrier_count 0
		.amdhsa_reserve_vcc 1
		.amdhsa_float_round_mode_32 0
		.amdhsa_float_round_mode_16_64 0
		.amdhsa_float_denorm_mode_32 3
		.amdhsa_float_denorm_mode_16_64 3
		.amdhsa_fp16_overflow 0
		.amdhsa_memory_ordered 1
		.amdhsa_forward_progress 1
		.amdhsa_inst_pref_size 4
		.amdhsa_round_robin_scheduling 0
		.amdhsa_exception_fp_ieee_invalid_op 0
		.amdhsa_exception_fp_denorm_src 0
		.amdhsa_exception_fp_ieee_div_zero 0
		.amdhsa_exception_fp_ieee_overflow 0
		.amdhsa_exception_fp_ieee_underflow 0
		.amdhsa_exception_fp_ieee_inexact 0
		.amdhsa_exception_int_div_zero 0
	.end_amdhsa_kernel
	.section	.text._ZL25flash_attn_mask_to_KV_maxILi1EEvPK7__half2Piiii,"axG",@progbits,_ZL25flash_attn_mask_to_KV_maxILi1EEvPK7__half2Piiii,comdat
.Lfunc_end1:
	.size	_ZL25flash_attn_mask_to_KV_maxILi1EEvPK7__half2Piiii, .Lfunc_end1-_ZL25flash_attn_mask_to_KV_maxILi1EEvPK7__half2Piiii
                                        ; -- End function
	.set _ZL25flash_attn_mask_to_KV_maxILi1EEvPK7__half2Piiii.num_vgpr, 5
	.set _ZL25flash_attn_mask_to_KV_maxILi1EEvPK7__half2Piiii.num_agpr, 0
	.set _ZL25flash_attn_mask_to_KV_maxILi1EEvPK7__half2Piiii.numbered_sgpr, 13
	.set _ZL25flash_attn_mask_to_KV_maxILi1EEvPK7__half2Piiii.num_named_barrier, 0
	.set _ZL25flash_attn_mask_to_KV_maxILi1EEvPK7__half2Piiii.private_seg_size, 0
	.set _ZL25flash_attn_mask_to_KV_maxILi1EEvPK7__half2Piiii.uses_vcc, 1
	.set _ZL25flash_attn_mask_to_KV_maxILi1EEvPK7__half2Piiii.uses_flat_scratch, 0
	.set _ZL25flash_attn_mask_to_KV_maxILi1EEvPK7__half2Piiii.has_dyn_sized_stack, 0
	.set _ZL25flash_attn_mask_to_KV_maxILi1EEvPK7__half2Piiii.has_recursion, 0
	.set _ZL25flash_attn_mask_to_KV_maxILi1EEvPK7__half2Piiii.has_indirect_call, 0
	.section	.AMDGPU.csdata,"",@progbits
; Kernel info:
; codeLenInByte = 456
; TotalNumSgprs: 15
; NumVgprs: 5
; ScratchSize: 0
; MemoryBound: 0
; FloatMode: 240
; IeeeMode: 1
; LDSByteSize: 128 bytes/workgroup (compile time only)
; SGPRBlocks: 0
; VGPRBlocks: 0
; NumSGPRsForWavesPerEU: 15
; NumVGPRsForWavesPerEU: 5
; NamedBarCnt: 0
; Occupancy: 16
; WaveLimiterHint : 0
; COMPUTE_PGM_RSRC2:SCRATCH_EN: 0
; COMPUTE_PGM_RSRC2:USER_SGPR: 2
; COMPUTE_PGM_RSRC2:TRAP_HANDLER: 0
; COMPUTE_PGM_RSRC2:TGID_X_EN: 1
; COMPUTE_PGM_RSRC2:TGID_Y_EN: 1
; COMPUTE_PGM_RSRC2:TGID_Z_EN: 0
; COMPUTE_PGM_RSRC2:TIDIG_COMP_CNT: 0
	.section	.text._ZL33flash_attn_stream_k_fixup_uniformILi64ELi1ELi1EEvPfPK15HIP_vector_typeIfLj2EEiiiiiiS1_IjLj3EES5_S5_,"axG",@progbits,_ZL33flash_attn_stream_k_fixup_uniformILi64ELi1ELi1EEvPfPK15HIP_vector_typeIfLj2EEiiiiiiS1_IjLj3EES5_S5_,comdat
	.globl	_ZL33flash_attn_stream_k_fixup_uniformILi64ELi1ELi1EEvPfPK15HIP_vector_typeIfLj2EEiiiiiiS1_IjLj3EES5_S5_ ; -- Begin function _ZL33flash_attn_stream_k_fixup_uniformILi64ELi1ELi1EEvPfPK15HIP_vector_typeIfLj2EEiiiiiiS1_IjLj3EES5_S5_
	.p2align	8
	.type	_ZL33flash_attn_stream_k_fixup_uniformILi64ELi1ELi1EEvPfPK15HIP_vector_typeIfLj2EEiiiiiiS1_IjLj3EES5_S5_,@function
_ZL33flash_attn_stream_k_fixup_uniformILi64ELi1ELi1EEvPfPK15HIP_vector_typeIfLj2EEiiiiiiS1_IjLj3EES5_S5_: ; @_ZL33flash_attn_stream_k_fixup_uniformILi64ELi1ELi1EEvPfPK15HIP_vector_typeIfLj2EEiiiiiiS1_IjLj3EES5_S5_
; %bb.0:
	s_load_b256 s[4:11], s[0:1], 0x1c
	s_bfe_u32 s2, ttmp6, 0x40014
	s_lshr_b32 s3, ttmp7, 16
	s_add_co_i32 s2, s2, 1
	s_bfe_u32 s13, ttmp6, 0x40010
	s_mul_i32 s2, s3, s2
	s_bfe_u32 s12, ttmp6, 0x40008
	s_and_b32 s14, ttmp7, 0xffff
	s_add_co_i32 s13, s13, 1
	s_bfe_u32 s15, ttmp6, 0x4000c
	s_add_co_i32 s2, s12, s2
	s_mul_i32 s12, s14, s13
	s_bfe_u32 s13, ttmp6, 0x40004
	s_add_co_i32 s15, s15, 1
	s_add_co_i32 s13, s13, s12
	s_and_b32 s12, ttmp6, 15
	s_mul_i32 s15, ttmp9, s15
	s_getreg_b32 s20, hwreg(HW_REG_IB_STS2, 6, 4)
	s_add_co_i32 s12, s12, s15
	s_load_b128 s[16:19], s[0:1], 0x3c
	s_cmp_eq_u32 s20, 0
	s_cselect_b32 s12, ttmp9, s12
	s_cselect_b32 s13, s14, s13
	s_wait_kmcnt 0x0
	s_mul_hi_u32 s14, s7, s12
	s_cselect_b32 s7, s3, s2
	s_add_co_i32 s2, s12, s14
	s_delay_alu instid0(SALU_CYCLE_1) | instskip(NEXT) | instid1(SALU_CYCLE_1)
	s_lshr_b32 s14, s2, s8
	s_mul_i32 s2, s14, s9
	s_delay_alu instid0(SALU_CYCLE_1) | instskip(SKIP_2) | instid1(SALU_CYCLE_1)
	s_sub_co_i32 s8, s12, s2
	s_load_b64 s[2:3], s[0:1], 0x10
	s_mul_hi_u32 s9, s8, s10
	s_add_co_i32 s9, s8, s9
	s_delay_alu instid0(SALU_CYCLE_1) | instskip(NEXT) | instid1(SALU_CYCLE_1)
	s_lshr_b32 s15, s9, s11
	s_mul_i32 s9, s15, s16
	s_delay_alu instid0(SALU_CYCLE_1) | instskip(NEXT) | instid1(SALU_CYCLE_1)
	s_sub_co_i32 s8, s8, s9
	s_mul_hi_u32 s9, s8, s17
	s_delay_alu instid0(SALU_CYCLE_1) | instskip(NEXT) | instid1(SALU_CYCLE_1)
	s_add_co_i32 s9, s8, s9
	s_lshr_b32 s17, s9, s18
	s_delay_alu instid0(SALU_CYCLE_1) | instskip(NEXT) | instid1(SALU_CYCLE_1)
	s_mul_i32 s9, s17, s19
	s_sub_co_i32 s16, s8, s9
	s_delay_alu instid0(SALU_CYCLE_1) | instskip(SKIP_4) | instid1(SALU_CYCLE_1)
	s_add_co_i32 s16, s16, s13
	s_wait_kmcnt 0x0
	s_cmp_lt_i32 s16, s2
	s_cselect_b32 s8, -1, 0
	s_add_co_i32 s17, s17, s7
	s_cmp_lt_i32 s17, s5
	s_cselect_b32 s9, -1, 0
	s_delay_alu instid0(SALU_CYCLE_1) | instskip(NEXT) | instid1(SALU_CYCLE_1)
	s_and_b32 s8, s8, s9
	s_and_not1_b32 vcc_lo, exec_lo, s8
	s_cbranch_vccnz .LBB2_6
; %bb.1:
	s_load_b128 s[8:11], s[0:1], 0x0
	s_mul_i32 s14, s14, s2
	s_mul_i32 s15, s15, s5
	s_wait_xcnt 0x0
	s_add_co_i32 s0, s16, s14
	s_add_co_i32 s1, s17, s15
	s_mul_i32 s0, s0, s3
	s_mul_i32 s5, s6, s12
	s_add_co_i32 s1, s1, s0
	s_add_co_i32 s7, s13, s7
	v_lshl_or_b32 v4, s1, 6, v0
	s_add_co_i32 s6, s5, s6
	s_delay_alu instid0(SALU_CYCLE_1) | instskip(SKIP_4) | instid1(SALU_CYCLE_1)
	s_add_co_i32 s2, s7, s6
	s_add_co_i32 s12, s6, -2
	s_add_co_i32 s0, s2, -1
	v_ashrrev_i32_e32 v5, 31, v4
	s_ashr_i32 s1, s0, 31
	s_lshl_b64 s[0:1], s[0:1], 3
	s_cmp_lt_i32 s12, s5
	s_wait_kmcnt 0x0
	global_load_b32 v3, v4, s[8:9] scale_offset
	s_add_nc_u64 s[0:1], s[10:11], s[0:1]
	s_load_b32 s3, s[0:1], 0x4
	s_cbranch_scc1 .LBB2_4
; %bb.2:
	s_wait_xcnt 0x0
	s_load_b32 s0, s[0:1], 0x0
	v_lshl_or_b32 v0, s2, 6, v0
	s_lshl_b32 s12, s4, 2
	s_wait_kmcnt 0x0
	v_mov_b32_e32 v2, s3
	s_ashr_i32 s13, s12, 31
	s_add_co_i32 s1, s6, -1
	v_add_nc_u32_e32 v0, 0xffffff80, v0
	s_lshl_b64 s[12:13], s[12:13], 2
	s_add_co_i32 s4, s7, s4
	s_add_nc_u64 s[2:3], s[10:11], s[12:13]
.LBB2_3:                                ; =>This Inner Loop Header: Depth=1
	global_load_b32 v7, v0, s[2:3] scale_offset
	s_add_co_i32 s1, s1, -1
	v_max_num_f32_e64 v1, s0, s0
	s_add_co_i32 s6, s1, s4
	s_delay_alu instid0(SALU_CYCLE_1) | instskip(NEXT) | instid1(SALU_CYCLE_1)
	s_ashr_i32 s7, s6, 31
	s_lshl_b64 s[6:7], s[6:7], 3
	s_delay_alu instid0(VALU_DEP_1)
	v_readfirstlane_b32 s12, v1
	s_add_nc_u64 s[6:7], s[10:11], s[6:7]
	s_load_b64 s[6:7], s[6:7], 0x0
	v_subrev_nc_u32_e32 v0, 64, v0
	s_wait_kmcnt 0x0
	v_max_num_f32_e64 v1, s6, s6
	s_delay_alu instid0(VALU_DEP_1) | instskip(SKIP_1) | instid1(SALU_CYCLE_3)
	v_readfirstlane_b32 s13, v1
	s_max_num_f32 s12, s12, s13
	s_sub_f32 s0, s0, s12
	s_sub_f32 s6, s6, s12
	s_delay_alu instid0(SALU_CYCLE_2) | instskip(NEXT) | instid1(SALU_CYCLE_2)
	s_mul_f32 s13, s0, 0x3fb8aa3b
	s_mul_f32 s14, s6, 0x3fb8aa3b
	s_delay_alu instid0(SALU_CYCLE_2)
	s_xor_b32 s15, s13, 0x80000000
	s_rndne_f32 s16, s13
	s_fmamk_f32 s15, s0, 0x3fb8aa3b, s15
	s_cmp_nlt_f32 s0, 0xc2ce8ed0
	s_rndne_f32 s17, s14
	s_sub_f32 s13, s13, s16
	s_fmamk_f32 s15, s0, 0x32a5705f, s15
	s_cselect_b32 vcc_lo, -1, 0
	s_cmp_ngt_f32 s0, 0x42b17218
	s_delay_alu instid0(SALU_CYCLE_1) | instskip(SKIP_2) | instid1(SALU_CYCLE_1)
	s_add_f32 s13, s13, s15
	s_cvt_i32_f32 s15, s16
	s_sub_f32 s16, s14, s17
	v_s_exp_f32 s13, s13
	v_nop
	s_delay_alu instid0(TRANS32_DEP_1) | instskip(SKIP_1) | instid1(VALU_DEP_1)
	v_ldexp_f32 v1, s13, s15
	s_cvt_i32_f32 s13, s17
	v_cndmask_b32_e32 v1, 0, v1, vcc_lo
	s_cselect_b32 vcc_lo, -1, 0
	s_cmp_ge_f32 s0, 0xc1a00000
	s_delay_alu instid0(VALU_DEP_1)
	v_cndmask_b32_e32 v1, 0x7f800000, v1, vcc_lo
	s_cselect_b32 vcc_lo, -1, 0
	s_xor_b32 s0, s14, 0x80000000
	s_cmp_nlt_f32 s6, 0xc2ce8ed0
	s_fmamk_f32 s0, s6, 0x3fb8aa3b, s0
	v_cndmask_b32_e32 v10, 0, v1, vcc_lo
	s_delay_alu instid0(SALU_CYCLE_2) | instskip(NEXT) | instid1(SALU_CYCLE_3)
	s_fmamk_f32 s0, s6, 0x32a5705f, s0
	s_add_f32 s0, s16, s0
	s_delay_alu instid0(SALU_CYCLE_3) | instskip(SKIP_1) | instid1(TRANS32_DEP_1)
	v_s_exp_f32 s0, s0
	v_nop
	v_ldexp_f32 v6, s0, s13
	s_cselect_b32 s0, -1, 0
	s_cmp_ngt_f32 s6, 0x42b17218
	s_delay_alu instid0(VALU_DEP_1) | instskip(SKIP_2) | instid1(VALU_DEP_1)
	v_cndmask_b32_e64 v6, 0, v6, s0
	s_cselect_b32 s0, -1, 0
	s_cmp_ge_f32 s6, 0xc1a00000
	v_cndmask_b32_e64 v8, 0x7f800000, v6, s0
	s_cselect_b32 s0, -1, 0
	v_mov_b32_e32 v6, s7
	s_cmp_le_i32 s1, s5
	s_delay_alu instid0(VALU_DEP_2) | instskip(SKIP_2) | instid1(VALU_DEP_1)
	v_cndmask_b32_e64 v8, 0, v8, s0
	s_mov_b32 s0, s12
	s_wait_loadcnt 0x0
	v_pk_mul_f32 v[6:7], v[6:7], v[8:9] op_sel_hi:[1,0]
	s_delay_alu instid0(VALU_DEP_1)
	v_pk_fma_f32 v[2:3], v[2:3], v[10:11], v[6:7] op_sel_hi:[1,0,1]
	s_cbranch_scc0 .LBB2_3
	s_branch .LBB2_5
.LBB2_4:
	s_wait_kmcnt 0x0
	v_mov_b32_e32 v2, s3
.LBB2_5:
	v_lshl_add_u64 v[0:1], v[4:5], 2, s[8:9]
	s_wait_loadcnt 0x0
	s_delay_alu instid0(VALU_DEP_2) | instskip(NEXT) | instid1(VALU_DEP_1)
	v_div_scale_f32 v4, null, v2, v2, v3
	v_rcp_f32_e32 v5, v4
	v_nop
	s_delay_alu instid0(TRANS32_DEP_1) | instskip(NEXT) | instid1(VALU_DEP_1)
	v_fma_f32 v6, -v4, v5, 1.0
	v_fmac_f32_e32 v5, v6, v5
	v_div_scale_f32 v6, vcc_lo, v3, v2, v3
	s_delay_alu instid0(VALU_DEP_1) | instskip(NEXT) | instid1(VALU_DEP_1)
	v_mul_f32_e32 v7, v6, v5
	v_fma_f32 v8, -v4, v7, v6
	s_delay_alu instid0(VALU_DEP_1) | instskip(NEXT) | instid1(VALU_DEP_1)
	v_fmac_f32_e32 v7, v8, v5
	v_fma_f32 v4, -v4, v7, v6
	s_delay_alu instid0(VALU_DEP_1) | instskip(NEXT) | instid1(VALU_DEP_1)
	v_div_fmas_f32 v4, v4, v5, v7
	v_div_fixup_f32 v2, v4, v2, v3
	global_store_b32 v[0:1], v2, off
.LBB2_6:
	s_endpgm
	.section	.rodata,"a",@progbits
	.p2align	6, 0x0
	.amdhsa_kernel _ZL33flash_attn_stream_k_fixup_uniformILi64ELi1ELi1EEvPfPK15HIP_vector_typeIfLj2EEiiiiiiS1_IjLj3EES5_S5_
		.amdhsa_group_segment_fixed_size 0
		.amdhsa_private_segment_fixed_size 0
		.amdhsa_kernarg_size 76
		.amdhsa_user_sgpr_count 2
		.amdhsa_user_sgpr_dispatch_ptr 0
		.amdhsa_user_sgpr_queue_ptr 0
		.amdhsa_user_sgpr_kernarg_segment_ptr 1
		.amdhsa_user_sgpr_dispatch_id 0
		.amdhsa_user_sgpr_kernarg_preload_length 0
		.amdhsa_user_sgpr_kernarg_preload_offset 0
		.amdhsa_user_sgpr_private_segment_size 0
		.amdhsa_wavefront_size32 1
		.amdhsa_uses_dynamic_stack 0
		.amdhsa_enable_private_segment 0
		.amdhsa_system_sgpr_workgroup_id_x 1
		.amdhsa_system_sgpr_workgroup_id_y 1
		.amdhsa_system_sgpr_workgroup_id_z 1
		.amdhsa_system_sgpr_workgroup_info 0
		.amdhsa_system_vgpr_workitem_id 0
		.amdhsa_next_free_vgpr 12
		.amdhsa_next_free_sgpr 21
		.amdhsa_named_barrier_count 0
		.amdhsa_reserve_vcc 1
		.amdhsa_float_round_mode_32 0
		.amdhsa_float_round_mode_16_64 0
		.amdhsa_float_denorm_mode_32 3
		.amdhsa_float_denorm_mode_16_64 3
		.amdhsa_fp16_overflow 0
		.amdhsa_memory_ordered 1
		.amdhsa_forward_progress 1
		.amdhsa_inst_pref_size 8
		.amdhsa_round_robin_scheduling 0
		.amdhsa_exception_fp_ieee_invalid_op 0
		.amdhsa_exception_fp_denorm_src 0
		.amdhsa_exception_fp_ieee_div_zero 0
		.amdhsa_exception_fp_ieee_overflow 0
		.amdhsa_exception_fp_ieee_underflow 0
		.amdhsa_exception_fp_ieee_inexact 0
		.amdhsa_exception_int_div_zero 0
	.end_amdhsa_kernel
	.section	.text._ZL33flash_attn_stream_k_fixup_uniformILi64ELi1ELi1EEvPfPK15HIP_vector_typeIfLj2EEiiiiiiS1_IjLj3EES5_S5_,"axG",@progbits,_ZL33flash_attn_stream_k_fixup_uniformILi64ELi1ELi1EEvPfPK15HIP_vector_typeIfLj2EEiiiiiiS1_IjLj3EES5_S5_,comdat
.Lfunc_end2:
	.size	_ZL33flash_attn_stream_k_fixup_uniformILi64ELi1ELi1EEvPfPK15HIP_vector_typeIfLj2EEiiiiiiS1_IjLj3EES5_S5_, .Lfunc_end2-_ZL33flash_attn_stream_k_fixup_uniformILi64ELi1ELi1EEvPfPK15HIP_vector_typeIfLj2EEiiiiiiS1_IjLj3EES5_S5_
                                        ; -- End function
	.set _ZL33flash_attn_stream_k_fixup_uniformILi64ELi1ELi1EEvPfPK15HIP_vector_typeIfLj2EEiiiiiiS1_IjLj3EES5_S5_.num_vgpr, 12
	.set _ZL33flash_attn_stream_k_fixup_uniformILi64ELi1ELi1EEvPfPK15HIP_vector_typeIfLj2EEiiiiiiS1_IjLj3EES5_S5_.num_agpr, 0
	.set _ZL33flash_attn_stream_k_fixup_uniformILi64ELi1ELi1EEvPfPK15HIP_vector_typeIfLj2EEiiiiiiS1_IjLj3EES5_S5_.numbered_sgpr, 21
	.set _ZL33flash_attn_stream_k_fixup_uniformILi64ELi1ELi1EEvPfPK15HIP_vector_typeIfLj2EEiiiiiiS1_IjLj3EES5_S5_.num_named_barrier, 0
	.set _ZL33flash_attn_stream_k_fixup_uniformILi64ELi1ELi1EEvPfPK15HIP_vector_typeIfLj2EEiiiiiiS1_IjLj3EES5_S5_.private_seg_size, 0
	.set _ZL33flash_attn_stream_k_fixup_uniformILi64ELi1ELi1EEvPfPK15HIP_vector_typeIfLj2EEiiiiiiS1_IjLj3EES5_S5_.uses_vcc, 1
	.set _ZL33flash_attn_stream_k_fixup_uniformILi64ELi1ELi1EEvPfPK15HIP_vector_typeIfLj2EEiiiiiiS1_IjLj3EES5_S5_.uses_flat_scratch, 0
	.set _ZL33flash_attn_stream_k_fixup_uniformILi64ELi1ELi1EEvPfPK15HIP_vector_typeIfLj2EEiiiiiiS1_IjLj3EES5_S5_.has_dyn_sized_stack, 0
	.set _ZL33flash_attn_stream_k_fixup_uniformILi64ELi1ELi1EEvPfPK15HIP_vector_typeIfLj2EEiiiiiiS1_IjLj3EES5_S5_.has_recursion, 0
	.set _ZL33flash_attn_stream_k_fixup_uniformILi64ELi1ELi1EEvPfPK15HIP_vector_typeIfLj2EEiiiiiiS1_IjLj3EES5_S5_.has_indirect_call, 0
	.section	.AMDGPU.csdata,"",@progbits
; Kernel info:
; codeLenInByte = 1012
; TotalNumSgprs: 23
; NumVgprs: 12
; ScratchSize: 0
; MemoryBound: 0
; FloatMode: 240
; IeeeMode: 1
; LDSByteSize: 0 bytes/workgroup (compile time only)
; SGPRBlocks: 0
; VGPRBlocks: 0
; NumSGPRsForWavesPerEU: 23
; NumVGPRsForWavesPerEU: 12
; NamedBarCnt: 0
; Occupancy: 16
; WaveLimiterHint : 0
; COMPUTE_PGM_RSRC2:SCRATCH_EN: 0
; COMPUTE_PGM_RSRC2:USER_SGPR: 2
; COMPUTE_PGM_RSRC2:TRAP_HANDLER: 0
; COMPUTE_PGM_RSRC2:TGID_X_EN: 1
; COMPUTE_PGM_RSRC2:TGID_Y_EN: 1
; COMPUTE_PGM_RSRC2:TGID_Z_EN: 1
; COMPUTE_PGM_RSRC2:TIDIG_COMP_CNT: 0
	.section	.text._ZL33flash_attn_stream_k_fixup_generalILi64ELi1ELi1EEvPfPK15HIP_vector_typeIfLj2EEiiiiS1_IjLj3EES5_S5_S5_,"axG",@progbits,_ZL33flash_attn_stream_k_fixup_generalILi64ELi1ELi1EEvPfPK15HIP_vector_typeIfLj2EEiiiiS1_IjLj3EES5_S5_S5_,comdat
	.globl	_ZL33flash_attn_stream_k_fixup_generalILi64ELi1ELi1EEvPfPK15HIP_vector_typeIfLj2EEiiiiS1_IjLj3EES5_S5_S5_ ; -- Begin function _ZL33flash_attn_stream_k_fixup_generalILi64ELi1ELi1EEvPfPK15HIP_vector_typeIfLj2EEiiiiS1_IjLj3EES5_S5_S5_
	.p2align	8
	.type	_ZL33flash_attn_stream_k_fixup_generalILi64ELi1ELi1EEvPfPK15HIP_vector_typeIfLj2EEiiiiS1_IjLj3EES5_S5_S5_,@function
_ZL33flash_attn_stream_k_fixup_generalILi64ELi1ELi1EEvPfPK15HIP_vector_typeIfLj2EEiiiiS1_IjLj3EES5_S5_S5_: ; @_ZL33flash_attn_stream_k_fixup_generalILi64ELi1ELi1EEvPfPK15HIP_vector_typeIfLj2EEiiiiS1_IjLj3EES5_S5_S5_
; %bb.0:
	s_clause 0x1
	s_load_b128 s[4:7], s[0:1], 0x10
	s_load_b32 s16, s[0:1], 0x50
	s_bfe_u32 s2, ttmp6, 0x4000c
	s_and_b32 s3, ttmp6, 15
	s_add_co_i32 s2, s2, 1
	s_getreg_b32 s15, hwreg(HW_REG_IB_STS2, 6, 4)
	s_mul_i32 s2, ttmp9, s2
	s_mov_b32 s17, 0
	s_add_co_i32 s3, s3, s2
	s_cmp_eq_u32 s15, 0
	s_cselect_b32 s2, ttmp9, s3
	s_delay_alu instid0(SALU_CYCLE_1) | instskip(SKIP_3) | instid1(SALU_CYCLE_1)
	s_ashr_i32 s3, s2, 31
	s_wait_kmcnt 0x0
	s_ashr_i32 s19, s7, 31
	s_mov_b32 s18, s7
	s_mul_u64 s[8:9], s[18:19], s[2:3]
	s_delay_alu instid0(SALU_CYCLE_1) | instskip(NEXT) | instid1(SALU_CYCLE_1)
	s_and_b64 s[10:11], s[8:9], 0xffffffff00000000
	s_cmp_lg_u64 s[10:11], 0
	s_cbranch_scc0 .LBB3_21
; %bb.1:
	s_add_nc_u64 s[10:11], s[16:17], 0
	s_mov_b32 s23, s17
	s_xor_b64 s[10:11], s[10:11], 0
	s_mov_b32 s27, s17
	s_cvt_f32_u32 s3, s10
	s_cvt_f32_u32 s7, s11
	s_sub_nc_u64 s[20:21], 0, s[10:11]
	s_delay_alu instid0(SALU_CYCLE_2) | instskip(NEXT) | instid1(SALU_CYCLE_3)
	s_fmamk_f32 s3, s7, 0x4f800000, s3
	v_s_rcp_f32 s3, s3
	s_delay_alu instid0(TRANS32_DEP_1) | instskip(NEXT) | instid1(SALU_CYCLE_3)
	s_mul_f32 s3, s3, 0x5f7ffffc
	s_mul_f32 s7, s3, 0x2f800000
	s_delay_alu instid0(SALU_CYCLE_3) | instskip(NEXT) | instid1(SALU_CYCLE_3)
	s_trunc_f32 s7, s7
	s_fmamk_f32 s3, s7, 0xcf800000, s3
	s_cvt_u32_f32 s13, s7
	s_delay_alu instid0(SALU_CYCLE_2) | instskip(NEXT) | instid1(SALU_CYCLE_3)
	s_cvt_u32_f32 s12, s3
	s_mul_u64 s[24:25], s[20:21], s[12:13]
	s_delay_alu instid0(SALU_CYCLE_1)
	s_mul_hi_u32 s29, s12, s25
	s_mul_i32 s28, s12, s25
	s_mul_hi_u32 s22, s12, s24
	s_mul_i32 s7, s13, s24
	s_add_nc_u64 s[22:23], s[22:23], s[28:29]
	s_mul_hi_u32 s3, s13, s24
	s_mul_hi_u32 s14, s13, s25
	s_add_co_u32 s7, s22, s7
	s_add_co_ci_u32 s26, s23, s3
	s_mul_i32 s24, s13, s25
	s_add_co_ci_u32 s25, s14, 0
	s_delay_alu instid0(SALU_CYCLE_1) | instskip(SKIP_3) | instid1(SALU_CYCLE_1)
	s_add_nc_u64 s[22:23], s[26:27], s[24:25]
	s_mov_b32 s25, s17
	s_add_co_u32 s12, s12, s22
	s_cselect_b32 s3, -1, 0
	s_cmp_lg_u32 s3, 0
	s_add_co_ci_u32 s13, s13, s23
	s_mov_b32 s23, s17
	s_mul_u64 s[20:21], s[20:21], s[12:13]
	s_delay_alu instid0(SALU_CYCLE_1)
	s_mul_hi_u32 s27, s12, s21
	s_mul_i32 s26, s12, s21
	s_mul_hi_u32 s22, s12, s20
	s_mul_i32 s7, s13, s20
	s_add_nc_u64 s[22:23], s[22:23], s[26:27]
	s_mul_hi_u32 s3, s13, s20
	s_mul_hi_u32 s14, s13, s21
	s_add_co_u32 s7, s22, s7
	s_add_co_ci_u32 s24, s23, s3
	s_mul_i32 s20, s13, s21
	s_add_co_ci_u32 s21, s14, 0
	s_mov_b32 s23, s17
	s_add_nc_u64 s[20:21], s[24:25], s[20:21]
	s_delay_alu instid0(SALU_CYCLE_1) | instskip(SKIP_1) | instid1(SALU_CYCLE_1)
	s_add_co_u32 s3, s12, s20
	s_cselect_b32 s7, -1, 0
	s_cmp_lg_u32 s7, 0
	s_add_co_ci_u32 s7, s13, s21
	s_ashr_i32 s12, s9, 31
	s_delay_alu instid0(SALU_CYCLE_1) | instskip(NEXT) | instid1(SALU_CYCLE_1)
	s_mov_b32 s13, s12
	s_add_nc_u64 s[20:21], s[8:9], s[12:13]
	s_delay_alu instid0(SALU_CYCLE_1) | instskip(NEXT) | instid1(SALU_CYCLE_1)
	s_xor_b64 s[20:21], s[20:21], s[12:13]
	s_mul_hi_u32 s27, s20, s7
	s_mul_i32 s26, s20, s7
	s_mul_hi_u32 s22, s20, s3
	s_mul_hi_u32 s14, s21, s3
	s_mul_i32 s3, s21, s3
	s_add_nc_u64 s[22:23], s[22:23], s[26:27]
	s_mul_hi_u32 s9, s21, s7
	s_add_co_u32 s3, s22, s3
	s_add_co_ci_u32 s24, s23, s14
	s_mul_i32 s26, s21, s7
	s_add_co_ci_u32 s27, s9, 0
	s_delay_alu instid0(SALU_CYCLE_1) | instskip(NEXT) | instid1(SALU_CYCLE_1)
	s_add_nc_u64 s[22:23], s[24:25], s[26:27]
	s_and_b64 s[24:25], s[22:23], 0xffffffff00000000
	s_delay_alu instid0(SALU_CYCLE_1) | instskip(NEXT) | instid1(SALU_CYCLE_1)
	s_or_b32 s24, s24, s22
	s_mul_u64 s[22:23], s[10:11], s[24:25]
	s_add_nc_u64 s[26:27], s[24:25], 1
	s_sub_co_u32 s3, s20, s22
	s_cselect_b32 s7, -1, 0
	s_sub_co_i32 s9, s21, s23
	s_cmp_lg_u32 s7, 0
	s_add_nc_u64 s[28:29], s[24:25], 2
	s_sub_co_ci_u32 s9, s9, s11
	s_sub_co_u32 s14, s3, s10
	s_cselect_b32 s20, -1, 0
	s_delay_alu instid0(SALU_CYCLE_1) | instskip(SKIP_1) | instid1(SALU_CYCLE_1)
	s_cmp_lg_u32 s20, 0
	s_sub_co_ci_u32 s9, s9, 0
	s_cmp_ge_u32 s9, s11
	s_cselect_b32 s20, -1, 0
	s_cmp_ge_u32 s14, s10
	s_cselect_b32 s14, -1, 0
	s_cmp_eq_u32 s9, s11
	s_cselect_b32 s9, s14, s20
	s_delay_alu instid0(SALU_CYCLE_1) | instskip(SKIP_4) | instid1(SALU_CYCLE_1)
	s_cmp_lg_u32 s9, 0
	s_cselect_b32 s9, s28, s26
	s_cselect_b32 s14, s29, s27
	s_cmp_lg_u32 s7, 0
	s_sub_co_ci_u32 s7, s21, s23
	s_cmp_ge_u32 s7, s11
	s_cselect_b32 s20, -1, 0
	s_cmp_ge_u32 s3, s10
	s_cselect_b32 s3, -1, 0
	s_cmp_eq_u32 s7, s11
	s_cselect_b32 s3, s3, s20
	s_delay_alu instid0(SALU_CYCLE_1) | instskip(SKIP_4) | instid1(SALU_CYCLE_1)
	s_cmp_lg_u32 s3, 0
	s_mov_b32 s3, s17
	s_cselect_b32 s11, s14, s25
	s_cselect_b32 s10, s9, s24
	s_xor_b64 s[12:13], s[12:13], 0
	s_xor_b64 s[10:11], s[10:11], s[12:13]
	s_delay_alu instid0(SALU_CYCLE_1)
	s_sub_nc_u64 s[20:21], s[10:11], s[12:13]
	s_and_not1_b32 vcc_lo, exec_lo, s3
	s_cbranch_vccnz .LBB3_3
.LBB3_2:
	v_cvt_f32_u32_e32 v1, s16
	s_sub_co_i32 s7, 0, s16
	s_mov_b32 s21, 0
	s_delay_alu instid0(VALU_DEP_1) | instskip(SKIP_1) | instid1(TRANS32_DEP_1)
	v_rcp_iflag_f32_e32 v1, v1
	v_nop
	v_mul_f32_e32 v1, 0x4f7ffffe, v1
	s_delay_alu instid0(VALU_DEP_1) | instskip(NEXT) | instid1(VALU_DEP_1)
	v_cvt_u32_f32_e32 v1, v1
	v_readfirstlane_b32 s3, v1
	s_mul_i32 s7, s7, s3
	s_delay_alu instid0(SALU_CYCLE_1) | instskip(NEXT) | instid1(SALU_CYCLE_1)
	s_mul_hi_u32 s7, s3, s7
	s_add_co_i32 s3, s3, s7
	s_delay_alu instid0(SALU_CYCLE_1) | instskip(NEXT) | instid1(SALU_CYCLE_1)
	s_mul_hi_u32 s3, s8, s3
	s_mul_i32 s7, s3, s16
	s_delay_alu instid0(SALU_CYCLE_1)
	s_sub_co_i32 s7, s8, s7
	s_add_co_i32 s8, s3, 1
	s_sub_co_i32 s9, s7, s16
	s_cmp_ge_u32 s7, s16
	s_cselect_b32 s3, s8, s3
	s_cselect_b32 s7, s9, s7
	s_add_co_i32 s8, s3, 1
	s_cmp_ge_u32 s7, s16
	s_cselect_b32 s20, s8, s3
.LBB3_3:
	s_add_co_i32 s8, s2, 1
	s_delay_alu instid0(SALU_CYCLE_1) | instskip(NEXT) | instid1(SALU_CYCLE_1)
	s_ashr_i32 s9, s8, 31
	s_mul_u64 s[8:9], s[18:19], s[8:9]
	s_delay_alu instid0(SALU_CYCLE_1) | instskip(NEXT) | instid1(SALU_CYCLE_1)
	s_and_b64 s[10:11], s[8:9], 0xffffffff00000000
	s_cmp_lg_u64 s[10:11], 0
	s_cbranch_scc0 .LBB3_22
; %bb.4:
	s_add_nc_u64 s[10:11], s[16:17], 0
	s_delay_alu instid0(SALU_CYCLE_1) | instskip(SKIP_4) | instid1(SALU_CYCLE_2)
	s_xor_b64 s[12:13], s[10:11], 0
	s_mov_b32 s11, 0
	s_cvt_f32_u32 s3, s12
	s_cvt_f32_u32 s7, s13
	s_sub_nc_u64 s[24:25], 0, s[12:13]
	s_fmamk_f32 s3, s7, 0x4f800000, s3
	s_delay_alu instid0(SALU_CYCLE_3) | instskip(NEXT) | instid1(TRANS32_DEP_1)
	v_s_rcp_f32 s3, s3
	s_mul_f32 s3, s3, 0x5f7ffffc
	s_delay_alu instid0(SALU_CYCLE_3) | instskip(NEXT) | instid1(SALU_CYCLE_3)
	s_mul_f32 s7, s3, 0x2f800000
	s_trunc_f32 s7, s7
	s_delay_alu instid0(SALU_CYCLE_3) | instskip(SKIP_1) | instid1(SALU_CYCLE_2)
	s_fmamk_f32 s3, s7, 0xcf800000, s3
	s_cvt_u32_f32 s23, s7
	s_cvt_u32_f32 s22, s3
	s_delay_alu instid0(SALU_CYCLE_3) | instskip(NEXT) | instid1(SALU_CYCLE_1)
	s_mul_u64 s[26:27], s[24:25], s[22:23]
	s_mul_hi_u32 s29, s22, s27
	s_mul_i32 s28, s22, s27
	s_mul_hi_u32 s10, s22, s26
	s_mul_i32 s7, s23, s26
	s_add_nc_u64 s[28:29], s[10:11], s[28:29]
	s_mul_hi_u32 s3, s23, s26
	s_mul_hi_u32 s14, s23, s27
	s_add_co_u32 s7, s28, s7
	s_add_co_ci_u32 s10, s29, s3
	s_mul_i32 s26, s23, s27
	s_add_co_ci_u32 s27, s14, 0
	s_delay_alu instid0(SALU_CYCLE_1) | instskip(NEXT) | instid1(SALU_CYCLE_1)
	s_add_nc_u64 s[26:27], s[10:11], s[26:27]
	s_add_co_u32 s22, s22, s26
	s_cselect_b32 s3, -1, 0
	s_delay_alu instid0(SALU_CYCLE_1) | instskip(SKIP_1) | instid1(SALU_CYCLE_1)
	s_cmp_lg_u32 s3, 0
	s_add_co_ci_u32 s23, s23, s27
	s_mul_u64 s[24:25], s[24:25], s[22:23]
	s_delay_alu instid0(SALU_CYCLE_1)
	s_mul_hi_u32 s27, s22, s25
	s_mul_i32 s26, s22, s25
	s_mul_hi_u32 s10, s22, s24
	s_mul_i32 s7, s23, s24
	s_add_nc_u64 s[26:27], s[10:11], s[26:27]
	s_mul_hi_u32 s3, s23, s24
	s_mul_hi_u32 s14, s23, s25
	s_add_co_u32 s7, s26, s7
	s_add_co_ci_u32 s10, s27, s3
	s_mul_i32 s24, s23, s25
	s_add_co_ci_u32 s25, s14, 0
	s_delay_alu instid0(SALU_CYCLE_1) | instskip(NEXT) | instid1(SALU_CYCLE_1)
	s_add_nc_u64 s[24:25], s[10:11], s[24:25]
	s_add_co_u32 s3, s22, s24
	s_cselect_b32 s7, -1, 0
	s_delay_alu instid0(SALU_CYCLE_1) | instskip(SKIP_2) | instid1(SALU_CYCLE_1)
	s_cmp_lg_u32 s7, 0
	s_add_co_ci_u32 s7, s23, s25
	s_ashr_i32 s22, s9, 31
	s_mov_b32 s23, s22
	s_delay_alu instid0(SALU_CYCLE_1) | instskip(NEXT) | instid1(SALU_CYCLE_1)
	s_add_nc_u64 s[24:25], s[8:9], s[22:23]
	s_xor_b64 s[24:25], s[24:25], s[22:23]
	s_delay_alu instid0(SALU_CYCLE_1)
	s_mul_hi_u32 s27, s24, s7
	s_mul_i32 s26, s24, s7
	s_mul_hi_u32 s10, s24, s3
	s_mul_hi_u32 s14, s25, s3
	s_mul_i32 s3, s25, s3
	s_add_nc_u64 s[26:27], s[10:11], s[26:27]
	s_mul_hi_u32 s9, s25, s7
	s_add_co_u32 s3, s26, s3
	s_add_co_ci_u32 s10, s27, s14
	s_mul_i32 s28, s25, s7
	s_add_co_ci_u32 s29, s9, 0
	s_delay_alu instid0(SALU_CYCLE_1) | instskip(NEXT) | instid1(SALU_CYCLE_1)
	s_add_nc_u64 s[26:27], s[10:11], s[28:29]
	s_and_b64 s[28:29], s[26:27], 0xffffffff00000000
	s_delay_alu instid0(SALU_CYCLE_1) | instskip(NEXT) | instid1(SALU_CYCLE_1)
	s_or_b32 s28, s28, s26
	s_mul_u64 s[26:27], s[12:13], s[28:29]
	s_add_nc_u64 s[30:31], s[28:29], 1
	s_sub_co_u32 s3, s24, s26
	s_cselect_b32 s7, -1, 0
	s_sub_co_i32 s9, s25, s27
	s_cmp_lg_u32 s7, 0
	s_add_nc_u64 s[34:35], s[28:29], 2
	s_sub_co_ci_u32 s9, s9, s13
	s_sub_co_u32 s10, s3, s12
	s_cselect_b32 s14, -1, 0
	s_delay_alu instid0(SALU_CYCLE_1) | instskip(SKIP_1) | instid1(SALU_CYCLE_1)
	s_cmp_lg_u32 s14, 0
	s_sub_co_ci_u32 s9, s9, 0
	s_cmp_ge_u32 s9, s13
	s_cselect_b32 s14, -1, 0
	s_cmp_ge_u32 s10, s12
	s_cselect_b32 s10, -1, 0
	s_cmp_eq_u32 s9, s13
	s_cselect_b32 s9, s10, s14
	s_delay_alu instid0(SALU_CYCLE_1) | instskip(SKIP_4) | instid1(SALU_CYCLE_1)
	s_cmp_lg_u32 s9, 0
	s_cselect_b32 s9, s34, s30
	s_cselect_b32 s10, s35, s31
	s_cmp_lg_u32 s7, 0
	s_sub_co_ci_u32 s7, s25, s27
	s_cmp_ge_u32 s7, s13
	s_cselect_b32 s14, -1, 0
	s_cmp_ge_u32 s3, s12
	s_cselect_b32 s3, -1, 0
	s_cmp_eq_u32 s7, s13
	s_cselect_b32 s3, s3, s14
	s_delay_alu instid0(SALU_CYCLE_1) | instskip(SKIP_3) | instid1(SALU_CYCLE_1)
	s_cmp_lg_u32 s3, 0
	s_cselect_b32 s13, s10, s29
	s_cselect_b32 s12, s9, s28
	s_xor_b64 s[22:23], s[22:23], 0
	s_xor_b64 s[12:13], s[12:13], s[22:23]
	s_delay_alu instid0(SALU_CYCLE_1)
	s_sub_nc_u64 s[24:25], s[12:13], s[22:23]
	s_load_b96 s[12:14], s[0:1], 0x44
	s_cbranch_execnz .LBB3_6
.LBB3_5:
	v_cvt_f32_u32_e32 v1, s16
	s_sub_co_i32 s7, 0, s16
	s_delay_alu instid0(VALU_DEP_1) | instskip(SKIP_1) | instid1(TRANS32_DEP_1)
	v_rcp_iflag_f32_e32 v1, v1
	v_nop
	v_mul_f32_e32 v1, 0x4f7ffffe, v1
	s_delay_alu instid0(VALU_DEP_1) | instskip(NEXT) | instid1(VALU_DEP_1)
	v_cvt_u32_f32_e32 v1, v1
	v_readfirstlane_b32 s3, v1
	s_mul_i32 s7, s7, s3
	s_delay_alu instid0(SALU_CYCLE_1) | instskip(NEXT) | instid1(SALU_CYCLE_1)
	s_mul_hi_u32 s7, s3, s7
	s_add_co_i32 s3, s3, s7
	s_delay_alu instid0(SALU_CYCLE_1) | instskip(NEXT) | instid1(SALU_CYCLE_1)
	s_mul_hi_u32 s3, s8, s3
	s_mul_i32 s7, s3, s16
	s_delay_alu instid0(SALU_CYCLE_1)
	s_sub_co_i32 s7, s8, s7
	s_add_co_i32 s8, s3, 1
	s_sub_co_i32 s9, s7, s16
	s_cmp_ge_u32 s7, s16
	s_cselect_b32 s3, s8, s3
	s_cselect_b32 s7, s9, s7
	s_add_co_i32 s8, s3, 1
	s_cmp_ge_u32 s7, s16
	s_cselect_b32 s24, s8, s3
.LBB3_6:
	s_delay_alu instid0(SALU_CYCLE_1)
	s_cmp_eq_u32 s20, s24
	s_mov_b64 s[8:9], 0xffffffff
	s_cselect_b32 s3, -1, 0
	s_and_b64 s[8:9], s[20:21], s[8:9]
	s_mov_b32 s23, 0
	s_wait_kmcnt 0x0
	s_mov_b32 s22, s12
	s_mov_b32 s25, s23
	s_mul_u64 s[10:11], s[8:9], s[22:23]
	s_delay_alu instid0(SALU_CYCLE_1) | instskip(SKIP_2) | instid1(SALU_CYCLE_1)
	s_add_co_i32 s7, s11, s20
	s_mul_u64 s[10:11], s[24:25], s[22:23]
	s_lshr_b32 s12, s7, s13
	s_mul_i32 s7, s12, s14
	s_delay_alu instid0(SALU_CYCLE_1) | instskip(SKIP_2) | instid1(SALU_CYCLE_1)
	s_cmp_eq_u32 s7, s20
	s_cselect_b32 s7, -1, 0
	s_add_co_i32 s10, s11, s24
	s_lshr_b32 s10, s10, s13
	s_delay_alu instid0(SALU_CYCLE_1)
	s_cmp_eq_u32 s12, s10
	s_mul_i32 s10, s10, s14
	s_cselect_b32 s11, -1, 0
	s_cmp_lg_u32 s10, s24
	s_cselect_b32 s10, -1, 0
	s_or_b32 s3, s3, s7
	s_and_b32 s10, s11, s10
	s_delay_alu instid0(SALU_CYCLE_1) | instskip(NEXT) | instid1(SALU_CYCLE_1)
	s_or_b32 s3, s3, s10
	s_and_b32 vcc_lo, exec_lo, s3
	s_cbranch_vccnz .LBB3_24
; %bb.7:
	s_load_b256 s[24:31], s[0:1], 0x20
	s_bfe_u32 s7, ttmp6, 0x40014
	s_bfe_u32 s33, ttmp6, 0x40010
	s_lshr_b32 s3, ttmp7, 16
	s_add_co_i32 s7, s7, 1
	s_and_b32 s21, ttmp7, 0xffff
	s_add_co_i32 s33, s33, 1
	s_bfe_u32 s10, ttmp6, 0x40008
	s_mul_i32 s7, s3, s7
	s_bfe_u32 s34, ttmp6, 0x40004
	s_mul_i32 s33, s21, s33
	s_mov_b32 s11, s23
	s_add_co_i32 s7, s10, s7
	s_add_co_i32 s34, s34, s33
	s_cmp_eq_u32 s15, 0
	s_cselect_b32 s15, s21, s34
	s_cselect_b32 s3, s3, s7
	s_wait_kmcnt 0x0
	s_mov_b32 s10, s24
	s_delay_alu instid0(SALU_CYCLE_1) | instskip(SKIP_2) | instid1(SALU_CYCLE_1)
	s_mul_u64 s[8:9], s[8:9], s[10:11]
	s_load_b32 s8, s[0:1], 0x40
	s_add_co_i32 s7, s9, s20
	s_lshr_b32 s7, s7, s25
	s_delay_alu instid0(SALU_CYCLE_1) | instskip(NEXT) | instid1(SALU_CYCLE_1)
	s_mul_i32 s9, s7, s26
	s_sub_co_i32 s9, s20, s9
	s_delay_alu instid0(SALU_CYCLE_1) | instskip(NEXT) | instid1(SALU_CYCLE_1)
	s_mul_hi_u32 s10, s9, s27
	s_add_co_i32 s10, s9, s10
	s_delay_alu instid0(SALU_CYCLE_1) | instskip(NEXT) | instid1(SALU_CYCLE_1)
	s_lshr_b32 s21, s10, s28
	s_mul_i32 s10, s21, s29
	s_delay_alu instid0(SALU_CYCLE_1) | instskip(NEXT) | instid1(SALU_CYCLE_1)
	s_sub_co_i32 s10, s9, s10
	s_mul_hi_u32 s9, s10, s30
	s_delay_alu instid0(SALU_CYCLE_1) | instskip(NEXT) | instid1(SALU_CYCLE_1)
	s_add_co_i32 s9, s10, s9
	s_lshr_b32 s25, s9, s31
	s_mov_b32 s9, s23
	s_wait_kmcnt 0x0
	s_mul_i32 s8, s25, s8
	s_delay_alu instid0(SALU_CYCLE_1) | instskip(NEXT) | instid1(SALU_CYCLE_1)
	s_sub_co_i32 s8, s10, s8
	s_mul_u64 s[10:11], s[8:9], s[22:23]
	s_delay_alu instid0(SALU_CYCLE_1) | instskip(NEXT) | instid1(SALU_CYCLE_1)
	s_add_co_i32 s8, s8, s11
	s_lshr_b32 s24, s8, s13
	s_delay_alu instid0(SALU_CYCLE_1) | instskip(NEXT) | instid1(SALU_CYCLE_1)
	s_add_co_i32 s24, s24, s15
	s_cmp_lt_i32 s24, s4
	s_cselect_b32 s8, -1, 0
	s_add_co_i32 s25, s25, s3
	s_delay_alu instid0(SALU_CYCLE_1) | instskip(SKIP_1) | instid1(SALU_CYCLE_1)
	s_cmp_lt_i32 s25, s6
	s_cselect_b32 s9, -1, 0
	s_and_b32 s8, s8, s9
	s_delay_alu instid0(SALU_CYCLE_1)
	s_and_not1_b32 vcc_lo, exec_lo, s8
	s_cbranch_vccnz .LBB3_24
; %bb.8:
	s_load_b128 s[8:11], s[0:1], 0x0
	s_mul_i32 s7, s7, s4
	s_mul_i32 s21, s21, s6
	s_wait_xcnt 0x0
	s_add_co_i32 s0, s24, s7
	s_add_co_i32 s1, s25, s21
	s_mul_i32 s0, s0, s5
	s_add_co_i32 s15, s15, s3
	s_add_co_i32 s1, s1, s0
	v_cvt_f32_u32_e32 v1, s16
	v_lshl_or_b32 v4, s1, 6, v0
	s_add_nc_u64 s[0:1], s[16:17], 0
	s_lshl_b32 s24, s16, 2
	s_xor_b64 s[6:7], s[0:1], 0
	s_add_co_i32 s0, s15, s2
	s_cvt_f32_u32 s3, s6
	s_cvt_f32_u32 s4, s7
	s_ashr_i32 s1, s0, 31
	v_rcp_iflag_f32_e32 v1, v1
	s_lshl_b64 s[0:1], s[0:1], 3
	s_fmamk_f32 s3, s4, 0x4f800000, s3
	s_wait_kmcnt 0x0
	global_load_b32 v3, v4, s[8:9] scale_offset
	s_add_nc_u64 s[0:1], s[10:11], s[0:1]
	s_mov_b32 s25, 0
	v_s_rcp_f32 s3, s3
	s_load_b64 s[28:29], s[0:1], 0x0
	v_ashrrev_i32_e32 v5, 31, v4
	s_wait_xcnt 0x0
	s_lshl_b64 s[0:1], s[24:25], 2
	v_mul_f32_e32 v1, 0x4f7ffffe, v1
	s_add_nc_u64 s[26:27], s[10:11], s[0:1]
	s_add_co_i32 s36, s2, -1
	s_sub_nc_u64 s[34:35], 0, s[6:7]
	s_mul_f32 s3, s3, 0x5f7ffffc
	v_cvt_u32_f32_e32 v1, v1
	s_delay_alu instid0(SALU_CYCLE_2) | instskip(NEXT) | instid1(SALU_CYCLE_3)
	s_mul_f32 s4, s3, 0x2f800000
	s_trunc_f32 s4, s4
	s_delay_alu instid0(SALU_CYCLE_3)
	s_fmamk_f32 s0, s4, 0xcf800000, s3
	s_wait_kmcnt 0x0
	v_mov_b32_e32 v2, s29
	v_lshl_add_u64 v[4:5], v[4:5], 2, s[8:9]
	s_cvt_u32_f32 s31, s4
	s_cvt_u32_f32 s30, s0
	s_mov_b64 s[8:9], 0xffffffff
.LBB3_9:                                ; =>This Inner Loop Header: Depth=1
	s_ashr_i32 s37, s36, 31
                                        ; implicit-def: $sgpr40_sgpr41
	s_delay_alu instid0(SALU_CYCLE_1) | instskip(NEXT) | instid1(SALU_CYCLE_1)
	s_mul_u64 s[0:1], s[36:37], s[18:19]
	s_and_b64 s[2:3], s[0:1], 0xffffffff00000000
	s_delay_alu instid0(SALU_CYCLE_1)
	s_cmp_lg_u64 s[2:3], 0
	s_mov_b32 s2, -1
	s_cbranch_scc0 .LBB3_11
; %bb.10:                               ;   in Loop: Header=BB3_9 Depth=1
	s_mul_u64 s[2:3], s[34:35], s[30:31]
	s_delay_alu instid0(SALU_CYCLE_1)
	s_mul_hi_u32 s5, s30, s3
	s_mul_i32 s4, s30, s3
	s_mul_hi_u32 s24, s30, s2
	s_mul_hi_u32 s17, s31, s2
	s_add_nc_u64 s[4:5], s[24:25], s[4:5]
	s_mul_i32 s2, s31, s2
	s_mul_hi_u32 s21, s31, s3
	s_add_co_u32 s2, s4, s2
	s_add_co_ci_u32 s24, s5, s17
	s_add_co_ci_u32 s5, s21, 0
	s_mul_i32 s4, s31, s3
	s_delay_alu instid0(SALU_CYCLE_1) | instskip(NEXT) | instid1(SALU_CYCLE_1)
	s_add_nc_u64 s[2:3], s[24:25], s[4:5]
	s_add_co_u32 s2, s30, s2
	s_cselect_b32 s4, -1, 0
	s_delay_alu instid0(SALU_CYCLE_1) | instskip(SKIP_1) | instid1(SALU_CYCLE_1)
	s_cmp_lg_u32 s4, 0
	s_add_co_ci_u32 s3, s31, s3
	s_mul_u64 s[4:5], s[34:35], s[2:3]
	s_delay_alu instid0(SALU_CYCLE_1)
	s_mul_hi_u32 s39, s2, s5
	s_mul_i32 s38, s2, s5
	s_mul_hi_u32 s24, s2, s4
	s_mul_hi_u32 s17, s3, s4
	s_mul_i32 s4, s3, s4
	s_add_nc_u64 s[38:39], s[24:25], s[38:39]
	s_mul_hi_u32 s21, s3, s5
	s_add_co_u32 s4, s38, s4
	s_add_co_ci_u32 s24, s39, s17
	s_mul_i32 s4, s3, s5
	s_add_co_ci_u32 s5, s21, 0
	s_delay_alu instid0(SALU_CYCLE_1) | instskip(NEXT) | instid1(SALU_CYCLE_1)
	s_add_nc_u64 s[4:5], s[24:25], s[4:5]
	s_add_co_u32 s17, s2, s4
	s_cselect_b32 s2, -1, 0
	s_delay_alu instid0(SALU_CYCLE_1) | instskip(SKIP_2) | instid1(SALU_CYCLE_1)
	s_cmp_lg_u32 s2, 0
	s_add_co_ci_u32 s21, s3, s5
	s_ashr_i32 s2, s1, 31
	s_mov_b32 s3, s2
	s_delay_alu instid0(SALU_CYCLE_1) | instskip(NEXT) | instid1(SALU_CYCLE_1)
	s_add_nc_u64 s[4:5], s[0:1], s[2:3]
	s_xor_b64 s[4:5], s[4:5], s[2:3]
	s_delay_alu instid0(SALU_CYCLE_1)
	s_mul_hi_u32 s39, s4, s21
	s_mul_i32 s38, s4, s21
	s_mul_hi_u32 s24, s4, s17
	s_mul_hi_u32 s29, s5, s17
	s_mul_i32 s17, s5, s17
	s_add_nc_u64 s[38:39], s[24:25], s[38:39]
	s_mul_hi_u32 s1, s5, s21
	s_add_co_u32 s17, s38, s17
	s_add_co_ci_u32 s24, s39, s29
	s_mul_i32 s40, s5, s21
	s_add_co_ci_u32 s41, s1, 0
	s_delay_alu instid0(SALU_CYCLE_1) | instskip(NEXT) | instid1(SALU_CYCLE_1)
	s_add_nc_u64 s[38:39], s[24:25], s[40:41]
	s_and_b64 s[40:41], s[38:39], 0xffffffff00000000
	s_delay_alu instid0(SALU_CYCLE_1) | instskip(NEXT) | instid1(SALU_CYCLE_1)
	s_or_b32 s40, s40, s38
	s_mul_u64 s[38:39], s[6:7], s[40:41]
	s_add_nc_u64 s[42:43], s[40:41], 1
	s_sub_co_u32 s1, s4, s38
	s_cselect_b32 s4, -1, 0
	s_sub_co_i32 s17, s5, s39
	s_cmp_lg_u32 s4, 0
	s_add_nc_u64 s[44:45], s[40:41], 2
	s_sub_co_ci_u32 s17, s17, s7
	s_sub_co_u32 s21, s1, s6
	s_cselect_b32 s24, -1, 0
	s_delay_alu instid0(SALU_CYCLE_1) | instskip(SKIP_1) | instid1(SALU_CYCLE_1)
	s_cmp_lg_u32 s24, 0
	s_sub_co_ci_u32 s17, s17, 0
	s_cmp_ge_u32 s17, s7
	s_cselect_b32 s24, -1, 0
	s_cmp_ge_u32 s21, s6
	s_cselect_b32 s21, -1, 0
	s_cmp_eq_u32 s17, s7
	s_cselect_b32 s17, s21, s24
	s_delay_alu instid0(SALU_CYCLE_1) | instskip(SKIP_4) | instid1(SALU_CYCLE_1)
	s_cmp_lg_u32 s17, 0
	s_cselect_b32 s17, s44, s42
	s_cselect_b32 s21, s45, s43
	s_cmp_lg_u32 s4, 0
	s_sub_co_ci_u32 s4, s5, s39
	s_cmp_ge_u32 s4, s7
	s_cselect_b32 s5, -1, 0
	s_cmp_ge_u32 s1, s6
	s_cselect_b32 s1, -1, 0
	s_cmp_eq_u32 s4, s7
	s_cselect_b32 s1, s1, s5
	s_delay_alu instid0(SALU_CYCLE_1) | instskip(SKIP_3) | instid1(SALU_CYCLE_1)
	s_cmp_lg_u32 s1, 0
	s_cselect_b32 s5, s21, s41
	s_cselect_b32 s4, s17, s40
	s_xor_b64 s[2:3], s[2:3], 0
	s_xor_b64 s[4:5], s[4:5], s[2:3]
	s_delay_alu instid0(SALU_CYCLE_1)
	s_sub_nc_u64 s[40:41], s[4:5], s[2:3]
	s_mov_b32 s2, 0
.LBB3_11:                               ;   in Loop: Header=BB3_9 Depth=1
	s_delay_alu instid0(SALU_CYCLE_1)
	s_and_not1_b32 vcc_lo, exec_lo, s2
	s_cbranch_vccnz .LBB3_13
; %bb.12:                               ;   in Loop: Header=BB3_9 Depth=1
	v_readfirstlane_b32 s1, v1
	s_sub_co_i32 s2, 0, s16
	s_delay_alu instid0(SALU_CYCLE_1) | instskip(NEXT) | instid1(SALU_CYCLE_1)
	s_mul_i32 s2, s2, s1
	s_mul_hi_u32 s2, s1, s2
	s_delay_alu instid0(SALU_CYCLE_1) | instskip(NEXT) | instid1(SALU_CYCLE_1)
	s_add_co_i32 s1, s1, s2
	s_mul_hi_u32 s1, s0, s1
	s_delay_alu instid0(SALU_CYCLE_1) | instskip(NEXT) | instid1(SALU_CYCLE_1)
	s_mul_i32 s2, s1, s16
	s_sub_co_i32 s0, s0, s2
	s_add_co_i32 s2, s1, 1
	s_sub_co_i32 s3, s0, s16
	s_cmp_ge_u32 s0, s16
	s_cselect_b32 s1, s2, s1
	s_cselect_b32 s0, s3, s0
	s_add_co_i32 s2, s1, 1
	s_cmp_ge_u32 s0, s16
	s_cselect_b32 s24, s2, s1
	s_delay_alu instid0(SALU_CYCLE_1)
	s_mov_b64 s[40:41], s[24:25]
.LBB3_13:                               ;   in Loop: Header=BB3_9 Depth=1
	s_delay_alu instid0(SALU_CYCLE_1)
	s_cmp_lg_u32 s20, s40
	s_mov_b32 s0, -1
                                        ; implicit-def: $vgpr6_vgpr7
                                        ; implicit-def: $sgpr24
                                        ; implicit-def: $sgpr17
                                        ; implicit-def: $sgpr21
                                        ; implicit-def: $sgpr29
	s_cbranch_scc0 .LBB3_18
; %bb.14:                               ;   in Loop: Header=BB3_9 Depth=1
	s_add_co_i32 s42, s36, s15
	v_max_num_f32_e64 v6, s28, s28
	s_add_co_i32 s0, s42, s16
	s_mov_b32 s29, s20
	s_load_b64 s[38:39], s[10:11], s0 offset:0x0 scale_offset
	s_wait_xcnt 0x0
	v_readfirstlane_b32 s0, v6
	s_wait_kmcnt 0x0
	v_max_num_f32_e64 v7, s38, s38
	s_delay_alu instid0(VALU_DEP_1) | instskip(SKIP_1) | instid1(SALU_CYCLE_3)
	v_readfirstlane_b32 s1, v7
	s_max_num_f32 s17, s0, s1
	s_sub_f32 s33, s28, s17
	s_sub_f32 s37, s38, s17
	s_delay_alu instid0(SALU_CYCLE_2)
	s_cmp_nlt_f32 s33, 0xc2ce8ed0
	s_cselect_b32 s1, -1, 0
	s_cmp_ngt_f32 s33, 0x42b17218
	s_cselect_b32 s2, -1, 0
	s_cmp_ge_f32 s33, 0xc1a00000
	s_cselect_b32 s0, -1, 0
	s_cmp_nlt_f32 s37, 0xc2ce8ed0
	s_cselect_b32 s3, -1, 0
	s_cmp_ngt_f32 s37, 0x42b17218
	s_cselect_b32 s4, -1, 0
	s_cmp_ge_f32 s37, 0xc1a00000
	s_cselect_b32 s5, -1, 0
	s_and_b64 s[44:45], s[40:41], s[8:9]
	s_delay_alu instid0(SALU_CYCLE_1) | instskip(NEXT) | instid1(SALU_CYCLE_1)
	s_mul_u64 s[44:45], s[44:45], s[22:23]
	s_add_co_i32 s21, s45, s40
	s_delay_alu instid0(SALU_CYCLE_1) | instskip(NEXT) | instid1(SALU_CYCLE_1)
	s_lshr_b32 s21, s21, s13
	s_mul_i32 s24, s21, s14
	s_delay_alu instid0(SALU_CYCLE_1) | instskip(SKIP_3) | instid1(SALU_CYCLE_1)
	s_cmp_eq_u32 s24, s40
	s_cselect_b32 s24, -1, 0
	s_cmp_lt_u32 s21, s12
	s_cselect_b32 s21, -1, 0
	s_or_b32 s21, s21, s24
	s_mov_b32 s24, -1
	s_and_b32 vcc_lo, exec_lo, s21
	s_mov_b32 s21, s36
	s_cbranch_vccnz .LBB3_16
; %bb.15:                               ;   in Loop: Header=BB3_9 Depth=1
	s_add_co_i32 s21, s36, -1
	s_mov_b32 s24, 0
	s_mov_b32 s29, s40
.LBB3_16:                               ;   in Loop: Header=BB3_9 Depth=1
	v_lshl_or_b32 v6, s42, 6, v0
	s_mul_f32 s38, s37, 0x3fb8aa3b
	s_mul_f32 s40, s33, 0x3fb8aa3b
	s_delay_alu instid0(SALU_CYCLE_2)
	s_xor_b32 s41, s38, 0x80000000
	global_load_b32 v7, v6, s[26:27] scale_offset
	s_fmamk_f32 s41, s37, 0x3fb8aa3b, s41
	s_rndne_f32 s43, s38
	s_xor_b32 s42, s40, 0x80000000
	s_rndne_f32 s44, s40
	s_fmamk_f32 s37, s37, 0x32a5705f, s41
	s_sub_f32 s38, s38, s43
	s_fmamk_f32 s42, s33, 0x3fb8aa3b, s42
	s_sub_f32 s40, s40, s44
	s_delay_alu instid0(SALU_CYCLE_1) | instskip(NEXT) | instid1(SALU_CYCLE_1)
	s_add_f32 s37, s38, s37
	s_fmamk_f32 s33, s33, 0x32a5705f, s42
	s_cvt_i32_f32 s38, s43
	s_delay_alu instid0(SALU_CYCLE_1) | instskip(NEXT) | instid1(SALU_CYCLE_1)
	v_s_exp_f32 s37, s37
	s_add_f32 s33, s40, s33
	s_cvt_i32_f32 s40, s44
	s_delay_alu instid0(SALU_CYCLE_2) | instskip(SKIP_1) | instid1(TRANS32_DEP_2)
	v_s_exp_f32 s33, s33
	s_wait_xcnt 0x0
	v_ldexp_f32 v6, s37, s38
	s_delay_alu instid0(TRANS32_DEP_1) | instskip(NEXT) | instid1(VALU_DEP_1)
	v_ldexp_f32 v8, s33, s40
	v_dual_cndmask_b32 v6, 0, v6, s3 :: v_dual_cndmask_b32 v8, 0, v8, s1
	s_delay_alu instid0(VALU_DEP_1) | instskip(NEXT) | instid1(VALU_DEP_2)
	v_cndmask_b32_e64 v6, 0x7f800000, v6, s4
	v_cndmask_b32_e64 v9, 0x7f800000, v8, s2
	s_delay_alu instid0(VALU_DEP_2) | instskip(NEXT) | instid1(VALU_DEP_2)
	v_dual_cndmask_b32 v8, 0, v6, s5 :: v_dual_mov_b32 v6, s39
	v_cndmask_b32_e64 v10, 0, v9, s0
	s_wait_loadcnt 0x0
	s_delay_alu instid0(VALU_DEP_2) | instskip(NEXT) | instid1(VALU_DEP_1)
	v_pk_mul_f32 v[6:7], v[6:7], v[8:9] op_sel_hi:[1,0]
	v_pk_fma_f32 v[6:7], v[2:3], v[10:11], v[6:7] op_sel_hi:[1,0,1]
	s_cbranch_execz .LBB3_19
.LBB3_17:                               ;   in Loop: Header=BB3_9 Depth=1
	s_and_not1_b32 vcc_lo, exec_lo, s24
	s_cbranch_vccnz .LBB3_20
	s_branch .LBB3_23
.LBB3_18:                               ;   in Loop: Header=BB3_9 Depth=1
	s_and_not1_b32 vcc_lo, exec_lo, s0
	s_cbranch_vccnz .LBB3_17
.LBB3_19:                               ;   in Loop: Header=BB3_9 Depth=1
	s_wait_loadcnt 0x0
	v_mov_b64_e32 v[6:7], v[2:3]
	s_add_co_i32 s21, s36, -1
	s_mov_b32 s29, s20
	s_mov_b32 s17, s28
	s_cbranch_execz .LBB3_23
.LBB3_20:                               ;   in Loop: Header=BB3_9 Depth=1
	s_wait_loadcnt 0x0
	s_delay_alu instid0(VALU_DEP_1)
	v_mov_b64_e32 v[2:3], v[6:7]
	s_mov_b32 s20, s29
	s_mov_b32 s36, s21
	;; [unrolled: 1-line block ×3, first 2 shown]
	s_branch .LBB3_9
.LBB3_21:
                                        ; implicit-def: $sgpr20_sgpr21
	s_branch .LBB3_2
.LBB3_22:
                                        ; implicit-def: $sgpr24_sgpr25
	s_load_b96 s[12:14], s[0:1], 0x44
	s_branch .LBB3_5
.LBB3_23:
	s_delay_alu instid0(VALU_DEP_1) | instskip(NEXT) | instid1(VALU_DEP_1)
	v_div_scale_f32 v0, null, v6, v6, v7
	v_rcp_f32_e32 v1, v0
	v_nop
	s_delay_alu instid0(TRANS32_DEP_1) | instskip(NEXT) | instid1(VALU_DEP_1)
	v_fma_f32 v2, -v0, v1, 1.0
	v_fmac_f32_e32 v1, v2, v1
	v_div_scale_f32 v2, vcc_lo, v7, v6, v7
	s_wait_loadcnt 0x0
	s_delay_alu instid0(VALU_DEP_1) | instskip(NEXT) | instid1(VALU_DEP_1)
	v_mul_f32_e32 v3, v2, v1
	v_fma_f32 v8, -v0, v3, v2
	s_delay_alu instid0(VALU_DEP_1) | instskip(NEXT) | instid1(VALU_DEP_1)
	v_fmac_f32_e32 v3, v8, v1
	v_fma_f32 v0, -v0, v3, v2
	s_delay_alu instid0(VALU_DEP_1) | instskip(NEXT) | instid1(VALU_DEP_1)
	v_div_fmas_f32 v0, v0, v1, v3
	v_div_fixup_f32 v0, v0, v6, v7
	global_store_b32 v[4:5], v0, off
.LBB3_24:
	s_endpgm
	.section	.rodata,"a",@progbits
	.p2align	6, 0x0
	.amdhsa_kernel _ZL33flash_attn_stream_k_fixup_generalILi64ELi1ELi1EEvPfPK15HIP_vector_typeIfLj2EEiiiiS1_IjLj3EES5_S5_S5_
		.amdhsa_group_segment_fixed_size 0
		.amdhsa_private_segment_fixed_size 0
		.amdhsa_kernarg_size 336
		.amdhsa_user_sgpr_count 2
		.amdhsa_user_sgpr_dispatch_ptr 0
		.amdhsa_user_sgpr_queue_ptr 0
		.amdhsa_user_sgpr_kernarg_segment_ptr 1
		.amdhsa_user_sgpr_dispatch_id 0
		.amdhsa_user_sgpr_kernarg_preload_length 0
		.amdhsa_user_sgpr_kernarg_preload_offset 0
		.amdhsa_user_sgpr_private_segment_size 0
		.amdhsa_wavefront_size32 1
		.amdhsa_uses_dynamic_stack 0
		.amdhsa_enable_private_segment 0
		.amdhsa_system_sgpr_workgroup_id_x 1
		.amdhsa_system_sgpr_workgroup_id_y 1
		.amdhsa_system_sgpr_workgroup_id_z 1
		.amdhsa_system_sgpr_workgroup_info 0
		.amdhsa_system_vgpr_workitem_id 0
		.amdhsa_next_free_vgpr 12
		.amdhsa_next_free_sgpr 46
		.amdhsa_named_barrier_count 0
		.amdhsa_reserve_vcc 1
		.amdhsa_float_round_mode_32 0
		.amdhsa_float_round_mode_16_64 0
		.amdhsa_float_denorm_mode_32 3
		.amdhsa_float_denorm_mode_16_64 3
		.amdhsa_fp16_overflow 0
		.amdhsa_memory_ordered 1
		.amdhsa_forward_progress 1
		.amdhsa_inst_pref_size 26
		.amdhsa_round_robin_scheduling 0
		.amdhsa_exception_fp_ieee_invalid_op 0
		.amdhsa_exception_fp_denorm_src 0
		.amdhsa_exception_fp_ieee_div_zero 0
		.amdhsa_exception_fp_ieee_overflow 0
		.amdhsa_exception_fp_ieee_underflow 0
		.amdhsa_exception_fp_ieee_inexact 0
		.amdhsa_exception_int_div_zero 0
	.end_amdhsa_kernel
	.section	.text._ZL33flash_attn_stream_k_fixup_generalILi64ELi1ELi1EEvPfPK15HIP_vector_typeIfLj2EEiiiiS1_IjLj3EES5_S5_S5_,"axG",@progbits,_ZL33flash_attn_stream_k_fixup_generalILi64ELi1ELi1EEvPfPK15HIP_vector_typeIfLj2EEiiiiS1_IjLj3EES5_S5_S5_,comdat
.Lfunc_end3:
	.size	_ZL33flash_attn_stream_k_fixup_generalILi64ELi1ELi1EEvPfPK15HIP_vector_typeIfLj2EEiiiiS1_IjLj3EES5_S5_S5_, .Lfunc_end3-_ZL33flash_attn_stream_k_fixup_generalILi64ELi1ELi1EEvPfPK15HIP_vector_typeIfLj2EEiiiiS1_IjLj3EES5_S5_S5_
                                        ; -- End function
	.set _ZL33flash_attn_stream_k_fixup_generalILi64ELi1ELi1EEvPfPK15HIP_vector_typeIfLj2EEiiiiS1_IjLj3EES5_S5_S5_.num_vgpr, 12
	.set _ZL33flash_attn_stream_k_fixup_generalILi64ELi1ELi1EEvPfPK15HIP_vector_typeIfLj2EEiiiiS1_IjLj3EES5_S5_S5_.num_agpr, 0
	.set _ZL33flash_attn_stream_k_fixup_generalILi64ELi1ELi1EEvPfPK15HIP_vector_typeIfLj2EEiiiiS1_IjLj3EES5_S5_S5_.numbered_sgpr, 46
	.set _ZL33flash_attn_stream_k_fixup_generalILi64ELi1ELi1EEvPfPK15HIP_vector_typeIfLj2EEiiiiS1_IjLj3EES5_S5_S5_.num_named_barrier, 0
	.set _ZL33flash_attn_stream_k_fixup_generalILi64ELi1ELi1EEvPfPK15HIP_vector_typeIfLj2EEiiiiS1_IjLj3EES5_S5_S5_.private_seg_size, 0
	.set _ZL33flash_attn_stream_k_fixup_generalILi64ELi1ELi1EEvPfPK15HIP_vector_typeIfLj2EEiiiiS1_IjLj3EES5_S5_S5_.uses_vcc, 1
	.set _ZL33flash_attn_stream_k_fixup_generalILi64ELi1ELi1EEvPfPK15HIP_vector_typeIfLj2EEiiiiS1_IjLj3EES5_S5_S5_.uses_flat_scratch, 0
	.set _ZL33flash_attn_stream_k_fixup_generalILi64ELi1ELi1EEvPfPK15HIP_vector_typeIfLj2EEiiiiS1_IjLj3EES5_S5_S5_.has_dyn_sized_stack, 0
	.set _ZL33flash_attn_stream_k_fixup_generalILi64ELi1ELi1EEvPfPK15HIP_vector_typeIfLj2EEiiiiS1_IjLj3EES5_S5_S5_.has_recursion, 0
	.set _ZL33flash_attn_stream_k_fixup_generalILi64ELi1ELi1EEvPfPK15HIP_vector_typeIfLj2EEiiiiS1_IjLj3EES5_S5_S5_.has_indirect_call, 0
	.section	.AMDGPU.csdata,"",@progbits
; Kernel info:
; codeLenInByte = 3308
; TotalNumSgprs: 48
; NumVgprs: 12
; ScratchSize: 0
; MemoryBound: 0
; FloatMode: 240
; IeeeMode: 1
; LDSByteSize: 0 bytes/workgroup (compile time only)
; SGPRBlocks: 0
; VGPRBlocks: 0
; NumSGPRsForWavesPerEU: 48
; NumVGPRsForWavesPerEU: 12
; NamedBarCnt: 0
; Occupancy: 16
; WaveLimiterHint : 0
; COMPUTE_PGM_RSRC2:SCRATCH_EN: 0
; COMPUTE_PGM_RSRC2:USER_SGPR: 2
; COMPUTE_PGM_RSRC2:TRAP_HANDLER: 0
; COMPUTE_PGM_RSRC2:TGID_X_EN: 1
; COMPUTE_PGM_RSRC2:TGID_Y_EN: 1
; COMPUTE_PGM_RSRC2:TGID_Z_EN: 1
; COMPUTE_PGM_RSRC2:TIDIG_COMP_CNT: 0
	.section	.text._ZL26flash_attn_combine_resultsILi64EEvPKfPK15HIP_vector_typeIfLj2EEPfi,"axG",@progbits,_ZL26flash_attn_combine_resultsILi64EEvPKfPK15HIP_vector_typeIfLj2EEPfi,comdat
	.globl	_ZL26flash_attn_combine_resultsILi64EEvPKfPK15HIP_vector_typeIfLj2EEPfi ; -- Begin function _ZL26flash_attn_combine_resultsILi64EEvPKfPK15HIP_vector_typeIfLj2EEPfi
	.p2align	8
	.type	_ZL26flash_attn_combine_resultsILi64EEvPKfPK15HIP_vector_typeIfLj2EEPfi,@function
_ZL26flash_attn_combine_resultsILi64EEvPKfPK15HIP_vector_typeIfLj2EEPfi: ; @_ZL26flash_attn_combine_resultsILi64EEvPKfPK15HIP_vector_typeIfLj2EEPfi
; %bb.0:
	s_clause 0x2
	s_load_b128 s[4:7], s[0:1], 0x0
	s_load_b96 s[8:10], s[0:1], 0x10
	s_load_b64 s[2:3], s[0:1], 0x20
	s_bfe_u32 s11, ttmp6, 0x4000c
	s_wait_xcnt 0x0
	s_and_b32 s0, ttmp6, 15
	s_add_co_i32 s11, s11, 1
	s_and_b32 s12, ttmp7, 0xffff
	s_mul_i32 s1, ttmp9, s11
	s_bfe_u32 s11, ttmp6, 0x40010
	s_bfe_u32 s13, ttmp6, 0x40014
	s_add_co_i32 s11, s11, 1
	s_add_co_i32 s0, s0, s1
	s_mul_i32 s1, s12, s11
	s_bfe_u32 s11, ttmp6, 0x40004
	s_lshr_b32 s14, ttmp7, 16
	s_add_co_i32 s13, s13, 1
	s_add_co_i32 s11, s11, s1
	s_mul_i32 s1, s14, s13
	s_bfe_u32 s13, ttmp6, 0x40008
	s_getreg_b32 s15, hwreg(HW_REG_IB_STS2, 6, 4)
	s_add_co_i32 s13, s13, s1
	s_cmp_eq_u32 s15, 0
	v_mov_b32_e32 v2, v0
	s_cselect_b32 s1, s14, s13
	s_cselect_b32 s0, ttmp9, s0
	s_wait_kmcnt 0x0
	s_mul_i32 s1, s2, s1
	s_cselect_b32 s2, s12, s11
	s_add_co_i32 s0, s1, s0
	s_lshl_b32 s12, s10, 1
	s_mul_i32 s11, s0, s3
	s_mov_b32 s13, exec_lo
	s_add_co_i32 s11, s11, s2
	s_delay_alu instid0(SALU_CYCLE_1)
	s_mul_i32 s2, s11, s10
	v_cmpx_gt_i32_e64 s12, v0
	s_cbranch_execz .LBB4_13
; %bb.1:
	v_xad_u32 v1, v0, -1, s12
	s_ashr_i32 s3, s2, 31
	s_mov_b32 s0, -1
	s_mov_b32 s14, exec_lo
	s_delay_alu instid0(VALU_DEP_1)
	v_cmpx_lt_u32_e32 63, v1
	s_cbranch_execz .LBB4_10
; %bb.2:
	v_lshrrev_b32_e32 v6, 6, v1
	s_lshl_b64 s[0:1], s[2:3], 3
	v_or_b32_e32 v1, 64, v0
	s_add_nc_u64 s[0:1], s[6:7], s[0:1]
	s_delay_alu instid0(VALU_DEP_2) | instskip(NEXT) | instid1(VALU_DEP_1)
	v_add_nc_u32_e32 v2, -1, v6
	v_dual_mov_b32 v4, 0 :: v_dual_lshrrev_b32 v3, 1, v2
	v_cmp_lt_u32_e32 vcc_lo, 13, v2
	s_delay_alu instid0(VALU_DEP_2)
	v_add_nc_u32_e32 v7, 1, v3
	v_mov_b64_e32 v[2:3], v[0:1]
	s_and_saveexec_b32 s15, vcc_lo
	s_cbranch_execz .LBB4_6
; %bb.3:
	v_mov_b64_e32 v[2:3], v[0:1]
	v_dual_mov_b32 v5, 0 :: v_dual_bitop2_b32 v8, -8, v7 bitop3:0x40
	v_lshl_add_u32 v9, v0, 2, 0
	s_mov_b32 s16, 0
	s_mov_b32 s17, 0
.LBB4_4:                                ; =>This Inner Loop Header: Depth=1
	s_delay_alu instid0(VALU_DEP_2) | instskip(NEXT) | instid1(VALU_DEP_4)
	v_dual_mov_b32 v4, v2 :: v_dual_mov_b32 v11, v5
	v_dual_mov_b32 v13, v5 :: v_dual_add_nc_u32 v10, 0x80, v3
	v_dual_mov_b32 v15, v5 :: v_dual_add_nc_u32 v12, 0x100, v3
	s_delay_alu instid0(VALU_DEP_3) | instskip(SKIP_1) | instid1(VALU_DEP_4)
	v_lshl_add_u64 v[24:25], v[4:5], 2, s[0:1]
	v_dual_mov_b32 v4, v3 :: v_dual_add_nc_u32 v8, -8, v8
	v_lshl_add_u64 v[10:11], v[10:11], 2, s[0:1]
	v_dual_mov_b32 v17, v5 :: v_dual_add_nc_u32 v14, 0x180, v3
	s_delay_alu instid0(VALU_DEP_3)
	v_lshl_add_u64 v[26:27], v[4:5], 2, s[0:1]
	v_add_nc_u32_e32 v4, 0x80, v2
	global_load_b32 v1, v[24:25], off
	v_lshl_add_u64 v[12:13], v[12:13], 2, s[0:1]
	v_dual_mov_b32 v19, v5 :: v_dual_add_nc_u32 v16, 0x200, v3
	global_load_b32 v28, v[26:27], off
	s_wait_xcnt 0x1
	v_lshl_add_u64 v[24:25], v[4:5], 2, s[0:1]
	v_add_nc_u32_e32 v4, 0x100, v2
	s_clause 0x1
	global_load_b32 v29, v[24:25], off
	global_load_b32 v30, v[10:11], off
	s_wait_xcnt 0x2
	v_lshl_add_u64 v[26:27], v[4:5], 2, s[0:1]
	v_add_nc_u32_e32 v4, 0x180, v2
	s_clause 0x1
	global_load_b32 v24, v[26:27], off
	global_load_b32 v25, v[12:13], off
	s_wait_xcnt 0x2
	v_lshl_add_u64 v[10:11], v[4:5], 2, s[0:1]
	v_add_nc_u32_e32 v4, 0x200, v2
	v_lshl_add_u64 v[14:15], v[14:15], 2, s[0:1]
	s_clause 0x1
	global_load_b32 v26, v[10:11], off
	global_load_b32 v27, v[14:15], off
	s_wait_xcnt 0x2
	v_lshl_add_u64 v[12:13], v[4:5], 2, s[0:1]
	v_add_nc_u32_e32 v4, 0x280, v2
	v_dual_mov_b32 v21, v5 :: v_dual_add_nc_u32 v18, 0x280, v3
	v_lshl_add_u64 v[16:17], v[16:17], 2, s[0:1]
	v_dual_mov_b32 v23, v5 :: v_dual_add_nc_u32 v20, 0x300, v3
	s_wait_xcnt 0x1
	v_lshl_add_u64 v[10:11], v[4:5], 2, s[0:1]
	v_add_nc_u32_e32 v4, 0x300, v2
	s_clause 0x1
	global_load_b32 v14, v[12:13], off
	global_load_b32 v15, v[16:17], off
	v_add_nc_u32_e32 v22, 0x380, v3
	v_lshl_add_u64 v[18:19], v[18:19], 2, s[0:1]
	v_lshl_add_u64 v[20:21], v[20:21], 2, s[0:1]
	s_wait_xcnt 0x1
	v_lshl_add_u64 v[12:13], v[4:5], 2, s[0:1]
	v_add_nc_u32_e32 v4, 0x380, v2
	s_clause 0x1
	global_load_b32 v16, v[10:11], off
	global_load_b32 v17, v[18:19], off
	v_lshl_add_u64 v[22:23], v[22:23], 2, s[0:1]
	s_add_co_i32 s17, s17, 16
	v_cmp_eq_u32_e32 vcc_lo, 0, v8
	s_wait_xcnt 0x1
	v_lshl_add_u64 v[10:11], v[4:5], 2, s[0:1]
	s_clause 0x3
	global_load_b32 v18, v[12:13], off
	global_load_b32 v19, v[20:21], off
	;; [unrolled: 1-line block ×4, first 2 shown]
	v_dual_mov_b32 v4, s17 :: v_dual_add_nc_u32 v3, 0x400, v3
	v_add_nc_u32_e32 v2, 0x400, v2
	s_or_b32 s16, vcc_lo, s16
	s_wait_loadcnt 0xe
	ds_store_2addr_stride64_b32 v9, v1, v28 offset1:1
	s_wait_loadcnt 0xc
	ds_store_2addr_stride64_b32 v9, v29, v30 offset0:2 offset1:3
	s_wait_loadcnt 0xa
	ds_store_2addr_stride64_b32 v9, v24, v25 offset0:4 offset1:5
	;; [unrolled: 2-line block ×7, first 2 shown]
	v_add_nc_u32_e32 v9, 0x1000, v9
	s_wait_xcnt 0x0
	s_and_not1_b32 exec_lo, exec_lo, s16
	s_cbranch_execnz .LBB4_4
; %bb.5:
	s_or_b32 exec_lo, exec_lo, s16
.LBB4_6:
	s_delay_alu instid0(SALU_CYCLE_1) | instskip(SKIP_3) | instid1(VALU_DEP_1)
	s_or_b32 exec_lo, exec_lo, s15
	v_and_b32_e32 v1, 7, v7
	s_mov_b32 s16, 0
	s_mov_b32 s15, exec_lo
	v_cmpx_ne_u32_e32 0, v1
	s_cbranch_execz .LBB4_9
; %bb.7:
	v_lshlrev_b32_e32 v5, 2, v0
	s_delay_alu instid0(VALU_DEP_1) | instskip(NEXT) | instid1(VALU_DEP_1)
	v_lshl_or_b32 v4, v4, 8, v5
	v_dual_mov_b32 v5, 0 :: v_dual_add_nc_u32 v7, 0, v4
.LBB4_8:                                ; =>This Inner Loop Header: Depth=1
	v_dual_mov_b32 v4, v2 :: v_dual_add_nc_u32 v1, -1, v1
	v_add_nc_u32_e32 v2, 0x80, v2
	s_delay_alu instid0(VALU_DEP_2) | instskip(SKIP_1) | instid1(VALU_DEP_4)
	v_lshl_add_u64 v[8:9], v[4:5], 2, s[0:1]
	v_dual_mov_b32 v4, v3 :: v_dual_add_nc_u32 v3, 0x80, v3
	v_cmp_eq_u32_e32 vcc_lo, 0, v1
	s_delay_alu instid0(VALU_DEP_2)
	v_lshl_add_u64 v[10:11], v[4:5], 2, s[0:1]
	s_clause 0x1
	global_load_b32 v4, v[8:9], off
	global_load_b32 v12, v[10:11], off
	s_or_b32 s16, vcc_lo, s16
	s_wait_loadcnt 0x0
	ds_store_2addr_stride64_b32 v7, v4, v12 offset1:1
	v_add_nc_u32_e32 v7, 0x200, v7
	s_and_not1_b32 exec_lo, exec_lo, s16
	s_cbranch_execnz .LBB4_8
.LBB4_9:
	s_or_b32 exec_lo, exec_lo, s15
	v_add_nc_u32_e32 v1, 1, v6
	s_delay_alu instid0(VALU_DEP_1) | instskip(NEXT) | instid1(VALU_DEP_1)
	v_and_b32_e32 v2, 0x7fffffe, v1
	v_cmp_ne_u32_e32 vcc_lo, v1, v2
	v_lshl_or_b32 v2, v2, 6, v0
	s_or_not1_b32 s0, vcc_lo, exec_lo
.LBB4_10:
	s_or_b32 exec_lo, exec_lo, s14
	s_delay_alu instid0(SALU_CYCLE_1)
	s_and_b32 exec_lo, exec_lo, s0
	s_cbranch_execz .LBB4_13
; %bb.11:
	v_mov_b32_e32 v3, 0
	s_lshl_b64 s[0:1], s[2:3], 3
	v_lshl_add_u32 v1, v2, 2, 0
	s_add_nc_u64 s[0:1], s[6:7], s[0:1]
	s_delay_alu instid0(VALU_DEP_2) | instid1(SALU_CYCLE_1)
	v_lshl_add_u64 v[4:5], v[2:3], 2, s[0:1]
	s_mov_b32 s0, 0
.LBB4_12:                               ; =>This Inner Loop Header: Depth=1
	global_load_b32 v3, v[4:5], off
	v_add_nc_u32_e32 v2, 64, v2
	s_wait_xcnt 0x0
	v_add_nc_u64_e32 v[4:5], 0x100, v[4:5]
	s_delay_alu instid0(VALU_DEP_2)
	v_cmp_le_i32_e32 vcc_lo, s12, v2
	s_or_b32 s0, vcc_lo, s0
	s_wait_loadcnt 0x0
	ds_store_b32 v1, v3
	v_add_nc_u32_e32 v1, 0x100, v1
	s_and_not1_b32 exec_lo, exec_lo, s0
	s_cbranch_execnz .LBB4_12
.LBB4_13:
	s_or_b32 exec_lo, exec_lo, s13
	v_mov_b32_e32 v1, 0
	s_wait_dscnt 0x0
	s_barrier_signal -1
	s_barrier_wait -1
	ds_load_b32 v1, v1
	s_cmp_lt_i32 s10, 2
	s_wait_dscnt 0x0
	v_readfirstlane_b32 s3, v1
	s_cbranch_scc1 .LBB4_21
; %bb.14:
	s_cmp_eq_u32 s10, 2
	s_cbranch_scc1 .LBB4_18
; %bb.15:
	v_dual_mov_b32 v3, s3 :: v_dual_mov_b32 v4, s3
	s_add_co_i32 s1, s10, -1
	s_add_co_i32 s7, 0, 8
	s_and_b32 s3, s1, -2
	s_mov_b32 s6, 2
.LBB4_16:                               ; =>This Inner Loop Header: Depth=1
	v_dual_mov_b32 v1, s7 :: v_dual_mov_b32 v2, v3
	s_cmp_lg_u32 s3, s6
	s_cselect_b32 s12, -1, 0
	ds_load_2addr_b32 v[6:7], v1 offset1:2
	v_dual_mov_b32 v1, v4 :: v_dual_max_num_f32 v5, v2, v2
	s_delay_alu instid0(VALU_DEP_1)
	v_max_num_f32_e32 v3, v1, v1
	s_wait_dscnt 0x0
	v_cmp_u_f32_e32 vcc_lo, v7, v7
	v_max_num_f32_e32 v7, v7, v7
	v_cndmask_b32_e64 v4, 0, 1, vcc_lo
	v_cmp_u_f32_e32 vcc_lo, v6, v6
	v_max_num_f32_e32 v6, v6, v6
	s_delay_alu instid0(VALU_DEP_3) | instskip(SKIP_1) | instid1(VALU_DEP_3)
	v_readfirstlane_b32 s0, v4
	v_cndmask_b32_e64 v8, 0, 1, vcc_lo
	v_dual_max_num_f32 v4, v3, v7 :: v_dual_max_num_f32 v3, v5, v6
	s_lshl_b32 s0, s0, 1
	s_delay_alu instid0(VALU_DEP_2) | instskip(SKIP_1) | instid1(SALU_CYCLE_1)
	v_readfirstlane_b32 s13, v8
	s_or_b32 s0, s13, s0
	s_and_b32 s13, s0, 3
	s_delay_alu instid0(SALU_CYCLE_1)
	s_cmp_lg_u32 s13, 0
	s_cselect_b32 s0, -1, 0
	s_cmp_eq_u32 s13, 0
	s_cselect_b32 s13, -1, 0
	s_add_co_i32 s6, s6, 2
	s_and_b32 s12, s13, s12
	s_add_co_i32 s7, s7, 16
	s_and_b32 vcc_lo, exec_lo, s12
	s_cbranch_vccnz .LBB4_16
; %bb.17:
	v_dual_cndmask_b32 v2, v3, v2, s0 :: v_dual_cndmask_b32 v1, v4, v1, s0
	s_add_co_i32 s6, s6, -4
	s_and_b32 s7, s0, exec_lo
	s_cselect_b32 s6, s6, s1
	s_delay_alu instid0(VALU_DEP_1) | instskip(SKIP_3) | instid1(VALU_DEP_1)
	v_dual_max_num_f32 v2, v2, v2 :: v_dual_max_num_f32 v1, v1, v1
	s_or_b32 s6, s6, 1
	s_cmp_lg_u32 s1, s3
	s_cselect_b32 s1, -1, 0
	v_readfirstlane_b32 s7, v2
	v_readfirstlane_b32 s12, v1
	s_or_b32 s0, s1, s0
	s_max_num_f32 s3, s7, s12
	s_and_b32 vcc_lo, exec_lo, s0
	s_cbranch_vccnz .LBB4_19
	s_branch .LBB4_21
.LBB4_18:
	s_mov_b32 s6, 1
	s_cbranch_execz .LBB4_21
.LBB4_19:
	s_lshl_b32 s1, s6, 3
	s_sub_co_i32 s0, s10, s6
	s_add_co_i32 s1, s1, 0
.LBB4_20:                               ; =>This Inner Loop Header: Depth=1
	s_delay_alu instid0(SALU_CYCLE_1) | instskip(NEXT) | instid1(SALU_CYCLE_1)
	v_mov_b32_e32 v1, s1
	v_max_num_f32_e64 v2, s3, s3
	s_add_co_i32 s0, s0, -1
	s_add_co_i32 s1, s1, 8
	s_cmp_eq_u32 s0, 0
	ds_load_b32 v1, v1
	v_readfirstlane_b32 s3, v2
	s_wait_dscnt 0x0
	v_max_num_f32_e32 v1, v1, v1
	s_delay_alu instid0(VALU_DEP_1)
	v_readfirstlane_b32 s6, v1
	s_max_num_f32 s3, s3, s6
	s_cbranch_scc0 .LBB4_20
.LBB4_21:
	s_cmp_lt_i32 s10, 1
	s_cbranch_scc1 .LBB4_26
; %bb.22:
	s_lshl_b32 s0, s2, 6
	s_delay_alu instid0(SALU_CYCLE_1) | instskip(NEXT) | instid1(SALU_CYCLE_1)
	s_ashr_i32 s1, s0, 31
	s_lshl_b64 s[0:1], s[0:1], 2
	s_cmp_lt_u32 s10, 8
	s_add_nc_u64 s[0:1], s[4:5], s[0:1]
	s_cbranch_scc1 .LBB4_27
; %bb.23:
	v_mov_b32_e32 v2, 0
	v_or_b32_e32 v1, 0x1c0, v0
	s_and_b32 s2, s10, 0x7ffffff8
	s_mov_b32 s4, 0
	s_mov_b32 s5, 0
	v_mov_b32_e32 v3, v2
.LBB4_24:                               ; =>This Inner Loop Header: Depth=1
	v_add_nc_u32_e32 v4, 0xfffffe40, v1
	v_dual_mov_b32 v16, s5 :: v_dual_add_nc_u32 v5, 0xfffffe80, v1
	s_clause 0x1
	global_load_b32 v21, v4, s[0:1] scale_offset
	global_load_b32 v23, v5, s[0:1] scale_offset
	s_wait_xcnt 0x1
	v_add_nc_u32_e32 v4, 0xfffffec0, v1
	s_wait_xcnt 0x0
	v_add_nc_u32_e32 v5, 0xffffff00, v1
	s_clause 0x1
	global_load_b32 v25, v4, s[0:1] scale_offset
	global_load_b32 v27, v5, s[0:1] scale_offset
	s_wait_xcnt 0x1
	v_add_nc_u32_e32 v4, 0xffffff40, v1
	s_wait_xcnt 0x0
	v_add_nc_u32_e32 v5, 0xffffff80, v1
	global_load_b32 v29, v4, s[0:1] scale_offset
	s_wait_xcnt 0x0
	v_subrev_nc_u32_e32 v4, 64, v1
	s_clause 0x2
	global_load_b32 v31, v5, s[0:1] scale_offset
	global_load_b32 v33, v4, s[0:1] scale_offset
	;; [unrolled: 1-line block ×3, first 2 shown]
	s_wait_xcnt 0x1
	ds_load_2addr_b64 v[4:7], v16 offset1:1
	ds_load_2addr_b64 v[8:11], v16 offset0:2 offset1:3
	ds_load_2addr_b64 v[12:15], v16 offset0:4 offset1:5
	;; [unrolled: 1-line block ×3, first 2 shown]
	s_wait_xcnt 0x0
	v_add_nc_u32_e32 v1, 0x200, v1
	s_wait_dscnt 0x3
	v_readfirstlane_b32 s6, v4
	v_readfirstlane_b32 s7, v6
	s_wait_dscnt 0x2
	v_readfirstlane_b32 s12, v8
	v_dual_mov_b32 v20, v5 :: v_dual_mov_b32 v26, v11
	s_sub_f32 s6, s6, s3
	s_sub_f32 s7, s7, s3
	;; [unrolled: 1-line block ×3, first 2 shown]
	v_readfirstlane_b32 s13, v10
	s_mul_f32 s18, s6, 0x3fb8aa3b
	s_mul_f32 s19, s7, 0x3fb8aa3b
	;; [unrolled: 1-line block ×3, first 2 shown]
	s_wait_dscnt 0x1
	v_readfirstlane_b32 s14, v12
	s_xor_b32 s26, s18, 0x80000000
	s_rndne_f32 s27, s18
	s_fmamk_f32 s26, s6, 0x3fb8aa3b, s26
	s_cmp_nlt_f32 s6, 0xc2ce8ed0
	s_rndne_f32 s28, s19
	s_sub_f32 s18, s18, s27
	s_fmamk_f32 s26, s6, 0x32a5705f, s26
	s_cvt_i32_f32 s27, s27
	s_cselect_b32 vcc_lo, -1, 0
	s_cmp_ngt_f32 s6, 0x42b17218
	s_add_f32 s18, s18, s26
	s_sub_f32 s36, s19, s28
	s_cvt_i32_f32 s28, s28
	s_rndne_f32 s29, s20
	v_s_exp_f32 s18, s18
	s_sub_f32 s13, s13, s3
	s_sub_f32 s14, s14, s3
	;; [unrolled: 1-line block ×3, first 2 shown]
	s_cvt_i32_f32 s29, s29
	s_mul_f32 s21, s13, 0x3fb8aa3b
	s_mul_f32 s22, s14, 0x3fb8aa3b
	v_readfirstlane_b32 s15, v14
	v_ldexp_f32 v4, s18, s27
	s_wait_dscnt 0x0
	v_mov_b32_e32 v32, v17
	s_rndne_f32 s30, s21
	s_rndne_f32 s31, s22
	s_sub_f32 s15, s15, s3
	v_cndmask_b32_e32 v4, 0, v4, vcc_lo
	s_cselect_b32 vcc_lo, -1, 0
	s_xor_b32 s6, s19, 0x80000000
	s_cmp_nlt_f32 s7, 0xc2ce8ed0
	s_fmamk_f32 s6, s7, 0x3fb8aa3b, s6
	v_cndmask_b32_e32 v4, 0x7f800000, v4, vcc_lo
	s_sub_f32 s38, s21, s30
	s_cselect_b32 vcc_lo, -1, 0
	s_fmamk_f32 s6, s7, 0x32a5705f, s6
	s_cmp_ngt_f32 s7, 0x42b17218
	s_cvt_i32_f32 s30, s30
	s_sub_f32 s39, s22, s31
	s_add_f32 s6, s36, s6
	s_cvt_i32_f32 s31, s31
	s_mul_f32 s23, s15, 0x3fb8aa3b
	v_readfirstlane_b32 s16, v16
	v_s_exp_f32 s6, s6
	v_readfirstlane_b32 s17, v18
	s_rndne_f32 s33, s23
	v_mov_b32_e32 v22, v7
	s_sub_f32 s16, s16, s3
	v_mov_b32_e32 v34, v19
	s_sub_f32 s40, s23, s33
	s_cvt_i32_f32 s33, s33
	v_ldexp_f32 v5, s6, s28
	s_mul_f32 s24, s16, 0x3fb8aa3b
	s_sub_f32 s17, s17, s3
	v_dual_mov_b32 v24, v9 :: v_dual_mov_b32 v28, v13
	s_delay_alu instid0(VALU_DEP_2)
	v_dual_mov_b32 v30, v15 :: v_dual_cndmask_b32 v5, 0, v5
	s_cselect_b32 vcc_lo, -1, 0
	s_xor_b32 s6, s20, 0x80000000
	s_cmp_nlt_f32 s12, 0xc2ce8ed0
	s_fmamk_f32 s6, s12, 0x3fb8aa3b, s6
	v_cndmask_b32_e32 v6, 0x7f800000, v5, vcc_lo
	s_rndne_f32 s34, s24
	s_cselect_b32 vcc_lo, -1, 0
	s_fmamk_f32 s6, s12, 0x32a5705f, s6
	s_cmp_ngt_f32 s12, 0x42b17218
	s_sub_f32 s41, s24, s34
	s_cvt_i32_f32 s34, s34
	s_add_f32 s6, s37, s6
	s_mul_f32 s25, s17, 0x3fb8aa3b
	s_delay_alu instid0(SALU_CYCLE_2) | instskip(NEXT) | instid1(SALU_CYCLE_2)
	v_s_exp_f32 s6, s6
	s_rndne_f32 s35, s25
	s_delay_alu instid0(SALU_CYCLE_3) | instskip(SKIP_2) | instid1(TRANS32_DEP_1)
	s_sub_f32 s42, s25, s35
	s_cvt_i32_f32 s35, s35
	v_nop
	v_ldexp_f32 v5, s6, s29
	s_delay_alu instid0(VALU_DEP_1)
	v_cndmask_b32_e32 v5, 0, v5, vcc_lo
	s_cselect_b32 vcc_lo, -1, 0
	s_xor_b32 s6, s21, 0x80000000
	s_cmp_nlt_f32 s13, 0xc2ce8ed0
	s_fmamk_f32 s6, s13, 0x3fb8aa3b, s6
	v_cndmask_b32_e32 v8, 0x7f800000, v5, vcc_lo
	s_cselect_b32 vcc_lo, -1, 0
	s_delay_alu instid0(SALU_CYCLE_1) | instskip(SKIP_1) | instid1(SALU_CYCLE_2)
	s_fmamk_f32 s6, s13, 0x32a5705f, s6
	s_cmp_ngt_f32 s13, 0x42b17218
	s_add_f32 s6, s38, s6
	s_delay_alu instid0(SALU_CYCLE_3) | instskip(SKIP_1) | instid1(TRANS32_DEP_1)
	v_s_exp_f32 s6, s6
	v_nop
	v_ldexp_f32 v5, s6, s30
	s_delay_alu instid0(VALU_DEP_1)
	v_cndmask_b32_e32 v5, 0, v5, vcc_lo
	s_cselect_b32 vcc_lo, -1, 0
	s_xor_b32 s6, s22, 0x80000000
	s_cmp_nlt_f32 s14, 0xc2ce8ed0
	s_fmamk_f32 s6, s14, 0x3fb8aa3b, s6
	v_cndmask_b32_e32 v10, 0x7f800000, v5, vcc_lo
	s_cselect_b32 vcc_lo, -1, 0
	s_delay_alu instid0(SALU_CYCLE_1) | instskip(SKIP_1) | instid1(SALU_CYCLE_2)
	s_fmamk_f32 s6, s14, 0x32a5705f, s6
	s_cmp_ngt_f32 s14, 0x42b17218
	s_add_f32 s6, s39, s6
	s_delay_alu instid0(SALU_CYCLE_3) | instskip(SKIP_1) | instid1(TRANS32_DEP_1)
	v_s_exp_f32 s6, s6
	;; [unrolled: 16-line block ×4, first 2 shown]
	v_nop
	v_ldexp_f32 v5, s6, s34
	s_delay_alu instid0(VALU_DEP_1) | instskip(SKIP_4) | instid1(SALU_CYCLE_3)
	v_cndmask_b32_e32 v5, 0, v5, vcc_lo
	s_cselect_b32 vcc_lo, -1, 0
	s_xor_b32 s6, s25, 0x80000000
	s_cmp_nlt_f32 s17, 0xc2ce8ed0
	s_fmamk_f32 s6, s17, 0x3fb8aa3b, s6
	s_fmamk_f32 s6, s17, 0x32a5705f, s6
	s_delay_alu instid0(SALU_CYCLE_3) | instskip(NEXT) | instid1(SALU_CYCLE_3)
	s_add_f32 s6, s42, s6
	v_s_exp_f32 s6, s6
	s_wait_loadcnt 0x7
	v_pk_fma_f32 v[2:3], v[4:5], v[20:21], v[2:3] op_sel_hi:[0,1,1]
	v_cndmask_b32_e32 v4, 0x7f800000, v5, vcc_lo
	s_delay_alu instid0(TRANS32_DEP_1)
	v_ldexp_f32 v5, s6, s35
	s_cselect_b32 vcc_lo, -1, 0
	s_cmp_ngt_f32 s17, 0x42b17218
	s_wait_loadcnt 0x6
	v_pk_fma_f32 v[2:3], v[6:7], v[22:23], v[2:3] op_sel_hi:[0,1,1]
	v_cndmask_b32_e32 v5, 0, v5, vcc_lo
	s_cselect_b32 vcc_lo, -1, 0
	s_add_co_i32 s4, s4, 8
	s_wait_loadcnt 0x5
	v_pk_fma_f32 v[2:3], v[8:9], v[24:25], v[2:3] op_sel_hi:[0,1,1]
	s_add_co_i32 s5, s5, 64
	v_cndmask_b32_e32 v6, 0x7f800000, v5, vcc_lo
	s_cmp_eq_u32 s2, s4
	s_wait_loadcnt 0x4
	v_pk_fma_f32 v[2:3], v[10:11], v[26:27], v[2:3] op_sel_hi:[0,1,1]
	s_wait_loadcnt 0x3
	s_delay_alu instid0(VALU_DEP_1) | instskip(SKIP_1) | instid1(VALU_DEP_1)
	v_pk_fma_f32 v[2:3], v[12:13], v[28:29], v[2:3] op_sel_hi:[0,1,1]
	s_wait_loadcnt 0x2
	v_pk_fma_f32 v[2:3], v[14:15], v[30:31], v[2:3] op_sel_hi:[0,1,1]
	s_wait_loadcnt 0x1
	s_delay_alu instid0(VALU_DEP_1) | instskip(SKIP_1) | instid1(VALU_DEP_1)
	v_pk_fma_f32 v[2:3], v[4:5], v[32:33], v[2:3] op_sel_hi:[0,1,1]
	s_wait_loadcnt 0x0
	v_pk_fma_f32 v[2:3], v[6:7], v[34:35], v[2:3] op_sel_hi:[0,1,1]
	s_cbranch_scc0 .LBB4_24
; %bb.25:
	s_and_b32 s4, s10, 7
	s_delay_alu instid0(SALU_CYCLE_1)
	s_cmp_eq_u32 s4, 0
	s_cbranch_scc0 .LBB4_28
	s_branch .LBB4_30
.LBB4_26:
	v_mov_b32_e32 v1, 0x7fc00000
	s_branch .LBB4_31
.LBB4_27:
	v_mov_b64_e32 v[2:3], 0
	s_mov_b32 s2, 0
	s_and_b32 s4, s10, 7
	s_delay_alu instid0(SALU_CYCLE_1)
	s_cmp_eq_u32 s4, 0
	s_cbranch_scc1 .LBB4_30
.LBB4_28:
	v_lshl_or_b32 v1, s2, 6, v0
	s_lshl_b32 s2, s2, 3
	s_delay_alu instid0(SALU_CYCLE_1)
	s_add_co_i32 s2, s2, 0
.LBB4_29:                               ; =>This Inner Loop Header: Depth=1
	global_load_b32 v5, v1, s[0:1] scale_offset
	s_wait_xcnt 0x0
	v_dual_mov_b32 v4, s2 :: v_dual_add_nc_u32 v1, 64, v1
	ds_load_b64 v[6:7], v4
	s_wait_dscnt 0x0
	v_readfirstlane_b32 s5, v6
	s_sub_f32 s5, s5, s3
	s_delay_alu instid0(SALU_CYCLE_3) | instskip(NEXT) | instid1(SALU_CYCLE_3)
	s_mul_f32 s6, s5, 0x3fb8aa3b
	s_xor_b32 s7, s6, 0x80000000
	s_rndne_f32 s10, s6
	s_fmamk_f32 s7, s5, 0x3fb8aa3b, s7
	s_cmp_nlt_f32 s5, 0xc2ce8ed0
	s_delay_alu instid0(SALU_CYCLE_1) | instskip(NEXT) | instid1(SALU_CYCLE_1)
	s_sub_f32 s6, s6, s10
	s_fmamk_f32 s7, s5, 0x32a5705f, s7
	s_cselect_b32 vcc_lo, -1, 0
	s_cmp_ngt_f32 s5, 0x42b17218
	s_delay_alu instid0(SALU_CYCLE_1) | instskip(SKIP_1) | instid1(SALU_CYCLE_2)
	s_add_f32 s6, s6, s7
	s_cvt_i32_f32 s7, s10
	v_s_exp_f32 s6, s6
	v_nop
	s_delay_alu instid0(TRANS32_DEP_1) | instid1(SALU_CYCLE_1)
	v_ldexp_f32 v4, s6, s7
	s_delay_alu instid0(VALU_DEP_1) | instskip(SKIP_3) | instid1(VALU_DEP_1)
	v_dual_cndmask_b32 v6, 0, v4, vcc_lo :: v_dual_mov_b32 v4, v7
	s_cselect_b32 vcc_lo, -1, 0
	s_add_co_i32 s4, s4, -1
	s_add_co_i32 s2, s2, 8
	v_cndmask_b32_e32 v6, 0x7f800000, v6, vcc_lo
	s_cmp_lg_u32 s4, 0
	s_wait_loadcnt 0x0
	s_delay_alu instid0(VALU_DEP_1)
	v_pk_fma_f32 v[2:3], v[6:7], v[4:5], v[2:3] op_sel_hi:[0,1,1]
	s_cbranch_scc1 .LBB4_29
.LBB4_30:
	s_delay_alu instid0(VALU_DEP_1) | instskip(NEXT) | instid1(VALU_DEP_1)
	v_div_scale_f32 v1, null, v2, v2, v3
	v_rcp_f32_e32 v4, v1
	v_nop
	s_delay_alu instid0(TRANS32_DEP_1) | instskip(NEXT) | instid1(VALU_DEP_1)
	v_fma_f32 v5, -v1, v4, 1.0
	v_fmac_f32_e32 v4, v5, v4
	v_div_scale_f32 v5, vcc_lo, v3, v2, v3
	s_delay_alu instid0(VALU_DEP_1) | instskip(NEXT) | instid1(VALU_DEP_1)
	v_mul_f32_e32 v6, v5, v4
	v_fma_f32 v7, -v1, v6, v5
	s_delay_alu instid0(VALU_DEP_1) | instskip(NEXT) | instid1(VALU_DEP_1)
	v_fmac_f32_e32 v6, v7, v4
	v_fma_f32 v1, -v1, v6, v5
	s_delay_alu instid0(VALU_DEP_1) | instskip(NEXT) | instid1(VALU_DEP_1)
	v_div_fmas_f32 v1, v1, v4, v6
	v_div_fixup_f32 v1, v1, v2, v3
.LBB4_31:
	s_lshl_b32 s0, s11, 6
	s_delay_alu instid0(SALU_CYCLE_1) | instskip(NEXT) | instid1(SALU_CYCLE_1)
	s_ashr_i32 s1, s0, 31
	s_lshl_b64 s[0:1], s[0:1], 2
	s_delay_alu instid0(SALU_CYCLE_1)
	s_add_nc_u64 s[0:1], s[8:9], s[0:1]
	global_store_b32 v0, v1, s[0:1] scale_offset
	s_endpgm
	.section	.rodata,"a",@progbits
	.p2align	6, 0x0
	.amdhsa_kernel _ZL26flash_attn_combine_resultsILi64EEvPKfPK15HIP_vector_typeIfLj2EEPfi
		.amdhsa_group_segment_fixed_size 0
		.amdhsa_private_segment_fixed_size 0
		.amdhsa_kernarg_size 288
		.amdhsa_user_sgpr_count 2
		.amdhsa_user_sgpr_dispatch_ptr 0
		.amdhsa_user_sgpr_queue_ptr 0
		.amdhsa_user_sgpr_kernarg_segment_ptr 1
		.amdhsa_user_sgpr_dispatch_id 0
		.amdhsa_user_sgpr_kernarg_preload_length 0
		.amdhsa_user_sgpr_kernarg_preload_offset 0
		.amdhsa_user_sgpr_private_segment_size 0
		.amdhsa_wavefront_size32 1
		.amdhsa_uses_dynamic_stack 0
		.amdhsa_enable_private_segment 0
		.amdhsa_system_sgpr_workgroup_id_x 1
		.amdhsa_system_sgpr_workgroup_id_y 1
		.amdhsa_system_sgpr_workgroup_id_z 1
		.amdhsa_system_sgpr_workgroup_info 0
		.amdhsa_system_vgpr_workitem_id 0
		.amdhsa_next_free_vgpr 36
		.amdhsa_next_free_sgpr 43
		.amdhsa_named_barrier_count 0
		.amdhsa_reserve_vcc 1
		.amdhsa_float_round_mode_32 0
		.amdhsa_float_round_mode_16_64 0
		.amdhsa_float_denorm_mode_32 3
		.amdhsa_float_denorm_mode_16_64 3
		.amdhsa_fp16_overflow 0
		.amdhsa_memory_ordered 1
		.amdhsa_forward_progress 1
		.amdhsa_inst_pref_size 28
		.amdhsa_round_robin_scheduling 0
		.amdhsa_exception_fp_ieee_invalid_op 0
		.amdhsa_exception_fp_denorm_src 0
		.amdhsa_exception_fp_ieee_div_zero 0
		.amdhsa_exception_fp_ieee_overflow 0
		.amdhsa_exception_fp_ieee_underflow 0
		.amdhsa_exception_fp_ieee_inexact 0
		.amdhsa_exception_int_div_zero 0
	.end_amdhsa_kernel
	.section	.text._ZL26flash_attn_combine_resultsILi64EEvPKfPK15HIP_vector_typeIfLj2EEPfi,"axG",@progbits,_ZL26flash_attn_combine_resultsILi64EEvPKfPK15HIP_vector_typeIfLj2EEPfi,comdat
.Lfunc_end4:
	.size	_ZL26flash_attn_combine_resultsILi64EEvPKfPK15HIP_vector_typeIfLj2EEPfi, .Lfunc_end4-_ZL26flash_attn_combine_resultsILi64EEvPKfPK15HIP_vector_typeIfLj2EEPfi
                                        ; -- End function
	.set _ZL26flash_attn_combine_resultsILi64EEvPKfPK15HIP_vector_typeIfLj2EEPfi.num_vgpr, 36
	.set _ZL26flash_attn_combine_resultsILi64EEvPKfPK15HIP_vector_typeIfLj2EEPfi.num_agpr, 0
	.set _ZL26flash_attn_combine_resultsILi64EEvPKfPK15HIP_vector_typeIfLj2EEPfi.numbered_sgpr, 43
	.set _ZL26flash_attn_combine_resultsILi64EEvPKfPK15HIP_vector_typeIfLj2EEPfi.num_named_barrier, 0
	.set _ZL26flash_attn_combine_resultsILi64EEvPKfPK15HIP_vector_typeIfLj2EEPfi.private_seg_size, 0
	.set _ZL26flash_attn_combine_resultsILi64EEvPKfPK15HIP_vector_typeIfLj2EEPfi.uses_vcc, 1
	.set _ZL26flash_attn_combine_resultsILi64EEvPKfPK15HIP_vector_typeIfLj2EEPfi.uses_flat_scratch, 0
	.set _ZL26flash_attn_combine_resultsILi64EEvPKfPK15HIP_vector_typeIfLj2EEPfi.has_dyn_sized_stack, 0
	.set _ZL26flash_attn_combine_resultsILi64EEvPKfPK15HIP_vector_typeIfLj2EEPfi.has_recursion, 0
	.set _ZL26flash_attn_combine_resultsILi64EEvPKfPK15HIP_vector_typeIfLj2EEPfi.has_indirect_call, 0
	.section	.AMDGPU.csdata,"",@progbits
; Kernel info:
; codeLenInByte = 3580
; TotalNumSgprs: 45
; NumVgprs: 36
; ScratchSize: 0
; MemoryBound: 0
; FloatMode: 240
; IeeeMode: 1
; LDSByteSize: 0 bytes/workgroup (compile time only)
; SGPRBlocks: 0
; VGPRBlocks: 2
; NumSGPRsForWavesPerEU: 45
; NumVGPRsForWavesPerEU: 36
; NamedBarCnt: 0
; Occupancy: 16
; WaveLimiterHint : 0
; COMPUTE_PGM_RSRC2:SCRATCH_EN: 0
; COMPUTE_PGM_RSRC2:USER_SGPR: 2
; COMPUTE_PGM_RSRC2:TRAP_HANDLER: 0
; COMPUTE_PGM_RSRC2:TGID_X_EN: 1
; COMPUTE_PGM_RSRC2:TGID_Y_EN: 1
; COMPUTE_PGM_RSRC2:TGID_Z_EN: 1
; COMPUTE_PGM_RSRC2:TIDIG_COMP_CNT: 0
	.text
	.p2align	2                               ; -- Begin function __ockl_printf_append_string_n
	.type	__ockl_printf_append_string_n,@function
__ockl_printf_append_string_n:          ; @__ockl_printf_append_string_n
; %bb.0:
	s_wait_loadcnt_dscnt 0x0
	s_wait_kmcnt 0x0
	v_mov_b32_e32 v2, v0
	v_mbcnt_lo_u32_b32 v30, -1, 0
	s_get_pc_i64 s[0:1]
	s_add_nc_u64 s[0:1], s[0:1], __FUNCTION__._ZL18flash_attn_ext_vecILi64ELi1EL9ggml_type6ELS0_6ELb1EEvPKcS2_S2_S2_S2_PKiPfP15HIP_vector_typeIfLj2EEffffjfiS6_IjLj3EEiiiiiiiiiiiliiliiiiil@rel64+4
	s_delay_alu instid0(SALU_CYCLE_1)
	s_cmp_lg_u64 s[0:1], 0
	s_cbranch_scc0 .LBB5_87
; %bb.1:
	s_load_b64 s[2:3], s[8:9], 0x50
	v_dual_mov_b32 v11, 0 :: v_dual_bitop2_b32 v0, -3, v2 bitop3:0x40
	v_mov_b64_e32 v[12:13], 0x100000002
	v_mov_b64_e32 v[34:35], s[0:1]
	v_and_b32_e32 v32, 2, v2
	s_delay_alu instid0(VALU_DEP_4)
	v_mov_b64_e32 v[6:7], v[0:1]
	s_mov_b32 s7, 0
	s_mov_b32 s6, 0
	s_branch .LBB5_3
.LBB5_2:                                ;   in Loop: Header=BB5_3 Depth=1
	s_or_b32 exec_lo, exec_lo, s10
	v_sub_nc_u64_e32 v[4:5], v[4:5], v[36:37]
	v_add_nc_u64_e32 v[34:35], v[34:35], v[36:37]
	s_delay_alu instid0(VALU_DEP_2) | instskip(SKIP_1) | instid1(SALU_CYCLE_1)
	v_cmp_eq_u64_e32 vcc_lo, 0, v[4:5]
	s_or_b32 s6, vcc_lo, s6
	s_and_not1_b32 exec_lo, exec_lo, s6
	s_cbranch_execz .LBB5_85
.LBB5_3:                                ; =>This Loop Header: Depth=1
                                        ;     Child Loop BB5_6 Depth 2
                                        ;     Child Loop BB5_14 Depth 2
                                        ;     Child Loop BB5_22 Depth 2
                                        ;     Child Loop BB5_30 Depth 2
                                        ;     Child Loop BB5_38 Depth 2
                                        ;     Child Loop BB5_46 Depth 2
                                        ;     Child Loop BB5_54 Depth 2
                                        ;     Child Loop BB5_62 Depth 2
                                        ;     Child Loop BB5_70 Depth 2
                                        ;     Child Loop BB5_79 Depth 2
                                        ;     Child Loop BB5_84 Depth 2
	v_min_u64 v[36:37], v[4:5], 56
	s_delay_alu instid0(VALU_DEP_3)
	v_add_nc_u64_e32 v[16:17], 8, v[34:35]
	s_mov_b32 s0, exec_lo
	v_cmpx_gt_u64_e32 8, v[4:5]
	s_xor_b32 s4, exec_lo, s0
	s_cbranch_execz .LBB5_9
; %bb.4:                                ;   in Loop: Header=BB5_3 Depth=1
	v_mov_b64_e32 v[8:9], 0
	s_mov_b32 s5, exec_lo
	v_cmpx_ne_u64_e32 0, v[4:5]
	s_cbranch_execz .LBB5_8
; %bb.5:                                ;   in Loop: Header=BB5_3 Depth=1
	v_mov_b64_e32 v[8:9], 0
	v_mov_b64_e32 v[14:15], v[34:35]
	v_lshlrev_b32_e32 v0, 3, v36
	s_mov_b64 s[0:1], 0
	s_mov_b32 s10, 0
.LBB5_6:                                ;   Parent Loop BB5_3 Depth=1
                                        ; =>  This Inner Loop Header: Depth=2
	global_load_u8 v3, v[14:15], off
	v_mov_b32_e32 v17, s7
	s_wait_xcnt 0x0
	v_add_nc_u64_e32 v[14:15], 1, v[14:15]
	s_wait_loadcnt 0x0
	v_and_b32_e32 v16, 0xffff, v3
	s_delay_alu instid0(VALU_DEP_1) | instskip(SKIP_1) | instid1(SALU_CYCLE_1)
	v_lshlrev_b64_e32 v[16:17], s0, v[16:17]
	s_add_nc_u64 s[0:1], s[0:1], 8
	v_cmp_eq_u32_e32 vcc_lo, s0, v0
	s_delay_alu instid0(VALU_DEP_2) | instskip(NEXT) | instid1(VALU_DEP_3)
	v_or_b32_e32 v9, v17, v9
	v_or_b32_e32 v8, v16, v8
	s_or_b32 s10, vcc_lo, s10
	s_delay_alu instid0(SALU_CYCLE_1)
	s_and_not1_b32 exec_lo, exec_lo, s10
	s_cbranch_execnz .LBB5_6
; %bb.7:                                ;   in Loop: Header=BB5_3 Depth=1
	s_or_b32 exec_lo, exec_lo, s10
.LBB5_8:                                ;   in Loop: Header=BB5_3 Depth=1
	s_delay_alu instid0(SALU_CYCLE_1)
	s_or_b32 exec_lo, exec_lo, s5
	v_mov_b64_e32 v[16:17], v[34:35]
.LBB5_9:                                ;   in Loop: Header=BB5_3 Depth=1
	s_or_saveexec_b32 s0, s4
	v_mov_b32_e32 v0, 0
	s_xor_b32 exec_lo, exec_lo, s0
	s_cbranch_execz .LBB5_11
; %bb.10:                               ;   in Loop: Header=BB5_3 Depth=1
	global_load_b64 v[8:9], v[34:35], off
	v_add_nc_u32_e32 v0, -8, v36
.LBB5_11:                               ;   in Loop: Header=BB5_3 Depth=1
	s_wait_xcnt 0x0
	s_or_b32 exec_lo, exec_lo, s0
	v_add_nc_u64_e32 v[18:19], 8, v[16:17]
                                        ; implicit-def: $vgpr14_vgpr15
	s_mov_b32 s0, exec_lo
	v_cmpx_gt_u32_e32 8, v0
	s_xor_b32 s10, exec_lo, s0
	s_cbranch_execz .LBB5_17
; %bb.12:                               ;   in Loop: Header=BB5_3 Depth=1
	v_mov_b64_e32 v[14:15], 0
	s_mov_b32 s11, exec_lo
	v_cmpx_ne_u32_e32 0, v0
	s_cbranch_execz .LBB5_16
; %bb.13:                               ;   in Loop: Header=BB5_3 Depth=1
	v_mov_b64_e32 v[14:15], 0
	s_mov_b64 s[0:1], 0
	s_mov_b32 s12, 0
	s_mov_b64 s[4:5], 0
.LBB5_14:                               ;   Parent Loop BB5_3 Depth=1
                                        ; =>  This Inner Loop Header: Depth=2
	s_delay_alu instid0(SALU_CYCLE_1) | instskip(SKIP_1) | instid1(SALU_CYCLE_1)
	v_add_nc_u64_e32 v[18:19], s[4:5], v[16:17]
	s_add_nc_u64 s[4:5], s[4:5], 1
	v_cmp_eq_u32_e32 vcc_lo, s4, v0
	global_load_u8 v3, v[18:19], off
	s_wait_xcnt 0x0
	v_mov_b32_e32 v19, s7
	s_or_b32 s12, vcc_lo, s12
	s_wait_loadcnt 0x0
	v_and_b32_e32 v18, 0xffff, v3
	s_delay_alu instid0(VALU_DEP_1) | instskip(SKIP_1) | instid1(VALU_DEP_1)
	v_lshlrev_b64_e32 v[18:19], s0, v[18:19]
	s_add_nc_u64 s[0:1], s[0:1], 8
	v_or_b32_e32 v15, v19, v15
	s_delay_alu instid0(VALU_DEP_2)
	v_or_b32_e32 v14, v18, v14
	s_and_not1_b32 exec_lo, exec_lo, s12
	s_cbranch_execnz .LBB5_14
; %bb.15:                               ;   in Loop: Header=BB5_3 Depth=1
	s_or_b32 exec_lo, exec_lo, s12
.LBB5_16:                               ;   in Loop: Header=BB5_3 Depth=1
	s_delay_alu instid0(SALU_CYCLE_1)
	s_or_b32 exec_lo, exec_lo, s11
	v_mov_b64_e32 v[18:19], v[16:17]
                                        ; implicit-def: $vgpr0
.LBB5_17:                               ;   in Loop: Header=BB5_3 Depth=1
	s_or_saveexec_b32 s0, s10
	v_mov_b32_e32 v3, 0
	s_xor_b32 exec_lo, exec_lo, s0
	s_cbranch_execz .LBB5_19
; %bb.18:                               ;   in Loop: Header=BB5_3 Depth=1
	global_load_b64 v[14:15], v[16:17], off
	v_add_nc_u32_e32 v3, -8, v0
.LBB5_19:                               ;   in Loop: Header=BB5_3 Depth=1
	s_wait_xcnt 0x0
	s_or_b32 exec_lo, exec_lo, s0
	v_add_nc_u64_e32 v[20:21], 8, v[18:19]
	s_mov_b32 s0, exec_lo
	v_cmpx_gt_u32_e32 8, v3
	s_xor_b32 s10, exec_lo, s0
	s_cbranch_execz .LBB5_25
; %bb.20:                               ;   in Loop: Header=BB5_3 Depth=1
	v_mov_b64_e32 v[16:17], 0
	s_mov_b32 s11, exec_lo
	v_cmpx_ne_u32_e32 0, v3
	s_cbranch_execz .LBB5_24
; %bb.21:                               ;   in Loop: Header=BB5_3 Depth=1
	v_mov_b64_e32 v[16:17], 0
	s_mov_b64 s[0:1], 0
	s_mov_b32 s12, 0
	s_mov_b64 s[4:5], 0
.LBB5_22:                               ;   Parent Loop BB5_3 Depth=1
                                        ; =>  This Inner Loop Header: Depth=2
	s_delay_alu instid0(SALU_CYCLE_1) | instskip(SKIP_1) | instid1(SALU_CYCLE_1)
	v_add_nc_u64_e32 v[20:21], s[4:5], v[18:19]
	s_add_nc_u64 s[4:5], s[4:5], 1
	v_cmp_eq_u32_e32 vcc_lo, s4, v3
	global_load_u8 v0, v[20:21], off
	s_wait_xcnt 0x0
	v_mov_b32_e32 v21, s7
	s_or_b32 s12, vcc_lo, s12
	s_wait_loadcnt 0x0
	v_and_b32_e32 v20, 0xffff, v0
	s_delay_alu instid0(VALU_DEP_1) | instskip(SKIP_1) | instid1(VALU_DEP_1)
	v_lshlrev_b64_e32 v[20:21], s0, v[20:21]
	s_add_nc_u64 s[0:1], s[0:1], 8
	v_or_b32_e32 v17, v21, v17
	s_delay_alu instid0(VALU_DEP_2)
	v_or_b32_e32 v16, v20, v16
	s_and_not1_b32 exec_lo, exec_lo, s12
	s_cbranch_execnz .LBB5_22
; %bb.23:                               ;   in Loop: Header=BB5_3 Depth=1
	s_or_b32 exec_lo, exec_lo, s12
.LBB5_24:                               ;   in Loop: Header=BB5_3 Depth=1
	s_delay_alu instid0(SALU_CYCLE_1)
	s_or_b32 exec_lo, exec_lo, s11
	v_mov_b64_e32 v[20:21], v[18:19]
                                        ; implicit-def: $vgpr3
.LBB5_25:                               ;   in Loop: Header=BB5_3 Depth=1
	s_or_saveexec_b32 s0, s10
	v_mov_b32_e32 v0, 0
	s_xor_b32 exec_lo, exec_lo, s0
	s_cbranch_execz .LBB5_27
; %bb.26:                               ;   in Loop: Header=BB5_3 Depth=1
	global_load_b64 v[16:17], v[18:19], off
	v_add_nc_u32_e32 v0, -8, v3
.LBB5_27:                               ;   in Loop: Header=BB5_3 Depth=1
	s_wait_xcnt 0x0
	s_or_b32 exec_lo, exec_lo, s0
	v_add_nc_u64_e32 v[22:23], 8, v[20:21]
                                        ; implicit-def: $vgpr18_vgpr19
	s_mov_b32 s0, exec_lo
	v_cmpx_gt_u32_e32 8, v0
	s_xor_b32 s10, exec_lo, s0
	s_cbranch_execz .LBB5_33
; %bb.28:                               ;   in Loop: Header=BB5_3 Depth=1
	v_mov_b64_e32 v[18:19], 0
	s_mov_b32 s11, exec_lo
	v_cmpx_ne_u32_e32 0, v0
	s_cbranch_execz .LBB5_32
; %bb.29:                               ;   in Loop: Header=BB5_3 Depth=1
	v_mov_b64_e32 v[18:19], 0
	s_mov_b64 s[0:1], 0
	s_mov_b32 s12, 0
	s_mov_b64 s[4:5], 0
.LBB5_30:                               ;   Parent Loop BB5_3 Depth=1
                                        ; =>  This Inner Loop Header: Depth=2
	s_delay_alu instid0(SALU_CYCLE_1) | instskip(SKIP_1) | instid1(SALU_CYCLE_1)
	v_add_nc_u64_e32 v[22:23], s[4:5], v[20:21]
	s_add_nc_u64 s[4:5], s[4:5], 1
	v_cmp_eq_u32_e32 vcc_lo, s4, v0
	global_load_u8 v3, v[22:23], off
	s_wait_xcnt 0x0
	v_mov_b32_e32 v23, s7
	s_or_b32 s12, vcc_lo, s12
	s_wait_loadcnt 0x0
	v_and_b32_e32 v22, 0xffff, v3
	s_delay_alu instid0(VALU_DEP_1) | instskip(SKIP_1) | instid1(VALU_DEP_1)
	v_lshlrev_b64_e32 v[22:23], s0, v[22:23]
	s_add_nc_u64 s[0:1], s[0:1], 8
	v_or_b32_e32 v19, v23, v19
	s_delay_alu instid0(VALU_DEP_2)
	v_or_b32_e32 v18, v22, v18
	s_and_not1_b32 exec_lo, exec_lo, s12
	s_cbranch_execnz .LBB5_30
; %bb.31:                               ;   in Loop: Header=BB5_3 Depth=1
	s_or_b32 exec_lo, exec_lo, s12
.LBB5_32:                               ;   in Loop: Header=BB5_3 Depth=1
	s_delay_alu instid0(SALU_CYCLE_1)
	s_or_b32 exec_lo, exec_lo, s11
	v_mov_b64_e32 v[22:23], v[20:21]
                                        ; implicit-def: $vgpr0
.LBB5_33:                               ;   in Loop: Header=BB5_3 Depth=1
	s_or_saveexec_b32 s0, s10
	v_mov_b32_e32 v3, 0
	s_xor_b32 exec_lo, exec_lo, s0
	s_cbranch_execz .LBB5_35
; %bb.34:                               ;   in Loop: Header=BB5_3 Depth=1
	global_load_b64 v[18:19], v[20:21], off
	v_add_nc_u32_e32 v3, -8, v0
.LBB5_35:                               ;   in Loop: Header=BB5_3 Depth=1
	s_wait_xcnt 0x0
	s_or_b32 exec_lo, exec_lo, s0
	v_add_nc_u64_e32 v[24:25], 8, v[22:23]
	s_mov_b32 s0, exec_lo
	v_cmpx_gt_u32_e32 8, v3
	s_xor_b32 s10, exec_lo, s0
	s_cbranch_execz .LBB5_41
; %bb.36:                               ;   in Loop: Header=BB5_3 Depth=1
	v_mov_b64_e32 v[20:21], 0
	s_mov_b32 s11, exec_lo
	v_cmpx_ne_u32_e32 0, v3
	s_cbranch_execz .LBB5_40
; %bb.37:                               ;   in Loop: Header=BB5_3 Depth=1
	v_mov_b64_e32 v[20:21], 0
	s_mov_b64 s[0:1], 0
	s_mov_b32 s12, 0
	s_mov_b64 s[4:5], 0
.LBB5_38:                               ;   Parent Loop BB5_3 Depth=1
                                        ; =>  This Inner Loop Header: Depth=2
	s_delay_alu instid0(SALU_CYCLE_1) | instskip(SKIP_1) | instid1(SALU_CYCLE_1)
	v_add_nc_u64_e32 v[24:25], s[4:5], v[22:23]
	s_add_nc_u64 s[4:5], s[4:5], 1
	v_cmp_eq_u32_e32 vcc_lo, s4, v3
	global_load_u8 v0, v[24:25], off
	s_wait_xcnt 0x0
	v_mov_b32_e32 v25, s7
	s_or_b32 s12, vcc_lo, s12
	s_wait_loadcnt 0x0
	v_and_b32_e32 v24, 0xffff, v0
	s_delay_alu instid0(VALU_DEP_1) | instskip(SKIP_1) | instid1(VALU_DEP_1)
	v_lshlrev_b64_e32 v[24:25], s0, v[24:25]
	s_add_nc_u64 s[0:1], s[0:1], 8
	v_or_b32_e32 v21, v25, v21
	s_delay_alu instid0(VALU_DEP_2)
	v_or_b32_e32 v20, v24, v20
	s_and_not1_b32 exec_lo, exec_lo, s12
	s_cbranch_execnz .LBB5_38
; %bb.39:                               ;   in Loop: Header=BB5_3 Depth=1
	s_or_b32 exec_lo, exec_lo, s12
.LBB5_40:                               ;   in Loop: Header=BB5_3 Depth=1
	s_delay_alu instid0(SALU_CYCLE_1)
	s_or_b32 exec_lo, exec_lo, s11
	v_mov_b64_e32 v[24:25], v[22:23]
                                        ; implicit-def: $vgpr3
.LBB5_41:                               ;   in Loop: Header=BB5_3 Depth=1
	s_or_saveexec_b32 s0, s10
	v_mov_b32_e32 v0, 0
	s_xor_b32 exec_lo, exec_lo, s0
	s_cbranch_execz .LBB5_43
; %bb.42:                               ;   in Loop: Header=BB5_3 Depth=1
	global_load_b64 v[20:21], v[22:23], off
	v_add_nc_u32_e32 v0, -8, v3
.LBB5_43:                               ;   in Loop: Header=BB5_3 Depth=1
	s_wait_xcnt 0x0
	s_or_b32 exec_lo, exec_lo, s0
	v_add_nc_u64_e32 v[26:27], 8, v[24:25]
                                        ; implicit-def: $vgpr22_vgpr23
	s_mov_b32 s0, exec_lo
	v_cmpx_gt_u32_e32 8, v0
	s_xor_b32 s10, exec_lo, s0
	s_cbranch_execz .LBB5_49
; %bb.44:                               ;   in Loop: Header=BB5_3 Depth=1
	v_mov_b64_e32 v[22:23], 0
	s_mov_b32 s11, exec_lo
	v_cmpx_ne_u32_e32 0, v0
	s_cbranch_execz .LBB5_48
; %bb.45:                               ;   in Loop: Header=BB5_3 Depth=1
	v_mov_b64_e32 v[22:23], 0
	s_mov_b64 s[0:1], 0
	s_mov_b32 s12, 0
	s_mov_b64 s[4:5], 0
.LBB5_46:                               ;   Parent Loop BB5_3 Depth=1
                                        ; =>  This Inner Loop Header: Depth=2
	s_delay_alu instid0(SALU_CYCLE_1) | instskip(SKIP_1) | instid1(SALU_CYCLE_1)
	v_add_nc_u64_e32 v[26:27], s[4:5], v[24:25]
	s_add_nc_u64 s[4:5], s[4:5], 1
	v_cmp_eq_u32_e32 vcc_lo, s4, v0
	global_load_u8 v3, v[26:27], off
	s_wait_xcnt 0x0
	v_mov_b32_e32 v27, s7
	s_or_b32 s12, vcc_lo, s12
	s_wait_loadcnt 0x0
	v_and_b32_e32 v26, 0xffff, v3
	s_delay_alu instid0(VALU_DEP_1) | instskip(SKIP_1) | instid1(VALU_DEP_1)
	v_lshlrev_b64_e32 v[26:27], s0, v[26:27]
	s_add_nc_u64 s[0:1], s[0:1], 8
	v_or_b32_e32 v23, v27, v23
	s_delay_alu instid0(VALU_DEP_2)
	v_or_b32_e32 v22, v26, v22
	s_and_not1_b32 exec_lo, exec_lo, s12
	s_cbranch_execnz .LBB5_46
; %bb.47:                               ;   in Loop: Header=BB5_3 Depth=1
	s_or_b32 exec_lo, exec_lo, s12
.LBB5_48:                               ;   in Loop: Header=BB5_3 Depth=1
	s_delay_alu instid0(SALU_CYCLE_1)
	s_or_b32 exec_lo, exec_lo, s11
	v_mov_b64_e32 v[26:27], v[24:25]
                                        ; implicit-def: $vgpr0
.LBB5_49:                               ;   in Loop: Header=BB5_3 Depth=1
	s_or_saveexec_b32 s0, s10
	v_mov_b32_e32 v3, 0
	s_xor_b32 exec_lo, exec_lo, s0
	s_cbranch_execz .LBB5_51
; %bb.50:                               ;   in Loop: Header=BB5_3 Depth=1
	global_load_b64 v[22:23], v[24:25], off
	v_add_nc_u32_e32 v3, -8, v0
.LBB5_51:                               ;   in Loop: Header=BB5_3 Depth=1
	s_wait_xcnt 0x0
	s_or_b32 exec_lo, exec_lo, s0
	s_delay_alu instid0(SALU_CYCLE_1) | instskip(NEXT) | instid1(VALU_DEP_1)
	s_mov_b32 s0, exec_lo
	v_cmpx_gt_u32_e32 8, v3
	s_xor_b32 s4, exec_lo, s0
	s_cbranch_execz .LBB5_57
; %bb.52:                               ;   in Loop: Header=BB5_3 Depth=1
	v_mov_b64_e32 v[24:25], 0
	s_mov_b32 s5, exec_lo
	v_cmpx_ne_u32_e32 0, v3
	s_cbranch_execz .LBB5_56
; %bb.53:                               ;   in Loop: Header=BB5_3 Depth=1
	v_mov_b64_e32 v[24:25], 0
	s_mov_b64 s[0:1], 0
	s_mov_b32 s10, 0
.LBB5_54:                               ;   Parent Loop BB5_3 Depth=1
                                        ; =>  This Inner Loop Header: Depth=2
	global_load_u8 v0, v[26:27], off
	v_dual_mov_b32 v29, s7 :: v_dual_add_nc_u32 v3, -1, v3
	s_wait_xcnt 0x0
	v_add_nc_u64_e32 v[26:27], 1, v[26:27]
	s_delay_alu instid0(VALU_DEP_2) | instskip(SKIP_3) | instid1(VALU_DEP_1)
	v_cmp_eq_u32_e32 vcc_lo, 0, v3
	s_or_b32 s10, vcc_lo, s10
	s_wait_loadcnt 0x0
	v_and_b32_e32 v28, 0xffff, v0
	v_lshlrev_b64_e32 v[28:29], s0, v[28:29]
	s_add_nc_u64 s[0:1], s[0:1], 8
	s_delay_alu instid0(VALU_DEP_1) | instskip(NEXT) | instid1(VALU_DEP_2)
	v_or_b32_e32 v25, v29, v25
	v_or_b32_e32 v24, v28, v24
	s_and_not1_b32 exec_lo, exec_lo, s10
	s_cbranch_execnz .LBB5_54
; %bb.55:                               ;   in Loop: Header=BB5_3 Depth=1
	s_or_b32 exec_lo, exec_lo, s10
.LBB5_56:                               ;   in Loop: Header=BB5_3 Depth=1
	s_delay_alu instid0(SALU_CYCLE_1)
	s_or_b32 exec_lo, exec_lo, s5
                                        ; implicit-def: $vgpr26_vgpr27
.LBB5_57:                               ;   in Loop: Header=BB5_3 Depth=1
	s_and_not1_saveexec_b32 s0, s4
	s_cbranch_execz .LBB5_59
; %bb.58:                               ;   in Loop: Header=BB5_3 Depth=1
	global_load_b64 v[24:25], v[26:27], off
.LBB5_59:                               ;   in Loop: Header=BB5_3 Depth=1
	s_wait_xcnt 0x0
	s_or_b32 exec_lo, exec_lo, s0
	v_readfirstlane_b32 s0, v30
	v_mov_b64_e32 v[38:39], 0
	s_delay_alu instid0(VALU_DEP_2)
	v_cmp_eq_u32_e64 s0, s0, v30
	s_and_saveexec_b32 s1, s0
	s_cbranch_execz .LBB5_65
; %bb.60:                               ;   in Loop: Header=BB5_3 Depth=1
	s_wait_kmcnt 0x0
	global_load_b64 v[28:29], v11, s[2:3] offset:24 scope:SCOPE_SYS
	s_wait_loadcnt 0x0
	global_inv scope:SCOPE_SYS
	s_clause 0x1
	global_load_b64 v[26:27], v11, s[2:3] offset:40
	global_load_b64 v[38:39], v11, s[2:3]
	s_mov_b32 s4, exec_lo
	s_wait_loadcnt 0x1
	v_and_b32_e32 v26, v26, v28
	v_and_b32_e32 v27, v27, v29
	s_delay_alu instid0(VALU_DEP_1) | instskip(SKIP_1) | instid1(VALU_DEP_1)
	v_mul_u64_e32 v[26:27], 24, v[26:27]
	s_wait_loadcnt 0x0
	v_add_nc_u64_e32 v[26:27], v[38:39], v[26:27]
	global_load_b64 v[26:27], v[26:27], off scope:SCOPE_SYS
	s_wait_xcnt 0x0
	s_wait_loadcnt 0x0
	global_atomic_cmpswap_b64 v[38:39], v11, v[26:29], s[2:3] offset:24 th:TH_ATOMIC_RETURN scope:SCOPE_SYS
	s_wait_loadcnt 0x0
	global_inv scope:SCOPE_SYS
	s_wait_xcnt 0x0
	v_cmpx_ne_u64_e64 v[38:39], v[28:29]
	s_cbranch_execz .LBB5_64
; %bb.61:                               ;   in Loop: Header=BB5_3 Depth=1
	s_mov_b32 s5, 0
.LBB5_62:                               ;   Parent Loop BB5_3 Depth=1
                                        ; =>  This Inner Loop Header: Depth=2
	s_sleep 1
	s_clause 0x1
	global_load_b64 v[26:27], v11, s[2:3] offset:40
	global_load_b64 v[48:49], v11, s[2:3]
	v_mov_b64_e32 v[28:29], v[38:39]
	s_wait_loadcnt 0x1
	s_delay_alu instid0(VALU_DEP_1) | instskip(SKIP_1) | instid1(VALU_DEP_1)
	v_and_b32_e32 v0, v26, v28
	s_wait_loadcnt 0x0
	v_mad_nc_u64_u32 v[38:39], v0, 24, v[48:49]
	s_delay_alu instid0(VALU_DEP_3) | instskip(NEXT) | instid1(VALU_DEP_1)
	v_and_b32_e32 v0, v27, v29
	v_mad_u32 v39, v0, 24, v39
	global_load_b64 v[26:27], v[38:39], off scope:SCOPE_SYS
	s_wait_xcnt 0x0
	s_wait_loadcnt 0x0
	global_atomic_cmpswap_b64 v[38:39], v11, v[26:29], s[2:3] offset:24 th:TH_ATOMIC_RETURN scope:SCOPE_SYS
	s_wait_loadcnt 0x0
	global_inv scope:SCOPE_SYS
	v_cmp_eq_u64_e32 vcc_lo, v[38:39], v[28:29]
	s_or_b32 s5, vcc_lo, s5
	s_wait_xcnt 0x0
	s_and_not1_b32 exec_lo, exec_lo, s5
	s_cbranch_execnz .LBB5_62
; %bb.63:                               ;   in Loop: Header=BB5_3 Depth=1
	s_or_b32 exec_lo, exec_lo, s5
.LBB5_64:                               ;   in Loop: Header=BB5_3 Depth=1
	s_delay_alu instid0(SALU_CYCLE_1)
	s_or_b32 exec_lo, exec_lo, s4
.LBB5_65:                               ;   in Loop: Header=BB5_3 Depth=1
	s_delay_alu instid0(SALU_CYCLE_1)
	s_or_b32 exec_lo, exec_lo, s1
	s_wait_kmcnt 0x0
	s_clause 0x1
	global_load_b64 v[48:49], v11, s[2:3] offset:40
	global_load_b128 v[26:29], v11, s[2:3]
	v_readfirstlane_b32 s4, v38
	v_readfirstlane_b32 s5, v39
	s_mov_b32 s1, exec_lo
	s_wait_loadcnt 0x1
	v_and_b32_e32 v48, s4, v48
	v_and_b32_e32 v49, s5, v49
	s_delay_alu instid0(VALU_DEP_1) | instskip(SKIP_1) | instid1(VALU_DEP_1)
	v_mul_u64_e32 v[38:39], 24, v[48:49]
	s_wait_loadcnt 0x0
	v_add_nc_u64_e32 v[38:39], v[26:27], v[38:39]
	s_wait_xcnt 0x0
	s_and_saveexec_b32 s10, s0
	s_cbranch_execz .LBB5_67
; %bb.66:                               ;   in Loop: Header=BB5_3 Depth=1
	v_mov_b32_e32 v10, s1
	global_store_b128 v[38:39], v[10:13], off offset:8
.LBB5_67:                               ;   in Loop: Header=BB5_3 Depth=1
	s_wait_xcnt 0x0
	s_or_b32 exec_lo, exec_lo, s10
	v_cmp_gt_u64_e32 vcc_lo, 57, v[4:5]
	v_lshlrev_b64_e32 v[48:49], 12, v[48:49]
	v_and_b32_e32 v3, 0xffffff1f, v6
	v_lshl_add_u32 v6, v36, 2, 28
	v_dual_lshlrev_b32 v10, 6, v30 :: v_dual_cndmask_b32 v0, 0, v32, vcc_lo
	s_delay_alu instid0(VALU_DEP_4) | instskip(NEXT) | instid1(VALU_DEP_2)
	v_add_nc_u64_e32 v[28:29], v[28:29], v[48:49]
	v_or_b32_e32 v0, v3, v0
	s_delay_alu instid0(VALU_DEP_2) | instskip(NEXT) | instid1(VALU_DEP_3)
	v_readfirstlane_b32 s10, v28
	v_readfirstlane_b32 s11, v29
	s_delay_alu instid0(VALU_DEP_3)
	v_and_or_b32 v6, 0x1e0, v6, v0
	s_clause 0x3
	global_store_b128 v10, v[6:9], s[10:11]
	global_store_b128 v10, v[14:17], s[10:11] offset:16
	global_store_b128 v10, v[18:21], s[10:11] offset:32
	;; [unrolled: 1-line block ×3, first 2 shown]
	s_wait_xcnt 0x0
	s_and_saveexec_b32 s1, s0
	s_cbranch_execz .LBB5_75
; %bb.68:                               ;   in Loop: Header=BB5_3 Depth=1
	s_clause 0x1
	global_load_b64 v[18:19], v11, s[2:3] offset:32 scope:SCOPE_SYS
	global_load_b64 v[6:7], v11, s[2:3] offset:40
	s_mov_b32 s10, exec_lo
	v_dual_mov_b32 v16, s4 :: v_dual_mov_b32 v17, s5
	s_wait_loadcnt 0x0
	v_and_b32_e32 v7, s5, v7
	v_and_b32_e32 v6, s4, v6
	s_delay_alu instid0(VALU_DEP_1) | instskip(NEXT) | instid1(VALU_DEP_1)
	v_mul_u64_e32 v[6:7], 24, v[6:7]
	v_add_nc_u64_e32 v[14:15], v[26:27], v[6:7]
	global_store_b64 v[14:15], v[18:19], off
	global_wb scope:SCOPE_SYS
	s_wait_storecnt 0x0
	s_wait_xcnt 0x0
	global_atomic_cmpswap_b64 v[8:9], v11, v[16:19], s[2:3] offset:32 th:TH_ATOMIC_RETURN scope:SCOPE_SYS
	s_wait_loadcnt 0x0
	v_cmpx_ne_u64_e64 v[8:9], v[18:19]
	s_cbranch_execz .LBB5_71
; %bb.69:                               ;   in Loop: Header=BB5_3 Depth=1
	s_mov_b32 s11, 0
.LBB5_70:                               ;   Parent Loop BB5_3 Depth=1
                                        ; =>  This Inner Loop Header: Depth=2
	v_dual_mov_b32 v6, s4 :: v_dual_mov_b32 v7, s5
	s_sleep 1
	global_store_b64 v[14:15], v[8:9], off
	global_wb scope:SCOPE_SYS
	s_wait_storecnt 0x0
	s_wait_xcnt 0x0
	global_atomic_cmpswap_b64 v[6:7], v11, v[6:9], s[2:3] offset:32 th:TH_ATOMIC_RETURN scope:SCOPE_SYS
	s_wait_loadcnt 0x0
	v_cmp_eq_u64_e32 vcc_lo, v[6:7], v[8:9]
	v_mov_b64_e32 v[8:9], v[6:7]
	s_or_b32 s11, vcc_lo, s11
	s_delay_alu instid0(SALU_CYCLE_1)
	s_and_not1_b32 exec_lo, exec_lo, s11
	s_cbranch_execnz .LBB5_70
.LBB5_71:                               ;   in Loop: Header=BB5_3 Depth=1
	s_or_b32 exec_lo, exec_lo, s10
	global_load_b64 v[6:7], v11, s[2:3] offset:16
	s_mov_b32 s11, exec_lo
	s_mov_b32 s10, exec_lo
	v_mbcnt_lo_u32_b32 v0, s11, 0
	s_wait_xcnt 0x0
	s_delay_alu instid0(VALU_DEP_1)
	v_cmpx_eq_u32_e32 0, v0
	s_cbranch_execz .LBB5_73
; %bb.72:                               ;   in Loop: Header=BB5_3 Depth=1
	s_bcnt1_i32_b32 s11, s11
	s_delay_alu instid0(SALU_CYCLE_1)
	v_dual_mov_b32 v9, v11 :: v_dual_mov_b32 v8, s11
	global_wb scope:SCOPE_SYS
	s_wait_loadcnt 0x0
	s_wait_storecnt 0x0
	global_atomic_add_u64 v[6:7], v[8:9], off offset:8 scope:SCOPE_SYS
.LBB5_73:                               ;   in Loop: Header=BB5_3 Depth=1
	s_wait_xcnt 0x0
	s_or_b32 exec_lo, exec_lo, s10
	s_wait_loadcnt 0x0
	global_load_b64 v[8:9], v[6:7], off offset:16
	s_wait_loadcnt 0x0
	v_cmp_eq_u64_e32 vcc_lo, 0, v[8:9]
	s_cbranch_vccnz .LBB5_75
; %bb.74:                               ;   in Loop: Header=BB5_3 Depth=1
	global_load_b32 v6, v[6:7], off offset:24
	s_wait_xcnt 0x0
	v_mov_b32_e32 v7, v11
	s_wait_loadcnt 0x0
	v_readfirstlane_b32 s10, v6
	global_wb scope:SCOPE_SYS
	s_wait_storecnt 0x0
	global_store_b64 v[8:9], v[6:7], off scope:SCOPE_SYS
	s_and_b32 m0, s10, 0xffffff
	s_sendmsg sendmsg(MSG_INTERRUPT)
.LBB5_75:                               ;   in Loop: Header=BB5_3 Depth=1
	s_wait_xcnt 0x0
	s_or_b32 exec_lo, exec_lo, s1
	v_add_nc_u64_e32 v[6:7], v[28:29], v[10:11]
	s_branch .LBB5_79
.LBB5_76:                               ;   in Loop: Header=BB5_79 Depth=2
	s_wait_xcnt 0x0
	s_or_b32 exec_lo, exec_lo, s1
	s_delay_alu instid0(VALU_DEP_1)
	v_readfirstlane_b32 s1, v0
	s_cmp_eq_u32 s1, 0
	s_cbranch_scc1 .LBB5_78
; %bb.77:                               ;   in Loop: Header=BB5_79 Depth=2
	s_sleep 1
	s_cbranch_execnz .LBB5_79
	s_branch .LBB5_81
.LBB5_78:                               ;   in Loop: Header=BB5_3 Depth=1
	s_branch .LBB5_81
.LBB5_79:                               ;   Parent Loop BB5_3 Depth=1
                                        ; =>  This Inner Loop Header: Depth=2
	v_mov_b32_e32 v0, 1
	s_and_saveexec_b32 s1, s0
	s_cbranch_execz .LBB5_76
; %bb.80:                               ;   in Loop: Header=BB5_79 Depth=2
	global_load_b32 v0, v[38:39], off offset:20 scope:SCOPE_SYS
	s_wait_loadcnt 0x0
	global_inv scope:SCOPE_SYS
	v_and_b32_e32 v0, 1, v0
	s_branch .LBB5_76
.LBB5_81:                               ;   in Loop: Header=BB5_3 Depth=1
	global_load_b64 v[6:7], v[6:7], off
	s_wait_xcnt 0x0
	s_and_saveexec_b32 s10, s0
	s_cbranch_execz .LBB5_2
; %bb.82:                               ;   in Loop: Header=BB5_3 Depth=1
	s_clause 0x2
	global_load_b64 v[8:9], v11, s[2:3] offset:40
	global_load_b64 v[18:19], v11, s[2:3] offset:24 scope:SCOPE_SYS
	global_load_b64 v[14:15], v11, s[2:3]
	s_wait_loadcnt 0x2
	v_readfirstlane_b32 s12, v8
	v_readfirstlane_b32 s13, v9
	s_add_nc_u64 s[0:1], s[12:13], 1
	s_delay_alu instid0(SALU_CYCLE_1) | instskip(NEXT) | instid1(SALU_CYCLE_1)
	s_add_nc_u64 s[4:5], s[0:1], s[4:5]
	s_cmp_eq_u64 s[4:5], 0
	s_cselect_b32 s1, s1, s5
	s_cselect_b32 s0, s0, s4
	s_delay_alu instid0(SALU_CYCLE_1) | instskip(SKIP_1) | instid1(SALU_CYCLE_1)
	v_dual_mov_b32 v17, s1 :: v_dual_mov_b32 v16, s0
	s_and_b64 s[4:5], s[0:1], s[12:13]
	s_mul_u64 s[4:5], s[4:5], 24
	s_wait_loadcnt 0x0
	v_add_nc_u64_e32 v[8:9], s[4:5], v[14:15]
	global_store_b64 v[8:9], v[18:19], off
	global_wb scope:SCOPE_SYS
	s_wait_storecnt 0x0
	s_wait_xcnt 0x0
	global_atomic_cmpswap_b64 v[16:17], v11, v[16:19], s[2:3] offset:24 th:TH_ATOMIC_RETURN scope:SCOPE_SYS
	s_wait_loadcnt 0x0
	v_cmp_ne_u64_e32 vcc_lo, v[16:17], v[18:19]
	s_and_b32 exec_lo, exec_lo, vcc_lo
	s_cbranch_execz .LBB5_2
; %bb.83:                               ;   in Loop: Header=BB5_3 Depth=1
	s_mov_b32 s4, 0
.LBB5_84:                               ;   Parent Loop BB5_3 Depth=1
                                        ; =>  This Inner Loop Header: Depth=2
	v_dual_mov_b32 v14, s0 :: v_dual_mov_b32 v15, s1
	s_sleep 1
	global_store_b64 v[8:9], v[16:17], off
	global_wb scope:SCOPE_SYS
	s_wait_storecnt 0x0
	s_wait_xcnt 0x0
	global_atomic_cmpswap_b64 v[14:15], v11, v[14:17], s[2:3] offset:24 th:TH_ATOMIC_RETURN scope:SCOPE_SYS
	s_wait_loadcnt 0x0
	v_cmp_eq_u64_e32 vcc_lo, v[14:15], v[16:17]
	v_mov_b64_e32 v[16:17], v[14:15]
	s_or_b32 s4, vcc_lo, s4
	s_delay_alu instid0(SALU_CYCLE_1)
	s_and_not1_b32 exec_lo, exec_lo, s4
	s_cbranch_execnz .LBB5_84
	s_branch .LBB5_2
.LBB5_85:
	s_or_b32 exec_lo, exec_lo, s6
.LBB5_86:
	s_wait_loadcnt 0x0
	v_dual_mov_b32 v0, v6 :: v_dual_mov_b32 v1, v7
	s_wait_kmcnt 0x0
	s_set_pc_i64 s[30:31]
.LBB5_87:
                                        ; implicit-def: $vgpr6_vgpr7
	s_cbranch_execz .LBB5_86
; %bb.88:
	s_load_b64 s[2:3], s[8:9], 0x50
	v_readfirstlane_b32 s0, v30
	s_wait_loadcnt 0x0
	v_mov_b64_e32 v[6:7], 0
	s_delay_alu instid0(VALU_DEP_2)
	v_cmp_eq_u32_e64 s0, s0, v30
	s_and_saveexec_b32 s1, s0
	s_cbranch_execz .LBB5_94
; %bb.89:
	v_mov_b32_e32 v0, 0
	s_mov_b32 s4, exec_lo
	s_wait_kmcnt 0x0
	global_load_b64 v[8:9], v0, s[2:3] offset:24 scope:SCOPE_SYS
	s_wait_loadcnt 0x0
	global_inv scope:SCOPE_SYS
	s_clause 0x1
	global_load_b64 v[4:5], v0, s[2:3] offset:40
	global_load_b64 v[6:7], v0, s[2:3]
	s_wait_loadcnt 0x1
	v_and_b32_e32 v4, v4, v8
	v_and_b32_e32 v5, v5, v9
	s_delay_alu instid0(VALU_DEP_1) | instskip(SKIP_1) | instid1(VALU_DEP_1)
	v_mul_u64_e32 v[4:5], 24, v[4:5]
	s_wait_loadcnt 0x0
	v_add_nc_u64_e32 v[4:5], v[6:7], v[4:5]
	global_load_b64 v[6:7], v[4:5], off scope:SCOPE_SYS
	s_wait_xcnt 0x0
	s_wait_loadcnt 0x0
	global_atomic_cmpswap_b64 v[6:7], v0, v[6:9], s[2:3] offset:24 th:TH_ATOMIC_RETURN scope:SCOPE_SYS
	s_wait_loadcnt 0x0
	global_inv scope:SCOPE_SYS
	s_wait_xcnt 0x0
	v_cmpx_ne_u64_e64 v[6:7], v[8:9]
	s_cbranch_execz .LBB5_93
; %bb.90:
	s_mov_b32 s5, 0
.LBB5_91:                               ; =>This Inner Loop Header: Depth=1
	s_sleep 1
	s_clause 0x1
	global_load_b64 v[4:5], v0, s[2:3] offset:40
	global_load_b64 v[10:11], v0, s[2:3]
	v_mov_b64_e32 v[8:9], v[6:7]
	s_wait_loadcnt 0x1
	s_delay_alu instid0(VALU_DEP_1) | instskip(SKIP_1) | instid1(VALU_DEP_1)
	v_and_b32_e32 v3, v4, v8
	s_wait_loadcnt 0x0
	v_mad_nc_u64_u32 v[6:7], v3, 24, v[10:11]
	s_delay_alu instid0(VALU_DEP_3) | instskip(NEXT) | instid1(VALU_DEP_1)
	v_and_b32_e32 v3, v5, v9
	v_mad_u32 v7, v3, 24, v7
	global_load_b64 v[6:7], v[6:7], off scope:SCOPE_SYS
	s_wait_xcnt 0x0
	s_wait_loadcnt 0x0
	global_atomic_cmpswap_b64 v[6:7], v0, v[6:9], s[2:3] offset:24 th:TH_ATOMIC_RETURN scope:SCOPE_SYS
	s_wait_loadcnt 0x0
	global_inv scope:SCOPE_SYS
	v_cmp_eq_u64_e32 vcc_lo, v[6:7], v[8:9]
	s_or_b32 s5, vcc_lo, s5
	s_wait_xcnt 0x0
	s_and_not1_b32 exec_lo, exec_lo, s5
	s_cbranch_execnz .LBB5_91
; %bb.92:
	s_or_b32 exec_lo, exec_lo, s5
.LBB5_93:
	s_delay_alu instid0(SALU_CYCLE_1)
	s_or_b32 exec_lo, exec_lo, s4
.LBB5_94:
	s_delay_alu instid0(SALU_CYCLE_1)
	s_or_b32 exec_lo, exec_lo, s1
	v_readfirstlane_b32 s4, v6
	v_mov_b32_e32 v5, 0
	v_readfirstlane_b32 s5, v7
	s_mov_b32 s1, exec_lo
	s_wait_kmcnt 0x0
	s_clause 0x1
	global_load_b64 v[12:13], v5, s[2:3] offset:40
	global_load_b128 v[8:11], v5, s[2:3]
	s_wait_loadcnt 0x1
	v_and_b32_e32 v14, s4, v12
	v_and_b32_e32 v15, s5, v13
	s_delay_alu instid0(VALU_DEP_1) | instskip(SKIP_1) | instid1(VALU_DEP_1)
	v_mul_u64_e32 v[6:7], 24, v[14:15]
	s_wait_loadcnt 0x0
	v_add_nc_u64_e32 v[12:13], v[8:9], v[6:7]
	s_wait_xcnt 0x0
	s_and_saveexec_b32 s6, s0
	s_cbranch_execz .LBB5_96
; %bb.95:
	v_mov_b64_e32 v[6:7], 0x100000002
	v_mov_b32_e32 v4, s1
	global_store_b128 v[12:13], v[4:7], off offset:8
.LBB5_96:
	s_wait_xcnt 0x0
	s_or_b32 exec_lo, exec_lo, s6
	v_lshlrev_b64_e32 v[6:7], 12, v[14:15]
	s_mov_b32 s8, 0
	v_and_or_b32 v0, 0xffffff1f, v2, 32
	s_mov_b32 s10, s8
	s_mov_b32 s11, s8
	s_mov_b32 s9, s8
	v_mov_b64_e32 v[16:17], s[10:11]
	v_add_nc_u64_e32 v[6:7], v[10:11], v[6:7]
	v_mov_b64_e32 v[14:15], s[8:9]
	v_dual_lshlrev_b32 v4, 6, v30 :: v_dual_mov_b32 v2, v5
	v_mov_b32_e32 v3, v5
	s_delay_alu instid0(VALU_DEP_4)
	v_readfirstlane_b32 s6, v6
	v_readfirstlane_b32 s7, v7
	s_clause 0x3
	global_store_b128 v4, v[0:3], s[6:7]
	global_store_b128 v4, v[14:17], s[6:7] offset:16
	global_store_b128 v4, v[14:17], s[6:7] offset:32
	;; [unrolled: 1-line block ×3, first 2 shown]
	s_wait_xcnt 0x0
	s_and_saveexec_b32 s1, s0
	s_cbranch_execz .LBB5_104
; %bb.97:
	v_dual_mov_b32 v10, 0 :: v_dual_mov_b32 v15, s5
	s_mov_b32 s6, exec_lo
	s_clause 0x1
	global_load_b64 v[16:17], v10, s[2:3] offset:32 scope:SCOPE_SYS
	global_load_b64 v[0:1], v10, s[2:3] offset:40
	s_wait_loadcnt 0x0
	v_dual_mov_b32 v14, s4 :: v_dual_bitop2_b32 v1, s5, v1 bitop3:0x40
	v_and_b32_e32 v0, s4, v0
	s_delay_alu instid0(VALU_DEP_1) | instskip(NEXT) | instid1(VALU_DEP_1)
	v_mul_u64_e32 v[0:1], 24, v[0:1]
	v_add_nc_u64_e32 v[8:9], v[8:9], v[0:1]
	global_store_b64 v[8:9], v[16:17], off
	global_wb scope:SCOPE_SYS
	s_wait_storecnt 0x0
	s_wait_xcnt 0x0
	global_atomic_cmpswap_b64 v[2:3], v10, v[14:17], s[2:3] offset:32 th:TH_ATOMIC_RETURN scope:SCOPE_SYS
	s_wait_loadcnt 0x0
	v_cmpx_ne_u64_e64 v[2:3], v[16:17]
	s_cbranch_execz .LBB5_100
; %bb.98:
	s_mov_b32 s7, 0
.LBB5_99:                               ; =>This Inner Loop Header: Depth=1
	v_dual_mov_b32 v0, s4 :: v_dual_mov_b32 v1, s5
	s_sleep 1
	global_store_b64 v[8:9], v[2:3], off
	global_wb scope:SCOPE_SYS
	s_wait_storecnt 0x0
	s_wait_xcnt 0x0
	global_atomic_cmpswap_b64 v[0:1], v10, v[0:3], s[2:3] offset:32 th:TH_ATOMIC_RETURN scope:SCOPE_SYS
	s_wait_loadcnt 0x0
	v_cmp_eq_u64_e32 vcc_lo, v[0:1], v[2:3]
	v_mov_b64_e32 v[2:3], v[0:1]
	s_or_b32 s7, vcc_lo, s7
	s_delay_alu instid0(SALU_CYCLE_1)
	s_and_not1_b32 exec_lo, exec_lo, s7
	s_cbranch_execnz .LBB5_99
.LBB5_100:
	s_or_b32 exec_lo, exec_lo, s6
	v_mov_b32_e32 v3, 0
	s_mov_b32 s7, exec_lo
	s_mov_b32 s6, exec_lo
	v_mbcnt_lo_u32_b32 v2, s7, 0
	global_load_b64 v[0:1], v3, s[2:3] offset:16
	s_wait_xcnt 0x0
	v_cmpx_eq_u32_e32 0, v2
	s_cbranch_execz .LBB5_102
; %bb.101:
	s_bcnt1_i32_b32 s7, s7
	s_delay_alu instid0(SALU_CYCLE_1)
	v_mov_b32_e32 v2, s7
	global_wb scope:SCOPE_SYS
	s_wait_loadcnt 0x0
	s_wait_storecnt 0x0
	global_atomic_add_u64 v[0:1], v[2:3], off offset:8 scope:SCOPE_SYS
.LBB5_102:
	s_wait_xcnt 0x0
	s_or_b32 exec_lo, exec_lo, s6
	s_wait_loadcnt 0x0
	global_load_b64 v[2:3], v[0:1], off offset:16
	s_wait_loadcnt 0x0
	v_cmp_eq_u64_e32 vcc_lo, 0, v[2:3]
	s_cbranch_vccnz .LBB5_104
; %bb.103:
	global_load_b32 v0, v[0:1], off offset:24
	s_wait_xcnt 0x0
	v_mov_b32_e32 v1, 0
	s_wait_loadcnt 0x0
	v_readfirstlane_b32 s6, v0
	global_wb scope:SCOPE_SYS
	s_wait_storecnt 0x0
	global_store_b64 v[2:3], v[0:1], off scope:SCOPE_SYS
	s_and_b32 m0, s6, 0xffffff
	s_sendmsg sendmsg(MSG_INTERRUPT)
.LBB5_104:
	s_wait_xcnt 0x0
	s_or_b32 exec_lo, exec_lo, s1
	v_add_nc_u64_e32 v[0:1], v[6:7], v[4:5]
	s_branch .LBB5_108
.LBB5_105:                              ;   in Loop: Header=BB5_108 Depth=1
	s_wait_xcnt 0x0
	s_or_b32 exec_lo, exec_lo, s1
	s_delay_alu instid0(VALU_DEP_1)
	v_readfirstlane_b32 s1, v2
	s_cmp_eq_u32 s1, 0
	s_cbranch_scc1 .LBB5_107
; %bb.106:                              ;   in Loop: Header=BB5_108 Depth=1
	s_sleep 1
	s_cbranch_execnz .LBB5_108
	s_branch .LBB5_110
.LBB5_107:
	s_branch .LBB5_110
.LBB5_108:                              ; =>This Inner Loop Header: Depth=1
	v_mov_b32_e32 v2, 1
	s_and_saveexec_b32 s1, s0
	s_cbranch_execz .LBB5_105
; %bb.109:                              ;   in Loop: Header=BB5_108 Depth=1
	global_load_b32 v2, v[12:13], off offset:20 scope:SCOPE_SYS
	s_wait_loadcnt 0x0
	global_inv scope:SCOPE_SYS
	v_and_b32_e32 v2, 1, v2
	s_branch .LBB5_105
.LBB5_110:
	global_load_b64 v[6:7], v[0:1], off
	s_wait_xcnt 0x0
	s_and_saveexec_b32 s6, s0
	s_cbranch_execz .LBB5_114
; %bb.111:
	v_mov_b32_e32 v8, 0
	s_clause 0x2
	global_load_b64 v[0:1], v8, s[2:3] offset:40
	global_load_b64 v[12:13], v8, s[2:3] offset:24 scope:SCOPE_SYS
	global_load_b64 v[2:3], v8, s[2:3]
	s_wait_loadcnt 0x2
	v_readfirstlane_b32 s8, v0
	v_readfirstlane_b32 s9, v1
	s_add_nc_u64 s[0:1], s[8:9], 1
	s_delay_alu instid0(SALU_CYCLE_1) | instskip(NEXT) | instid1(SALU_CYCLE_1)
	s_add_nc_u64 s[4:5], s[0:1], s[4:5]
	s_cmp_eq_u64 s[4:5], 0
	s_cselect_b32 s1, s1, s5
	s_cselect_b32 s0, s0, s4
	v_mov_b32_e32 v11, s1
	s_and_b64 s[4:5], s[0:1], s[8:9]
	v_mov_b32_e32 v10, s0
	s_mul_u64 s[4:5], s[4:5], 24
	s_wait_loadcnt 0x0
	v_add_nc_u64_e32 v[4:5], s[4:5], v[2:3]
	global_store_b64 v[4:5], v[12:13], off
	global_wb scope:SCOPE_SYS
	s_wait_storecnt 0x0
	s_wait_xcnt 0x0
	global_atomic_cmpswap_b64 v[2:3], v8, v[10:13], s[2:3] offset:24 th:TH_ATOMIC_RETURN scope:SCOPE_SYS
	s_wait_loadcnt 0x0
	v_cmp_ne_u64_e32 vcc_lo, v[2:3], v[12:13]
	s_and_b32 exec_lo, exec_lo, vcc_lo
	s_cbranch_execz .LBB5_114
; %bb.112:
	s_mov_b32 s4, 0
.LBB5_113:                              ; =>This Inner Loop Header: Depth=1
	v_dual_mov_b32 v0, s0 :: v_dual_mov_b32 v1, s1
	s_sleep 1
	global_store_b64 v[4:5], v[2:3], off
	global_wb scope:SCOPE_SYS
	s_wait_storecnt 0x0
	s_wait_xcnt 0x0
	global_atomic_cmpswap_b64 v[0:1], v8, v[0:3], s[2:3] offset:24 th:TH_ATOMIC_RETURN scope:SCOPE_SYS
	s_wait_loadcnt 0x0
	v_cmp_eq_u64_e32 vcc_lo, v[0:1], v[2:3]
	v_mov_b64_e32 v[2:3], v[0:1]
	s_or_b32 s4, vcc_lo, s4
	s_delay_alu instid0(SALU_CYCLE_1)
	s_and_not1_b32 exec_lo, exec_lo, s4
	s_cbranch_execnz .LBB5_113
.LBB5_114:
	s_or_b32 exec_lo, exec_lo, s6
	s_wait_loadcnt 0x0
	v_dual_mov_b32 v0, v6 :: v_dual_mov_b32 v1, v7
	s_wait_kmcnt 0x0
	s_set_pc_i64 s[30:31]
.Lfunc_end5:
	.size	__ockl_printf_append_string_n, .Lfunc_end5-__ockl_printf_append_string_n
                                        ; -- End function
	.set .L__ockl_printf_append_string_n.num_vgpr, 50
	.set .L__ockl_printf_append_string_n.num_agpr, 0
	.set .L__ockl_printf_append_string_n.numbered_sgpr, 32
	.set .L__ockl_printf_append_string_n.num_named_barrier, 0
	.set .L__ockl_printf_append_string_n.private_seg_size, 0
	.set .L__ockl_printf_append_string_n.uses_vcc, 1
	.set .L__ockl_printf_append_string_n.uses_flat_scratch, 0
	.set .L__ockl_printf_append_string_n.has_dyn_sized_stack, 0
	.set .L__ockl_printf_append_string_n.has_recursion, 0
	.set .L__ockl_printf_append_string_n.has_indirect_call, 0
	.section	.AMDGPU.csdata,"",@progbits
; Function info:
; codeLenInByte = 4348
; TotalNumSgprs: 34
; NumVgprs: 50
; ScratchSize: 0
; MemoryBound: 0
	.text
	.p2align	2                               ; -- Begin function __ockl_printf_append_args
	.type	__ockl_printf_append_args,@function
__ockl_printf_append_args:              ; @__ockl_printf_append_args
; %bb.0:
	s_wait_loadcnt_dscnt 0x0
	s_wait_kmcnt 0x0
	s_load_b64 s[2:3], s[8:9], 0x50
	v_mbcnt_lo_u32_b32 v5, -1, 0
	v_mov_b64_e32 v[12:13], 0
	s_delay_alu instid0(VALU_DEP_2) | instskip(NEXT) | instid1(VALU_DEP_1)
	v_readfirstlane_b32 s0, v5
	v_cmp_eq_u32_e64 s0, s0, v5
	s_and_saveexec_b32 s1, s0
	s_cbranch_execz .LBB6_6
; %bb.1:
	v_mov_b32_e32 v6, 0
	s_mov_b32 s4, exec_lo
	s_wait_kmcnt 0x0
	global_load_b64 v[10:11], v6, s[2:3] offset:24 scope:SCOPE_SYS
	s_wait_loadcnt 0x0
	global_inv scope:SCOPE_SYS
	s_clause 0x1
	global_load_b64 v[8:9], v6, s[2:3] offset:40
	global_load_b64 v[12:13], v6, s[2:3]
	s_wait_loadcnt 0x1
	v_and_b32_e32 v8, v8, v10
	v_and_b32_e32 v9, v9, v11
	s_delay_alu instid0(VALU_DEP_1) | instskip(SKIP_1) | instid1(VALU_DEP_1)
	v_mul_u64_e32 v[8:9], 24, v[8:9]
	s_wait_loadcnt 0x0
	v_add_nc_u64_e32 v[8:9], v[12:13], v[8:9]
	global_load_b64 v[8:9], v[8:9], off scope:SCOPE_SYS
	s_wait_xcnt 0x0
	s_wait_loadcnt 0x0
	global_atomic_cmpswap_b64 v[12:13], v6, v[8:11], s[2:3] offset:24 th:TH_ATOMIC_RETURN scope:SCOPE_SYS
	s_wait_loadcnt 0x0
	global_inv scope:SCOPE_SYS
	s_wait_xcnt 0x0
	v_cmpx_ne_u64_e64 v[12:13], v[10:11]
	s_cbranch_execz .LBB6_5
; %bb.2:
	s_mov_b32 s5, 0
.LBB6_3:                                ; =>This Inner Loop Header: Depth=1
	s_sleep 1
	s_clause 0x1
	global_load_b64 v[8:9], v6, s[2:3] offset:40
	global_load_b64 v[14:15], v6, s[2:3]
	v_mov_b64_e32 v[10:11], v[12:13]
	s_wait_loadcnt 0x1
	s_delay_alu instid0(VALU_DEP_1) | instskip(SKIP_1) | instid1(VALU_DEP_1)
	v_and_b32_e32 v7, v8, v10
	s_wait_loadcnt 0x0
	v_mad_nc_u64_u32 v[12:13], v7, 24, v[14:15]
	s_delay_alu instid0(VALU_DEP_3) | instskip(NEXT) | instid1(VALU_DEP_1)
	v_and_b32_e32 v7, v9, v11
	v_mad_u32 v13, v7, 24, v13
	global_load_b64 v[8:9], v[12:13], off scope:SCOPE_SYS
	s_wait_xcnt 0x0
	s_wait_loadcnt 0x0
	global_atomic_cmpswap_b64 v[12:13], v6, v[8:11], s[2:3] offset:24 th:TH_ATOMIC_RETURN scope:SCOPE_SYS
	s_wait_loadcnt 0x0
	global_inv scope:SCOPE_SYS
	v_cmp_eq_u64_e32 vcc_lo, v[12:13], v[10:11]
	s_or_b32 s5, vcc_lo, s5
	s_wait_xcnt 0x0
	s_and_not1_b32 exec_lo, exec_lo, s5
	s_cbranch_execnz .LBB6_3
; %bb.4:
	s_or_b32 exec_lo, exec_lo, s5
.LBB6_5:
	s_delay_alu instid0(SALU_CYCLE_1)
	s_or_b32 exec_lo, exec_lo, s4
.LBB6_6:
	s_delay_alu instid0(SALU_CYCLE_1)
	s_or_b32 exec_lo, exec_lo, s1
	v_readfirstlane_b32 s4, v12
	v_mov_b32_e32 v11, 0
	v_readfirstlane_b32 s5, v13
	s_mov_b32 s1, exec_lo
	s_wait_kmcnt 0x0
	s_clause 0x1
	global_load_b64 v[14:15], v11, s[2:3] offset:40
	global_load_b128 v[6:9], v11, s[2:3]
	s_wait_loadcnt 0x1
	v_and_b32_e32 v16, s4, v14
	v_and_b32_e32 v17, s5, v15
	s_delay_alu instid0(VALU_DEP_1) | instskip(SKIP_1) | instid1(VALU_DEP_1)
	v_mul_u64_e32 v[12:13], 24, v[16:17]
	s_wait_loadcnt 0x0
	v_add_nc_u64_e32 v[14:15], v[6:7], v[12:13]
	s_wait_xcnt 0x0
	s_and_saveexec_b32 s6, s0
	s_cbranch_execz .LBB6_8
; %bb.7:
	v_mov_b64_e32 v[12:13], 0x100000002
	v_mov_b32_e32 v10, s1
	global_store_b128 v[14:15], v[10:13], off offset:8
.LBB6_8:
	s_wait_xcnt 0x0
	s_or_b32 exec_lo, exec_lo, s6
	v_lshlrev_b64_e32 v[10:11], 12, v[16:17]
	v_or_b32_e32 v12, 2, v0
	v_cmp_eq_u32_e32 vcc_lo, 0, v4
	s_mov_b32 s8, 0
	v_lshlrev_b32_e32 v4, 6, v5
	s_mov_b32 s9, s8
	s_mov_b32 s10, s8
	v_add_nc_u64_e32 v[8:9], v[8:9], v[10:11]
	v_cndmask_b32_e32 v0, v12, v0, vcc_lo
	s_mov_b32 s11, s8
	s_delay_alu instid0(VALU_DEP_1) | instskip(NEXT) | instid1(VALU_DEP_3)
	v_and_or_b32 v0, 0xffffff1f, v0, 32
	v_readfirstlane_b32 s6, v8
	s_delay_alu instid0(VALU_DEP_4)
	v_readfirstlane_b32 s7, v9
	v_mov_b64_e32 v[8:9], s[8:9]
	v_mov_b64_e32 v[10:11], s[10:11]
	s_clause 0x3
	global_store_b128 v4, v[0:3], s[6:7]
	global_store_b128 v4, v[8:11], s[6:7] offset:16
	global_store_b128 v4, v[8:11], s[6:7] offset:32
	;; [unrolled: 1-line block ×3, first 2 shown]
	s_wait_xcnt 0x0
	s_and_saveexec_b32 s1, s0
	s_cbranch_execz .LBB6_16
; %bb.9:
	v_dual_mov_b32 v8, 0 :: v_dual_mov_b32 v11, s5
	s_mov_b32 s6, exec_lo
	s_clause 0x1
	global_load_b64 v[12:13], v8, s[2:3] offset:32 scope:SCOPE_SYS
	global_load_b64 v[0:1], v8, s[2:3] offset:40
	s_wait_loadcnt 0x0
	v_dual_mov_b32 v10, s4 :: v_dual_bitop2_b32 v1, s5, v1 bitop3:0x40
	v_and_b32_e32 v0, s4, v0
	s_delay_alu instid0(VALU_DEP_1) | instskip(NEXT) | instid1(VALU_DEP_1)
	v_mul_u64_e32 v[0:1], 24, v[0:1]
	v_add_nc_u64_e32 v[4:5], v[6:7], v[0:1]
	global_store_b64 v[4:5], v[12:13], off
	global_wb scope:SCOPE_SYS
	s_wait_storecnt 0x0
	s_wait_xcnt 0x0
	global_atomic_cmpswap_b64 v[2:3], v8, v[10:13], s[2:3] offset:32 th:TH_ATOMIC_RETURN scope:SCOPE_SYS
	s_wait_loadcnt 0x0
	v_cmpx_ne_u64_e64 v[2:3], v[12:13]
	s_cbranch_execz .LBB6_12
; %bb.10:
	s_mov_b32 s7, 0
.LBB6_11:                               ; =>This Inner Loop Header: Depth=1
	v_dual_mov_b32 v0, s4 :: v_dual_mov_b32 v1, s5
	s_sleep 1
	global_store_b64 v[4:5], v[2:3], off
	global_wb scope:SCOPE_SYS
	s_wait_storecnt 0x0
	s_wait_xcnt 0x0
	global_atomic_cmpswap_b64 v[0:1], v8, v[0:3], s[2:3] offset:32 th:TH_ATOMIC_RETURN scope:SCOPE_SYS
	s_wait_loadcnt 0x0
	v_cmp_eq_u64_e32 vcc_lo, v[0:1], v[2:3]
	v_mov_b64_e32 v[2:3], v[0:1]
	s_or_b32 s7, vcc_lo, s7
	s_delay_alu instid0(SALU_CYCLE_1)
	s_and_not1_b32 exec_lo, exec_lo, s7
	s_cbranch_execnz .LBB6_11
.LBB6_12:
	s_or_b32 exec_lo, exec_lo, s6
	v_mov_b32_e32 v3, 0
	s_mov_b32 s7, exec_lo
	s_mov_b32 s6, exec_lo
	v_mbcnt_lo_u32_b32 v2, s7, 0
	global_load_b64 v[0:1], v3, s[2:3] offset:16
	s_wait_xcnt 0x0
	v_cmpx_eq_u32_e32 0, v2
	s_cbranch_execz .LBB6_14
; %bb.13:
	s_bcnt1_i32_b32 s7, s7
	s_delay_alu instid0(SALU_CYCLE_1)
	v_mov_b32_e32 v2, s7
	global_wb scope:SCOPE_SYS
	s_wait_loadcnt 0x0
	s_wait_storecnt 0x0
	global_atomic_add_u64 v[0:1], v[2:3], off offset:8 scope:SCOPE_SYS
.LBB6_14:
	s_wait_xcnt 0x0
	s_or_b32 exec_lo, exec_lo, s6
	s_wait_loadcnt 0x0
	global_load_b64 v[2:3], v[0:1], off offset:16
	s_wait_loadcnt 0x0
	v_cmp_eq_u64_e32 vcc_lo, 0, v[2:3]
	s_cbranch_vccnz .LBB6_16
; %bb.15:
	global_load_b32 v0, v[0:1], off offset:24
	s_wait_xcnt 0x0
	v_mov_b32_e32 v1, 0
	s_wait_loadcnt 0x0
	v_readfirstlane_b32 s6, v0
	global_wb scope:SCOPE_SYS
	s_wait_storecnt 0x0
	global_store_b64 v[2:3], v[0:1], off scope:SCOPE_SYS
	s_and_b32 m0, s6, 0xffffff
	s_sendmsg sendmsg(MSG_INTERRUPT)
.LBB6_16:
	s_wait_xcnt 0x0
	s_or_b32 exec_lo, exec_lo, s1
	s_branch .LBB6_20
.LBB6_17:                               ;   in Loop: Header=BB6_20 Depth=1
	s_wait_xcnt 0x0
	s_or_b32 exec_lo, exec_lo, s1
	s_delay_alu instid0(VALU_DEP_1)
	v_readfirstlane_b32 s1, v0
	s_cmp_eq_u32 s1, 0
	s_cbranch_scc1 .LBB6_19
; %bb.18:                               ;   in Loop: Header=BB6_20 Depth=1
	s_sleep 1
	s_cbranch_execnz .LBB6_20
	s_branch .LBB6_22
.LBB6_19:
	s_branch .LBB6_22
.LBB6_20:                               ; =>This Inner Loop Header: Depth=1
	v_mov_b32_e32 v0, 1
	s_and_saveexec_b32 s1, s0
	s_cbranch_execz .LBB6_17
; %bb.21:                               ;   in Loop: Header=BB6_20 Depth=1
	global_load_b32 v0, v[14:15], off offset:20 scope:SCOPE_SYS
	s_wait_loadcnt 0x0
	global_inv scope:SCOPE_SYS
	v_and_b32_e32 v0, 1, v0
	s_branch .LBB6_17
.LBB6_22:
	s_and_saveexec_b32 s6, s0
	s_cbranch_execz .LBB6_26
; %bb.23:
	v_mov_b32_e32 v6, 0
	s_clause 0x2
	global_load_b64 v[0:1], v6, s[2:3] offset:40
	global_load_b64 v[10:11], v6, s[2:3] offset:24 scope:SCOPE_SYS
	global_load_b64 v[2:3], v6, s[2:3]
	s_wait_loadcnt 0x2
	v_readfirstlane_b32 s8, v0
	v_readfirstlane_b32 s9, v1
	s_add_nc_u64 s[0:1], s[8:9], 1
	s_delay_alu instid0(SALU_CYCLE_1) | instskip(NEXT) | instid1(SALU_CYCLE_1)
	s_add_nc_u64 s[4:5], s[0:1], s[4:5]
	s_cmp_eq_u64 s[4:5], 0
	s_cselect_b32 s1, s1, s5
	s_cselect_b32 s0, s0, s4
	v_mov_b32_e32 v9, s1
	s_and_b64 s[4:5], s[0:1], s[8:9]
	v_mov_b32_e32 v8, s0
	s_mul_u64 s[4:5], s[4:5], 24
	s_wait_loadcnt 0x0
	v_add_nc_u64_e32 v[4:5], s[4:5], v[2:3]
	global_store_b64 v[4:5], v[10:11], off
	global_wb scope:SCOPE_SYS
	s_wait_storecnt 0x0
	s_wait_xcnt 0x0
	global_atomic_cmpswap_b64 v[2:3], v6, v[8:11], s[2:3] offset:24 th:TH_ATOMIC_RETURN scope:SCOPE_SYS
	s_wait_loadcnt 0x0
	v_cmp_ne_u64_e32 vcc_lo, v[2:3], v[10:11]
	s_and_b32 exec_lo, exec_lo, vcc_lo
	s_cbranch_execz .LBB6_26
; %bb.24:
	s_mov_b32 s4, 0
.LBB6_25:                               ; =>This Inner Loop Header: Depth=1
	v_dual_mov_b32 v0, s0 :: v_dual_mov_b32 v1, s1
	s_sleep 1
	global_store_b64 v[4:5], v[2:3], off
	global_wb scope:SCOPE_SYS
	s_wait_storecnt 0x0
	s_wait_xcnt 0x0
	global_atomic_cmpswap_b64 v[0:1], v6, v[0:3], s[2:3] offset:24 th:TH_ATOMIC_RETURN scope:SCOPE_SYS
	s_wait_loadcnt 0x0
	v_cmp_eq_u64_e32 vcc_lo, v[0:1], v[2:3]
	v_mov_b64_e32 v[2:3], v[0:1]
	s_or_b32 s4, vcc_lo, s4
	s_delay_alu instid0(SALU_CYCLE_1)
	s_and_not1_b32 exec_lo, exec_lo, s4
	s_cbranch_execnz .LBB6_25
.LBB6_26:
	s_or_b32 exec_lo, exec_lo, s6
	s_wait_loadcnt 0x0
	s_wait_kmcnt 0x0
	s_set_pc_i64 s[30:31]
.Lfunc_end6:
	.size	__ockl_printf_append_args, .Lfunc_end6-__ockl_printf_append_args
                                        ; -- End function
	.set .L__ockl_printf_append_args.num_vgpr, 18
	.set .L__ockl_printf_append_args.num_agpr, 0
	.set .L__ockl_printf_append_args.numbered_sgpr, 32
	.set .L__ockl_printf_append_args.num_named_barrier, 0
	.set .L__ockl_printf_append_args.private_seg_size, 0
	.set .L__ockl_printf_append_args.uses_vcc, 1
	.set .L__ockl_printf_append_args.uses_flat_scratch, 0
	.set .L__ockl_printf_append_args.has_dyn_sized_stack, 0
	.set .L__ockl_printf_append_args.has_recursion, 0
	.set .L__ockl_printf_append_args.has_indirect_call, 0
	.section	.AMDGPU.csdata,"",@progbits
; Function info:
; codeLenInByte = 1436
; TotalNumSgprs: 34
; NumVgprs: 18
; ScratchSize: 0
; MemoryBound: 0
	.text
	.p2align	2                               ; -- Begin function _ZL14no_device_codePKciS0_iS0_
	.type	_ZL14no_device_codePKciS0_iS0_,@function
_ZL14no_device_codePKciS0_iS0_:         ; @_ZL14no_device_codePKciS0_iS0_
; %bb.0:
	s_wait_loadcnt_dscnt 0x0
	s_wait_kmcnt 0x0
	s_mov_b32 s20, s33
	s_mov_b32 s33, s32
	s_or_saveexec_b32 s0, -1
	scratch_store_b32 off, v40, s33         ; 4-byte Folded Spill
	s_wait_xcnt 0x0
	s_mov_b32 exec_lo, s0
	v_writelane_b32 v40, s30, 0
	s_add_co_i32 s32, s32, 16
	v_writelane_b32 v40, s31, 1
	s_load_b64 s[2:3], s[8:9], 0x50
	v_mbcnt_lo_u32_b32 v29, -1, 0
	v_mov_b64_e32 v[2:3], 0
	s_delay_alu instid0(VALU_DEP_2) | instskip(NEXT) | instid1(VALU_DEP_1)
	v_readfirstlane_b32 s0, v29
	v_cmp_eq_u32_e64 s0, s0, v29
	s_and_saveexec_b32 s1, s0
	s_cbranch_execz .LBB7_6
; %bb.1:
	v_mov_b32_e32 v0, 0
	s_mov_b32 s4, exec_lo
	s_wait_kmcnt 0x0
	global_load_b64 v[4:5], v0, s[2:3] offset:24 scope:SCOPE_SYS
	s_wait_loadcnt 0x0
	global_inv scope:SCOPE_SYS
	s_clause 0x1
	global_load_b64 v[2:3], v0, s[2:3] offset:40
	global_load_b64 v[6:7], v0, s[2:3]
	s_wait_loadcnt 0x1
	v_and_b32_e32 v2, v2, v4
	v_and_b32_e32 v3, v3, v5
	s_delay_alu instid0(VALU_DEP_1) | instskip(SKIP_1) | instid1(VALU_DEP_1)
	v_mul_u64_e32 v[2:3], 24, v[2:3]
	s_wait_loadcnt 0x0
	v_add_nc_u64_e32 v[2:3], v[6:7], v[2:3]
	global_load_b64 v[2:3], v[2:3], off scope:SCOPE_SYS
	s_wait_xcnt 0x0
	s_wait_loadcnt 0x0
	global_atomic_cmpswap_b64 v[2:3], v0, v[2:5], s[2:3] offset:24 th:TH_ATOMIC_RETURN scope:SCOPE_SYS
	s_wait_loadcnt 0x0
	global_inv scope:SCOPE_SYS
	s_wait_xcnt 0x0
	v_cmpx_ne_u64_e64 v[2:3], v[4:5]
	s_cbranch_execz .LBB7_5
; %bb.2:
	s_mov_b32 s5, 0
.LBB7_3:                                ; =>This Inner Loop Header: Depth=1
	s_sleep 1
	s_clause 0x1
	global_load_b64 v[6:7], v0, s[2:3] offset:40
	global_load_b64 v[8:9], v0, s[2:3]
	v_mov_b64_e32 v[4:5], v[2:3]
	s_wait_loadcnt 0x1
	s_delay_alu instid0(VALU_DEP_1) | instskip(SKIP_1) | instid1(VALU_DEP_1)
	v_and_b32_e32 v1, v6, v4
	s_wait_loadcnt 0x0
	v_mad_nc_u64_u32 v[2:3], v1, 24, v[8:9]
	s_delay_alu instid0(VALU_DEP_3) | instskip(NEXT) | instid1(VALU_DEP_1)
	v_and_b32_e32 v1, v7, v5
	v_mad_u32 v3, v1, 24, v3
	global_load_b64 v[2:3], v[2:3], off scope:SCOPE_SYS
	s_wait_xcnt 0x0
	s_wait_loadcnt 0x0
	global_atomic_cmpswap_b64 v[2:3], v0, v[2:5], s[2:3] offset:24 th:TH_ATOMIC_RETURN scope:SCOPE_SYS
	s_wait_loadcnt 0x0
	global_inv scope:SCOPE_SYS
	v_cmp_eq_u64_e32 vcc_lo, v[2:3], v[4:5]
	s_or_b32 s5, vcc_lo, s5
	s_wait_xcnt 0x0
	s_and_not1_b32 exec_lo, exec_lo, s5
	s_cbranch_execnz .LBB7_3
; %bb.4:
	s_or_b32 exec_lo, exec_lo, s5
.LBB7_5:
	s_delay_alu instid0(SALU_CYCLE_1)
	s_or_b32 exec_lo, exec_lo, s4
.LBB7_6:
	s_delay_alu instid0(SALU_CYCLE_1)
	s_or_b32 exec_lo, exec_lo, s1
	v_readfirstlane_b32 s4, v2
	v_mov_b32_e32 v1, 0
	v_readfirstlane_b32 s5, v3
	s_mov_b32 s1, exec_lo
	s_wait_kmcnt 0x0
	s_clause 0x1
	global_load_b64 v[8:9], v1, s[2:3] offset:40
	global_load_b128 v[4:7], v1, s[2:3]
	s_wait_loadcnt 0x1
	v_and_b32_e32 v10, s4, v8
	v_and_b32_e32 v11, s5, v9
	s_delay_alu instid0(VALU_DEP_1) | instskip(SKIP_1) | instid1(VALU_DEP_1)
	v_mul_u64_e32 v[2:3], 24, v[10:11]
	s_wait_loadcnt 0x0
	v_add_nc_u64_e32 v[8:9], v[4:5], v[2:3]
	s_wait_xcnt 0x0
	s_and_saveexec_b32 s6, s0
	s_cbranch_execz .LBB7_8
; %bb.7:
	v_mov_b64_e32 v[2:3], 0x100000002
	v_mov_b32_e32 v0, s1
	global_store_b128 v[8:9], v[0:3], off offset:8
.LBB7_8:
	s_wait_xcnt 0x0
	s_or_b32 exec_lo, exec_lo, s6
	v_lshlrev_b64_e32 v[2:3], 12, v[10:11]
	s_mov_b32 s12, 0
	v_dual_lshlrev_b32 v0, 6, v29 :: v_dual_mov_b32 v10, 33
	s_mov_b32 s14, s12
	s_mov_b32 s15, s12
	;; [unrolled: 1-line block ×3, first 2 shown]
	s_delay_alu instid0(VALU_DEP_2)
	v_add_nc_u64_e32 v[6:7], v[6:7], v[2:3]
	v_mov_b64_e32 v[16:17], s[14:15]
	v_mov_b64_e32 v[14:15], s[12:13]
	v_dual_mov_b32 v11, v1 :: v_dual_mov_b32 v12, v1
	v_mov_b32_e32 v13, v1
	v_readfirstlane_b32 s6, v6
	v_readfirstlane_b32 s7, v7
	s_clause 0x3
	global_store_b128 v0, v[10:13], s[6:7]
	global_store_b128 v0, v[14:17], s[6:7] offset:16
	global_store_b128 v0, v[14:17], s[6:7] offset:32
	;; [unrolled: 1-line block ×3, first 2 shown]
	s_wait_xcnt 0x0
	s_and_saveexec_b32 s1, s0
	s_cbranch_execz .LBB7_16
; %bb.9:
	v_dual_mov_b32 v12, 0 :: v_dual_mov_b32 v15, s5
	s_mov_b32 s6, exec_lo
	s_clause 0x1
	global_load_b64 v[16:17], v12, s[2:3] offset:32 scope:SCOPE_SYS
	global_load_b64 v[2:3], v12, s[2:3] offset:40
	s_wait_loadcnt 0x0
	v_dual_mov_b32 v14, s4 :: v_dual_bitop2_b32 v3, s5, v3 bitop3:0x40
	v_and_b32_e32 v2, s4, v2
	s_delay_alu instid0(VALU_DEP_1) | instskip(NEXT) | instid1(VALU_DEP_1)
	v_mul_u64_e32 v[2:3], 24, v[2:3]
	v_add_nc_u64_e32 v[10:11], v[4:5], v[2:3]
	global_store_b64 v[10:11], v[16:17], off
	global_wb scope:SCOPE_SYS
	s_wait_storecnt 0x0
	s_wait_xcnt 0x0
	global_atomic_cmpswap_b64 v[4:5], v12, v[14:17], s[2:3] offset:32 th:TH_ATOMIC_RETURN scope:SCOPE_SYS
	s_wait_loadcnt 0x0
	v_cmpx_ne_u64_e64 v[4:5], v[16:17]
	s_cbranch_execz .LBB7_12
; %bb.10:
	s_mov_b32 s7, 0
.LBB7_11:                               ; =>This Inner Loop Header: Depth=1
	v_dual_mov_b32 v2, s4 :: v_dual_mov_b32 v3, s5
	s_sleep 1
	global_store_b64 v[10:11], v[4:5], off
	global_wb scope:SCOPE_SYS
	s_wait_storecnt 0x0
	s_wait_xcnt 0x0
	global_atomic_cmpswap_b64 v[2:3], v12, v[2:5], s[2:3] offset:32 th:TH_ATOMIC_RETURN scope:SCOPE_SYS
	s_wait_loadcnt 0x0
	v_cmp_eq_u64_e32 vcc_lo, v[2:3], v[4:5]
	v_mov_b64_e32 v[4:5], v[2:3]
	s_or_b32 s7, vcc_lo, s7
	s_delay_alu instid0(SALU_CYCLE_1)
	s_and_not1_b32 exec_lo, exec_lo, s7
	s_cbranch_execnz .LBB7_11
.LBB7_12:
	s_or_b32 exec_lo, exec_lo, s6
	v_mov_b32_e32 v5, 0
	s_mov_b32 s7, exec_lo
	s_mov_b32 s6, exec_lo
	v_mbcnt_lo_u32_b32 v4, s7, 0
	global_load_b64 v[2:3], v5, s[2:3] offset:16
	s_wait_xcnt 0x0
	v_cmpx_eq_u32_e32 0, v4
	s_cbranch_execz .LBB7_14
; %bb.13:
	s_bcnt1_i32_b32 s7, s7
	s_delay_alu instid0(SALU_CYCLE_1)
	v_mov_b32_e32 v4, s7
	global_wb scope:SCOPE_SYS
	s_wait_loadcnt 0x0
	s_wait_storecnt 0x0
	global_atomic_add_u64 v[2:3], v[4:5], off offset:8 scope:SCOPE_SYS
.LBB7_14:
	s_wait_xcnt 0x0
	s_or_b32 exec_lo, exec_lo, s6
	s_wait_loadcnt 0x0
	global_load_b64 v[4:5], v[2:3], off offset:16
	s_wait_loadcnt 0x0
	v_cmp_eq_u64_e32 vcc_lo, 0, v[4:5]
	s_cbranch_vccnz .LBB7_16
; %bb.15:
	global_load_b32 v2, v[2:3], off offset:24
	s_wait_xcnt 0x0
	v_mov_b32_e32 v3, 0
	s_wait_loadcnt 0x0
	v_readfirstlane_b32 s6, v2
	global_wb scope:SCOPE_SYS
	s_wait_storecnt 0x0
	global_store_b64 v[4:5], v[2:3], off scope:SCOPE_SYS
	s_and_b32 m0, s6, 0xffffff
	s_sendmsg sendmsg(MSG_INTERRUPT)
.LBB7_16:
	s_wait_xcnt 0x0
	s_or_b32 exec_lo, exec_lo, s1
	v_add_nc_u64_e32 v[2:3], v[6:7], v[0:1]
	s_branch .LBB7_20
.LBB7_17:                               ;   in Loop: Header=BB7_20 Depth=1
	s_wait_xcnt 0x0
	s_or_b32 exec_lo, exec_lo, s1
	s_delay_alu instid0(VALU_DEP_1)
	v_readfirstlane_b32 s1, v1
	s_cmp_eq_u32 s1, 0
	s_cbranch_scc1 .LBB7_19
; %bb.18:                               ;   in Loop: Header=BB7_20 Depth=1
	s_sleep 1
	s_cbranch_execnz .LBB7_20
	s_branch .LBB7_22
.LBB7_19:
	s_branch .LBB7_22
.LBB7_20:                               ; =>This Inner Loop Header: Depth=1
	v_mov_b32_e32 v1, 1
	s_and_saveexec_b32 s1, s0
	s_cbranch_execz .LBB7_17
; %bb.21:                               ;   in Loop: Header=BB7_20 Depth=1
	global_load_b32 v1, v[8:9], off offset:20 scope:SCOPE_SYS
	s_wait_loadcnt 0x0
	global_inv scope:SCOPE_SYS
	v_and_b32_e32 v1, 1, v1
	s_branch .LBB7_17
.LBB7_22:
	global_load_b64 v[6:7], v[2:3], off
	s_wait_xcnt 0x0
	s_and_saveexec_b32 s6, s0
	s_cbranch_execz .LBB7_26
; %bb.23:
	v_mov_b32_e32 v1, 0
	s_clause 0x2
	global_load_b64 v[2:3], v1, s[2:3] offset:40
	global_load_b64 v[12:13], v1, s[2:3] offset:24 scope:SCOPE_SYS
	global_load_b64 v[4:5], v1, s[2:3]
	s_wait_loadcnt 0x2
	v_readfirstlane_b32 s10, v2
	v_readfirstlane_b32 s11, v3
	s_add_nc_u64 s[0:1], s[10:11], 1
	s_delay_alu instid0(SALU_CYCLE_1) | instskip(NEXT) | instid1(SALU_CYCLE_1)
	s_add_nc_u64 s[4:5], s[0:1], s[4:5]
	s_cmp_eq_u64 s[4:5], 0
	s_cselect_b32 s1, s1, s5
	s_cselect_b32 s0, s0, s4
	v_mov_b32_e32 v11, s1
	s_and_b64 s[4:5], s[0:1], s[10:11]
	v_mov_b32_e32 v10, s0
	s_mul_u64 s[4:5], s[4:5], 24
	s_wait_loadcnt 0x0
	v_add_nc_u64_e32 v[8:9], s[4:5], v[4:5]
	global_store_b64 v[8:9], v[12:13], off
	global_wb scope:SCOPE_SYS
	s_wait_storecnt 0x0
	s_wait_xcnt 0x0
	global_atomic_cmpswap_b64 v[4:5], v1, v[10:13], s[2:3] offset:24 th:TH_ATOMIC_RETURN scope:SCOPE_SYS
	s_wait_loadcnt 0x0
	v_cmp_ne_u64_e32 vcc_lo, v[4:5], v[12:13]
	s_and_b32 exec_lo, exec_lo, vcc_lo
	s_cbranch_execz .LBB7_26
; %bb.24:
	s_mov_b32 s4, 0
.LBB7_25:                               ; =>This Inner Loop Header: Depth=1
	v_dual_mov_b32 v2, s0 :: v_dual_mov_b32 v3, s1
	s_sleep 1
	global_store_b64 v[8:9], v[4:5], off
	global_wb scope:SCOPE_SYS
	s_wait_storecnt 0x0
	s_wait_xcnt 0x0
	global_atomic_cmpswap_b64 v[2:3], v1, v[2:5], s[2:3] offset:24 th:TH_ATOMIC_RETURN scope:SCOPE_SYS
	s_wait_loadcnt 0x0
	v_cmp_eq_u64_e32 vcc_lo, v[2:3], v[4:5]
	v_mov_b64_e32 v[4:5], v[2:3]
	s_or_b32 s4, vcc_lo, s4
	s_delay_alu instid0(SALU_CYCLE_1)
	s_and_not1_b32 exec_lo, exec_lo, s4
	s_cbranch_execnz .LBB7_25
.LBB7_26:
	s_or_b32 exec_lo, exec_lo, s6
	s_get_pc_i64 s[4:5]
	s_add_nc_u64 s[4:5], s[4:5], .str.5@rel64+4
	s_delay_alu instid0(SALU_CYCLE_1)
	s_cmp_lg_u64 s[4:5], 0
	s_cbranch_scc0 .LBB7_104
; %bb.27:
	v_mov_b64_e32 v[10:11], 0x100000002
	s_wait_loadcnt 0x0
	v_dual_mov_b32 v9, 0 :: v_dual_bitop2_b32 v28, 2, v6 bitop3:0x40
	v_dual_mov_b32 v3, v7 :: v_dual_bitop2_b32 v2, -3, v6 bitop3:0x40
	s_mov_b64 s[6:7], 0x4d
	s_branch .LBB7_29
.LBB7_28:                               ;   in Loop: Header=BB7_29 Depth=1
	s_or_b32 exec_lo, exec_lo, s14
	s_sub_nc_u64 s[6:7], s[6:7], s[10:11]
	s_add_nc_u64 s[4:5], s[4:5], s[10:11]
	s_cmp_lg_u64 s[6:7], 0
	s_cbranch_scc0 .LBB7_105
.LBB7_29:                               ; =>This Loop Header: Depth=1
                                        ;     Child Loop BB7_32 Depth 2
                                        ;     Child Loop BB7_39 Depth 2
	;; [unrolled: 1-line block ×11, first 2 shown]
	v_min_u64 v[4:5], s[6:7], 56
	v_cmp_gt_u64_e64 s0, s[6:7], 7
	s_and_b32 vcc_lo, exec_lo, s0
	v_readfirstlane_b32 s10, v4
	v_readfirstlane_b32 s11, v5
	s_cbranch_vccnz .LBB7_34
; %bb.30:                               ;   in Loop: Header=BB7_29 Depth=1
	v_mov_b64_e32 v[4:5], 0
	s_cmp_eq_u64 s[6:7], 0
	s_cbranch_scc1 .LBB7_33
; %bb.31:                               ;   in Loop: Header=BB7_29 Depth=1
	s_mov_b64 s[0:1], 0
	s_mov_b64 s[12:13], 0
.LBB7_32:                               ;   Parent Loop BB7_29 Depth=1
                                        ; =>  This Inner Loop Header: Depth=2
	s_wait_xcnt 0x0
	s_add_nc_u64 s[14:15], s[4:5], s[12:13]
	s_add_nc_u64 s[12:13], s[12:13], 1
	global_load_u8 v1, v9, s[14:15]
	s_cmp_lg_u32 s10, s12
	s_wait_loadcnt 0x0
	v_and_b32_e32 v8, 0xffff, v1
	s_delay_alu instid0(VALU_DEP_1) | instskip(SKIP_1) | instid1(VALU_DEP_1)
	v_lshlrev_b64_e32 v[12:13], s0, v[8:9]
	s_add_nc_u64 s[0:1], s[0:1], 8
	v_or_b32_e32 v4, v12, v4
	s_delay_alu instid0(VALU_DEP_2)
	v_or_b32_e32 v5, v13, v5
	s_cbranch_scc1 .LBB7_32
.LBB7_33:                               ;   in Loop: Header=BB7_29 Depth=1
	s_mov_b64 s[12:13], s[4:5]
	s_mov_b32 s16, 0
	s_cbranch_execz .LBB7_35
	s_branch .LBB7_36
.LBB7_34:                               ;   in Loop: Header=BB7_29 Depth=1
	s_add_nc_u64 s[12:13], s[4:5], 8
	s_mov_b32 s16, 0
.LBB7_35:                               ;   in Loop: Header=BB7_29 Depth=1
	global_load_b64 v[4:5], v9, s[4:5]
	s_add_co_i32 s16, s10, -8
.LBB7_36:                               ;   in Loop: Header=BB7_29 Depth=1
	s_delay_alu instid0(SALU_CYCLE_1)
	s_cmp_gt_u32 s16, 7
	s_cbranch_scc1 .LBB7_41
; %bb.37:                               ;   in Loop: Header=BB7_29 Depth=1
	v_mov_b64_e32 v[12:13], 0
	s_cmp_eq_u32 s16, 0
	s_cbranch_scc1 .LBB7_40
; %bb.38:                               ;   in Loop: Header=BB7_29 Depth=1
	s_mov_b64 s[0:1], 0
	s_wait_xcnt 0x0
	s_mov_b64 s[14:15], 0
.LBB7_39:                               ;   Parent Loop BB7_29 Depth=1
                                        ; =>  This Inner Loop Header: Depth=2
	s_wait_xcnt 0x0
	s_add_nc_u64 s[18:19], s[12:13], s[14:15]
	s_add_nc_u64 s[14:15], s[14:15], 1
	global_load_u8 v1, v9, s[18:19]
	s_cmp_lg_u32 s16, s14
	s_wait_loadcnt 0x0
	v_and_b32_e32 v8, 0xffff, v1
	s_delay_alu instid0(VALU_DEP_1) | instskip(SKIP_1) | instid1(VALU_DEP_1)
	v_lshlrev_b64_e32 v[14:15], s0, v[8:9]
	s_add_nc_u64 s[0:1], s[0:1], 8
	v_or_b32_e32 v12, v14, v12
	s_delay_alu instid0(VALU_DEP_2)
	v_or_b32_e32 v13, v15, v13
	s_cbranch_scc1 .LBB7_39
.LBB7_40:                               ;   in Loop: Header=BB7_29 Depth=1
	s_wait_xcnt 0x0
	s_mov_b64 s[0:1], s[12:13]
	s_mov_b32 s17, 0
	s_cbranch_execz .LBB7_42
	s_branch .LBB7_43
.LBB7_41:                               ;   in Loop: Header=BB7_29 Depth=1
	s_add_nc_u64 s[0:1], s[12:13], 8
	s_wait_xcnt 0x0
                                        ; implicit-def: $vgpr12_vgpr13
	s_mov_b32 s17, 0
.LBB7_42:                               ;   in Loop: Header=BB7_29 Depth=1
	global_load_b64 v[12:13], v9, s[12:13]
	s_add_co_i32 s17, s16, -8
.LBB7_43:                               ;   in Loop: Header=BB7_29 Depth=1
	s_delay_alu instid0(SALU_CYCLE_1)
	s_cmp_gt_u32 s17, 7
	s_cbranch_scc1 .LBB7_48
; %bb.44:                               ;   in Loop: Header=BB7_29 Depth=1
	v_mov_b64_e32 v[14:15], 0
	s_cmp_eq_u32 s17, 0
	s_cbranch_scc1 .LBB7_47
; %bb.45:                               ;   in Loop: Header=BB7_29 Depth=1
	s_wait_xcnt 0x0
	s_mov_b64 s[12:13], 0
	s_mov_b64 s[14:15], 0
.LBB7_46:                               ;   Parent Loop BB7_29 Depth=1
                                        ; =>  This Inner Loop Header: Depth=2
	s_wait_xcnt 0x0
	s_add_nc_u64 s[18:19], s[0:1], s[14:15]
	s_add_nc_u64 s[14:15], s[14:15], 1
	global_load_u8 v1, v9, s[18:19]
	s_cmp_lg_u32 s17, s14
	s_wait_loadcnt 0x0
	v_and_b32_e32 v8, 0xffff, v1
	s_delay_alu instid0(VALU_DEP_1) | instskip(SKIP_1) | instid1(VALU_DEP_1)
	v_lshlrev_b64_e32 v[16:17], s12, v[8:9]
	s_add_nc_u64 s[12:13], s[12:13], 8
	v_or_b32_e32 v14, v16, v14
	s_delay_alu instid0(VALU_DEP_2)
	v_or_b32_e32 v15, v17, v15
	s_cbranch_scc1 .LBB7_46
.LBB7_47:                               ;   in Loop: Header=BB7_29 Depth=1
	s_wait_xcnt 0x0
	s_mov_b64 s[12:13], s[0:1]
	s_mov_b32 s16, 0
	s_cbranch_execz .LBB7_49
	s_branch .LBB7_50
.LBB7_48:                               ;   in Loop: Header=BB7_29 Depth=1
	s_wait_xcnt 0x0
	s_add_nc_u64 s[12:13], s[0:1], 8
	s_mov_b32 s16, 0
.LBB7_49:                               ;   in Loop: Header=BB7_29 Depth=1
	global_load_b64 v[14:15], v9, s[0:1]
	s_add_co_i32 s16, s17, -8
.LBB7_50:                               ;   in Loop: Header=BB7_29 Depth=1
	s_delay_alu instid0(SALU_CYCLE_1)
	s_cmp_gt_u32 s16, 7
	s_cbranch_scc1 .LBB7_55
; %bb.51:                               ;   in Loop: Header=BB7_29 Depth=1
	v_mov_b64_e32 v[16:17], 0
	s_cmp_eq_u32 s16, 0
	s_cbranch_scc1 .LBB7_54
; %bb.52:                               ;   in Loop: Header=BB7_29 Depth=1
	s_wait_xcnt 0x0
	s_mov_b64 s[0:1], 0
	s_mov_b64 s[14:15], 0
.LBB7_53:                               ;   Parent Loop BB7_29 Depth=1
                                        ; =>  This Inner Loop Header: Depth=2
	s_wait_xcnt 0x0
	s_add_nc_u64 s[18:19], s[12:13], s[14:15]
	s_add_nc_u64 s[14:15], s[14:15], 1
	global_load_u8 v1, v9, s[18:19]
	s_cmp_lg_u32 s16, s14
	s_wait_loadcnt 0x0
	v_and_b32_e32 v8, 0xffff, v1
	s_delay_alu instid0(VALU_DEP_1) | instskip(SKIP_1) | instid1(VALU_DEP_1)
	v_lshlrev_b64_e32 v[18:19], s0, v[8:9]
	s_add_nc_u64 s[0:1], s[0:1], 8
	v_or_b32_e32 v16, v18, v16
	s_delay_alu instid0(VALU_DEP_2)
	v_or_b32_e32 v17, v19, v17
	s_cbranch_scc1 .LBB7_53
.LBB7_54:                               ;   in Loop: Header=BB7_29 Depth=1
	s_wait_xcnt 0x0
	s_mov_b64 s[0:1], s[12:13]
	s_mov_b32 s17, 0
	s_cbranch_execz .LBB7_56
	s_branch .LBB7_57
.LBB7_55:                               ;   in Loop: Header=BB7_29 Depth=1
	s_wait_xcnt 0x0
	s_add_nc_u64 s[0:1], s[12:13], 8
                                        ; implicit-def: $vgpr16_vgpr17
	s_mov_b32 s17, 0
.LBB7_56:                               ;   in Loop: Header=BB7_29 Depth=1
	global_load_b64 v[16:17], v9, s[12:13]
	s_add_co_i32 s17, s16, -8
.LBB7_57:                               ;   in Loop: Header=BB7_29 Depth=1
	s_delay_alu instid0(SALU_CYCLE_1)
	s_cmp_gt_u32 s17, 7
	s_cbranch_scc1 .LBB7_62
; %bb.58:                               ;   in Loop: Header=BB7_29 Depth=1
	v_mov_b64_e32 v[18:19], 0
	s_cmp_eq_u32 s17, 0
	s_cbranch_scc1 .LBB7_61
; %bb.59:                               ;   in Loop: Header=BB7_29 Depth=1
	s_wait_xcnt 0x0
	s_mov_b64 s[12:13], 0
	s_mov_b64 s[14:15], 0
.LBB7_60:                               ;   Parent Loop BB7_29 Depth=1
                                        ; =>  This Inner Loop Header: Depth=2
	s_wait_xcnt 0x0
	s_add_nc_u64 s[18:19], s[0:1], s[14:15]
	s_add_nc_u64 s[14:15], s[14:15], 1
	global_load_u8 v1, v9, s[18:19]
	s_cmp_lg_u32 s17, s14
	s_wait_loadcnt 0x0
	v_and_b32_e32 v8, 0xffff, v1
	s_delay_alu instid0(VALU_DEP_1) | instskip(SKIP_1) | instid1(VALU_DEP_1)
	v_lshlrev_b64_e32 v[20:21], s12, v[8:9]
	s_add_nc_u64 s[12:13], s[12:13], 8
	v_or_b32_e32 v18, v20, v18
	s_delay_alu instid0(VALU_DEP_2)
	v_or_b32_e32 v19, v21, v19
	s_cbranch_scc1 .LBB7_60
.LBB7_61:                               ;   in Loop: Header=BB7_29 Depth=1
	s_wait_xcnt 0x0
	s_mov_b64 s[12:13], s[0:1]
	s_mov_b32 s16, 0
	s_cbranch_execz .LBB7_63
	s_branch .LBB7_64
.LBB7_62:                               ;   in Loop: Header=BB7_29 Depth=1
	s_wait_xcnt 0x0
	s_add_nc_u64 s[12:13], s[0:1], 8
	s_mov_b32 s16, 0
.LBB7_63:                               ;   in Loop: Header=BB7_29 Depth=1
	global_load_b64 v[18:19], v9, s[0:1]
	s_add_co_i32 s16, s17, -8
.LBB7_64:                               ;   in Loop: Header=BB7_29 Depth=1
	s_delay_alu instid0(SALU_CYCLE_1)
	s_cmp_gt_u32 s16, 7
	s_cbranch_scc1 .LBB7_69
; %bb.65:                               ;   in Loop: Header=BB7_29 Depth=1
	v_mov_b64_e32 v[20:21], 0
	s_cmp_eq_u32 s16, 0
	s_cbranch_scc1 .LBB7_68
; %bb.66:                               ;   in Loop: Header=BB7_29 Depth=1
	s_wait_xcnt 0x0
	s_mov_b64 s[0:1], 0
	s_mov_b64 s[14:15], 0
.LBB7_67:                               ;   Parent Loop BB7_29 Depth=1
                                        ; =>  This Inner Loop Header: Depth=2
	s_wait_xcnt 0x0
	s_add_nc_u64 s[18:19], s[12:13], s[14:15]
	s_add_nc_u64 s[14:15], s[14:15], 1
	global_load_u8 v1, v9, s[18:19]
	s_cmp_lg_u32 s16, s14
	s_wait_loadcnt 0x0
	v_and_b32_e32 v8, 0xffff, v1
	s_delay_alu instid0(VALU_DEP_1) | instskip(SKIP_1) | instid1(VALU_DEP_1)
	v_lshlrev_b64_e32 v[22:23], s0, v[8:9]
	s_add_nc_u64 s[0:1], s[0:1], 8
	v_or_b32_e32 v20, v22, v20
	s_delay_alu instid0(VALU_DEP_2)
	v_or_b32_e32 v21, v23, v21
	s_cbranch_scc1 .LBB7_67
.LBB7_68:                               ;   in Loop: Header=BB7_29 Depth=1
	s_wait_xcnt 0x0
	s_mov_b64 s[0:1], s[12:13]
	s_mov_b32 s17, 0
	s_cbranch_execz .LBB7_70
	s_branch .LBB7_71
.LBB7_69:                               ;   in Loop: Header=BB7_29 Depth=1
	s_wait_xcnt 0x0
	s_add_nc_u64 s[0:1], s[12:13], 8
                                        ; implicit-def: $vgpr20_vgpr21
	s_mov_b32 s17, 0
.LBB7_70:                               ;   in Loop: Header=BB7_29 Depth=1
	global_load_b64 v[20:21], v9, s[12:13]
	s_add_co_i32 s17, s16, -8
.LBB7_71:                               ;   in Loop: Header=BB7_29 Depth=1
	s_delay_alu instid0(SALU_CYCLE_1)
	s_cmp_gt_u32 s17, 7
	s_cbranch_scc1 .LBB7_76
; %bb.72:                               ;   in Loop: Header=BB7_29 Depth=1
	v_mov_b64_e32 v[22:23], 0
	s_cmp_eq_u32 s17, 0
	s_cbranch_scc1 .LBB7_75
; %bb.73:                               ;   in Loop: Header=BB7_29 Depth=1
	s_wait_xcnt 0x0
	s_mov_b64 s[12:13], 0
	s_mov_b64 s[14:15], s[0:1]
.LBB7_74:                               ;   Parent Loop BB7_29 Depth=1
                                        ; =>  This Inner Loop Header: Depth=2
	global_load_u8 v1, v9, s[14:15]
	s_add_co_i32 s17, s17, -1
	s_wait_xcnt 0x0
	s_add_nc_u64 s[14:15], s[14:15], 1
	s_cmp_lg_u32 s17, 0
	s_wait_loadcnt 0x0
	v_and_b32_e32 v8, 0xffff, v1
	s_delay_alu instid0(VALU_DEP_1) | instskip(SKIP_1) | instid1(VALU_DEP_1)
	v_lshlrev_b64_e32 v[24:25], s12, v[8:9]
	s_add_nc_u64 s[12:13], s[12:13], 8
	v_or_b32_e32 v22, v24, v22
	s_delay_alu instid0(VALU_DEP_2)
	v_or_b32_e32 v23, v25, v23
	s_cbranch_scc1 .LBB7_74
.LBB7_75:                               ;   in Loop: Header=BB7_29 Depth=1
	s_wait_xcnt 0x0
	s_cbranch_execz .LBB7_77
	s_branch .LBB7_78
.LBB7_76:                               ;   in Loop: Header=BB7_29 Depth=1
	s_wait_xcnt 0x0
.LBB7_77:                               ;   in Loop: Header=BB7_29 Depth=1
	global_load_b64 v[22:23], v9, s[0:1]
.LBB7_78:                               ;   in Loop: Header=BB7_29 Depth=1
	s_wait_xcnt 0x0
	v_readfirstlane_b32 s0, v29
	v_mov_b64_e32 v[30:31], 0
	s_delay_alu instid0(VALU_DEP_2)
	v_cmp_eq_u32_e64 s0, s0, v29
	s_and_saveexec_b32 s1, s0
	s_cbranch_execz .LBB7_84
; %bb.79:                               ;   in Loop: Header=BB7_29 Depth=1
	global_load_b64 v[26:27], v9, s[2:3] offset:24 scope:SCOPE_SYS
	s_wait_loadcnt 0x0
	global_inv scope:SCOPE_SYS
	s_clause 0x1
	global_load_b64 v[24:25], v9, s[2:3] offset:40
	global_load_b64 v[30:31], v9, s[2:3]
	s_mov_b32 s12, exec_lo
	s_wait_loadcnt 0x1
	v_and_b32_e32 v24, v24, v26
	v_and_b32_e32 v25, v25, v27
	s_delay_alu instid0(VALU_DEP_1) | instskip(SKIP_1) | instid1(VALU_DEP_1)
	v_mul_u64_e32 v[24:25], 24, v[24:25]
	s_wait_loadcnt 0x0
	v_add_nc_u64_e32 v[24:25], v[30:31], v[24:25]
	global_load_b64 v[24:25], v[24:25], off scope:SCOPE_SYS
	s_wait_xcnt 0x0
	s_wait_loadcnt 0x0
	global_atomic_cmpswap_b64 v[30:31], v9, v[24:27], s[2:3] offset:24 th:TH_ATOMIC_RETURN scope:SCOPE_SYS
	s_wait_loadcnt 0x0
	global_inv scope:SCOPE_SYS
	s_wait_xcnt 0x0
	v_cmpx_ne_u64_e64 v[30:31], v[26:27]
	s_cbranch_execz .LBB7_83
; %bb.80:                               ;   in Loop: Header=BB7_29 Depth=1
	s_mov_b32 s13, 0
.LBB7_81:                               ;   Parent Loop BB7_29 Depth=1
                                        ; =>  This Inner Loop Header: Depth=2
	s_sleep 1
	s_clause 0x1
	global_load_b64 v[24:25], v9, s[2:3] offset:40
	global_load_b64 v[32:33], v9, s[2:3]
	v_mov_b64_e32 v[26:27], v[30:31]
	s_wait_loadcnt 0x1
	s_delay_alu instid0(VALU_DEP_1) | instskip(SKIP_1) | instid1(VALU_DEP_1)
	v_and_b32_e32 v1, v24, v26
	s_wait_loadcnt 0x0
	v_mad_nc_u64_u32 v[30:31], v1, 24, v[32:33]
	s_delay_alu instid0(VALU_DEP_3) | instskip(NEXT) | instid1(VALU_DEP_1)
	v_and_b32_e32 v1, v25, v27
	v_mad_u32 v31, v1, 24, v31
	global_load_b64 v[24:25], v[30:31], off scope:SCOPE_SYS
	s_wait_xcnt 0x0
	s_wait_loadcnt 0x0
	global_atomic_cmpswap_b64 v[30:31], v9, v[24:27], s[2:3] offset:24 th:TH_ATOMIC_RETURN scope:SCOPE_SYS
	s_wait_loadcnt 0x0
	global_inv scope:SCOPE_SYS
	v_cmp_eq_u64_e32 vcc_lo, v[30:31], v[26:27]
	s_or_b32 s13, vcc_lo, s13
	s_wait_xcnt 0x0
	s_and_not1_b32 exec_lo, exec_lo, s13
	s_cbranch_execnz .LBB7_81
; %bb.82:                               ;   in Loop: Header=BB7_29 Depth=1
	s_or_b32 exec_lo, exec_lo, s13
.LBB7_83:                               ;   in Loop: Header=BB7_29 Depth=1
	s_delay_alu instid0(SALU_CYCLE_1)
	s_or_b32 exec_lo, exec_lo, s12
.LBB7_84:                               ;   in Loop: Header=BB7_29 Depth=1
	s_delay_alu instid0(SALU_CYCLE_1)
	s_or_b32 exec_lo, exec_lo, s1
	s_clause 0x1
	global_load_b64 v[32:33], v9, s[2:3] offset:40
	global_load_b128 v[24:27], v9, s[2:3]
	v_readfirstlane_b32 s12, v30
	v_readfirstlane_b32 s13, v31
	s_mov_b32 s1, exec_lo
	s_wait_loadcnt 0x1
	v_and_b32_e32 v32, s12, v32
	v_and_b32_e32 v33, s13, v33
	s_delay_alu instid0(VALU_DEP_1) | instskip(SKIP_1) | instid1(VALU_DEP_1)
	v_mul_u64_e32 v[30:31], 24, v[32:33]
	s_wait_loadcnt 0x0
	v_add_nc_u64_e32 v[30:31], v[24:25], v[30:31]
	s_wait_xcnt 0x0
	s_and_saveexec_b32 s14, s0
	s_cbranch_execz .LBB7_86
; %bb.85:                               ;   in Loop: Header=BB7_29 Depth=1
	v_mov_b32_e32 v8, s1
	global_store_b128 v[30:31], v[8:11], off offset:8
.LBB7_86:                               ;   in Loop: Header=BB7_29 Depth=1
	s_wait_xcnt 0x0
	s_or_b32 exec_lo, exec_lo, s14
	v_cmp_lt_u64_e64 vcc_lo, s[6:7], 57
	v_lshlrev_b64_e32 v[32:33], 12, v[32:33]
	v_and_b32_e32 v2, 0xffffff1f, v2
	s_lshl_b32 s1, s10, 2
	s_delay_alu instid0(SALU_CYCLE_1) | instskip(SKIP_1) | instid1(VALU_DEP_3)
	s_add_co_i32 s1, s1, 28
	v_cndmask_b32_e32 v1, 0, v28, vcc_lo
	v_add_nc_u64_e32 v[26:27], v[26:27], v[32:33]
	s_delay_alu instid0(VALU_DEP_2) | instskip(NEXT) | instid1(VALU_DEP_2)
	v_or_b32_e32 v1, v2, v1
	v_readfirstlane_b32 s14, v26
	s_delay_alu instid0(VALU_DEP_3) | instskip(NEXT) | instid1(VALU_DEP_3)
	v_readfirstlane_b32 s15, v27
	v_and_or_b32 v2, 0x1e0, s1, v1
	s_clause 0x3
	global_store_b128 v0, v[2:5], s[14:15]
	global_store_b128 v0, v[12:15], s[14:15] offset:16
	global_store_b128 v0, v[16:19], s[14:15] offset:32
	;; [unrolled: 1-line block ×3, first 2 shown]
	s_wait_xcnt 0x0
	s_and_saveexec_b32 s1, s0
	s_cbranch_execz .LBB7_94
; %bb.87:                               ;   in Loop: Header=BB7_29 Depth=1
	s_clause 0x1
	global_load_b64 v[16:17], v9, s[2:3] offset:32 scope:SCOPE_SYS
	global_load_b64 v[2:3], v9, s[2:3] offset:40
	s_mov_b32 s14, exec_lo
	v_dual_mov_b32 v14, s12 :: v_dual_mov_b32 v15, s13
	s_wait_loadcnt 0x0
	v_and_b32_e32 v3, s13, v3
	v_and_b32_e32 v2, s12, v2
	s_delay_alu instid0(VALU_DEP_1) | instskip(NEXT) | instid1(VALU_DEP_1)
	v_mul_u64_e32 v[2:3], 24, v[2:3]
	v_add_nc_u64_e32 v[12:13], v[24:25], v[2:3]
	global_store_b64 v[12:13], v[16:17], off
	global_wb scope:SCOPE_SYS
	s_wait_storecnt 0x0
	s_wait_xcnt 0x0
	global_atomic_cmpswap_b64 v[4:5], v9, v[14:17], s[2:3] offset:32 th:TH_ATOMIC_RETURN scope:SCOPE_SYS
	s_wait_loadcnt 0x0
	v_cmpx_ne_u64_e64 v[4:5], v[16:17]
	s_cbranch_execz .LBB7_90
; %bb.88:                               ;   in Loop: Header=BB7_29 Depth=1
	s_mov_b32 s15, 0
.LBB7_89:                               ;   Parent Loop BB7_29 Depth=1
                                        ; =>  This Inner Loop Header: Depth=2
	v_dual_mov_b32 v2, s12 :: v_dual_mov_b32 v3, s13
	s_sleep 1
	global_store_b64 v[12:13], v[4:5], off
	global_wb scope:SCOPE_SYS
	s_wait_storecnt 0x0
	s_wait_xcnt 0x0
	global_atomic_cmpswap_b64 v[2:3], v9, v[2:5], s[2:3] offset:32 th:TH_ATOMIC_RETURN scope:SCOPE_SYS
	s_wait_loadcnt 0x0
	v_cmp_eq_u64_e32 vcc_lo, v[2:3], v[4:5]
	v_mov_b64_e32 v[4:5], v[2:3]
	s_or_b32 s15, vcc_lo, s15
	s_delay_alu instid0(SALU_CYCLE_1)
	s_and_not1_b32 exec_lo, exec_lo, s15
	s_cbranch_execnz .LBB7_89
.LBB7_90:                               ;   in Loop: Header=BB7_29 Depth=1
	s_or_b32 exec_lo, exec_lo, s14
	global_load_b64 v[2:3], v9, s[2:3] offset:16
	s_mov_b32 s15, exec_lo
	s_mov_b32 s14, exec_lo
	v_mbcnt_lo_u32_b32 v1, s15, 0
	s_wait_xcnt 0x0
	s_delay_alu instid0(VALU_DEP_1)
	v_cmpx_eq_u32_e32 0, v1
	s_cbranch_execz .LBB7_92
; %bb.91:                               ;   in Loop: Header=BB7_29 Depth=1
	s_bcnt1_i32_b32 s15, s15
	s_delay_alu instid0(SALU_CYCLE_1)
	v_mov_b32_e32 v8, s15
	global_wb scope:SCOPE_SYS
	s_wait_loadcnt 0x0
	s_wait_storecnt 0x0
	global_atomic_add_u64 v[2:3], v[8:9], off offset:8 scope:SCOPE_SYS
.LBB7_92:                               ;   in Loop: Header=BB7_29 Depth=1
	s_wait_xcnt 0x0
	s_or_b32 exec_lo, exec_lo, s14
	s_wait_loadcnt 0x0
	global_load_b64 v[4:5], v[2:3], off offset:16
	s_wait_loadcnt 0x0
	v_cmp_eq_u64_e32 vcc_lo, 0, v[4:5]
	s_cbranch_vccnz .LBB7_94
; %bb.93:                               ;   in Loop: Header=BB7_29 Depth=1
	global_load_b32 v8, v[2:3], off offset:24
	s_wait_loadcnt 0x0
	v_readfirstlane_b32 s14, v8
	global_wb scope:SCOPE_SYS
	s_wait_storecnt 0x0
	s_wait_xcnt 0x0
	global_store_b64 v[4:5], v[8:9], off scope:SCOPE_SYS
	s_and_b32 m0, s14, 0xffffff
	s_sendmsg sendmsg(MSG_INTERRUPT)
.LBB7_94:                               ;   in Loop: Header=BB7_29 Depth=1
	s_wait_xcnt 0x0
	s_or_b32 exec_lo, exec_lo, s1
	v_mov_b32_e32 v1, v9
	s_delay_alu instid0(VALU_DEP_1)
	v_add_nc_u64_e32 v[2:3], v[26:27], v[0:1]
	s_branch .LBB7_98
.LBB7_95:                               ;   in Loop: Header=BB7_98 Depth=2
	s_wait_xcnt 0x0
	s_or_b32 exec_lo, exec_lo, s1
	s_delay_alu instid0(VALU_DEP_1)
	v_readfirstlane_b32 s1, v1
	s_cmp_eq_u32 s1, 0
	s_cbranch_scc1 .LBB7_97
; %bb.96:                               ;   in Loop: Header=BB7_98 Depth=2
	s_sleep 1
	s_cbranch_execnz .LBB7_98
	s_branch .LBB7_100
.LBB7_97:                               ;   in Loop: Header=BB7_29 Depth=1
	s_branch .LBB7_100
.LBB7_98:                               ;   Parent Loop BB7_29 Depth=1
                                        ; =>  This Inner Loop Header: Depth=2
	v_mov_b32_e32 v1, 1
	s_and_saveexec_b32 s1, s0
	s_cbranch_execz .LBB7_95
; %bb.99:                               ;   in Loop: Header=BB7_98 Depth=2
	global_load_b32 v1, v[30:31], off offset:20 scope:SCOPE_SYS
	s_wait_loadcnt 0x0
	global_inv scope:SCOPE_SYS
	v_and_b32_e32 v1, 1, v1
	s_branch .LBB7_95
.LBB7_100:                              ;   in Loop: Header=BB7_29 Depth=1
	global_load_b64 v[2:3], v[2:3], off
	s_wait_xcnt 0x0
	s_and_saveexec_b32 s14, s0
	s_cbranch_execz .LBB7_28
; %bb.101:                              ;   in Loop: Header=BB7_29 Depth=1
	s_clause 0x2
	global_load_b64 v[4:5], v9, s[2:3] offset:40
	global_load_b64 v[16:17], v9, s[2:3] offset:24 scope:SCOPE_SYS
	global_load_b64 v[12:13], v9, s[2:3]
	s_wait_loadcnt 0x2
	v_readfirstlane_b32 s16, v4
	v_readfirstlane_b32 s17, v5
	s_add_nc_u64 s[0:1], s[16:17], 1
	s_delay_alu instid0(SALU_CYCLE_1) | instskip(NEXT) | instid1(SALU_CYCLE_1)
	s_add_nc_u64 s[12:13], s[0:1], s[12:13]
	s_cmp_eq_u64 s[12:13], 0
	s_cselect_b32 s1, s1, s13
	s_cselect_b32 s0, s0, s12
	s_delay_alu instid0(SALU_CYCLE_1) | instskip(SKIP_1) | instid1(SALU_CYCLE_1)
	v_dual_mov_b32 v15, s1 :: v_dual_mov_b32 v14, s0
	s_and_b64 s[12:13], s[0:1], s[16:17]
	s_mul_u64 s[12:13], s[12:13], 24
	s_wait_loadcnt 0x0
	v_add_nc_u64_e32 v[4:5], s[12:13], v[12:13]
	global_store_b64 v[4:5], v[16:17], off
	global_wb scope:SCOPE_SYS
	s_wait_storecnt 0x0
	s_wait_xcnt 0x0
	global_atomic_cmpswap_b64 v[14:15], v9, v[14:17], s[2:3] offset:24 th:TH_ATOMIC_RETURN scope:SCOPE_SYS
	s_wait_loadcnt 0x0
	v_cmp_ne_u64_e32 vcc_lo, v[14:15], v[16:17]
	s_and_b32 exec_lo, exec_lo, vcc_lo
	s_cbranch_execz .LBB7_28
; %bb.102:                              ;   in Loop: Header=BB7_29 Depth=1
	s_mov_b32 s12, 0
.LBB7_103:                              ;   Parent Loop BB7_29 Depth=1
                                        ; =>  This Inner Loop Header: Depth=2
	v_dual_mov_b32 v12, s0 :: v_dual_mov_b32 v13, s1
	s_sleep 1
	global_store_b64 v[4:5], v[14:15], off
	global_wb scope:SCOPE_SYS
	s_wait_storecnt 0x0
	s_wait_xcnt 0x0
	global_atomic_cmpswap_b64 v[12:13], v9, v[12:15], s[2:3] offset:24 th:TH_ATOMIC_RETURN scope:SCOPE_SYS
	s_wait_loadcnt 0x0
	v_cmp_eq_u64_e32 vcc_lo, v[12:13], v[14:15]
	v_mov_b64_e32 v[14:15], v[12:13]
	s_or_b32 s12, vcc_lo, s12
	s_delay_alu instid0(SALU_CYCLE_1)
	s_and_not1_b32 exec_lo, exec_lo, s12
	s_cbranch_execnz .LBB7_103
	s_branch .LBB7_28
.LBB7_104:
                                        ; implicit-def: $vgpr2_vgpr3
	s_cbranch_execnz .LBB7_106
	s_branch .LBB7_133
.LBB7_105:
	s_branch .LBB7_133
.LBB7_106:
	v_readfirstlane_b32 s0, v29
	v_mov_b64_e32 v[8:9], 0
	s_delay_alu instid0(VALU_DEP_2)
	v_cmp_eq_u32_e64 s0, s0, v29
	s_and_saveexec_b32 s1, s0
	s_cbranch_execz .LBB7_112
; %bb.107:
	v_mov_b32_e32 v1, 0
	s_mov_b32 s4, exec_lo
	global_load_b64 v[4:5], v1, s[2:3] offset:24 scope:SCOPE_SYS
	s_wait_loadcnt 0x0
	global_inv scope:SCOPE_SYS
	s_clause 0x1
	global_load_b64 v[2:3], v1, s[2:3] offset:40
	global_load_b64 v[8:9], v1, s[2:3]
	s_wait_loadcnt 0x1
	v_and_b32_e32 v2, v2, v4
	v_and_b32_e32 v3, v3, v5
	s_delay_alu instid0(VALU_DEP_1) | instskip(SKIP_1) | instid1(VALU_DEP_1)
	v_mul_u64_e32 v[2:3], 24, v[2:3]
	s_wait_loadcnt 0x0
	v_add_nc_u64_e32 v[2:3], v[8:9], v[2:3]
	global_load_b64 v[2:3], v[2:3], off scope:SCOPE_SYS
	s_wait_xcnt 0x0
	s_wait_loadcnt 0x0
	global_atomic_cmpswap_b64 v[8:9], v1, v[2:5], s[2:3] offset:24 th:TH_ATOMIC_RETURN scope:SCOPE_SYS
	s_wait_loadcnt 0x0
	global_inv scope:SCOPE_SYS
	s_wait_xcnt 0x0
	v_cmpx_ne_u64_e64 v[8:9], v[4:5]
	s_cbranch_execz .LBB7_111
; %bb.108:
	s_mov_b32 s5, 0
.LBB7_109:                              ; =>This Inner Loop Header: Depth=1
	s_sleep 1
	s_clause 0x1
	global_load_b64 v[2:3], v1, s[2:3] offset:40
	global_load_b64 v[10:11], v1, s[2:3]
	v_mov_b64_e32 v[4:5], v[8:9]
	s_wait_loadcnt 0x1
	s_delay_alu instid0(VALU_DEP_1) | instskip(SKIP_1) | instid1(VALU_DEP_1)
	v_and_b32_e32 v2, v2, v4
	s_wait_loadcnt 0x0
	v_mad_nc_u64_u32 v[8:9], v2, 24, v[10:11]
	s_delay_alu instid0(VALU_DEP_3) | instskip(NEXT) | instid1(VALU_DEP_1)
	v_and_b32_e32 v2, v3, v5
	v_mad_u32 v9, v2, 24, v9
	global_load_b64 v[2:3], v[8:9], off scope:SCOPE_SYS
	s_wait_xcnt 0x0
	s_wait_loadcnt 0x0
	global_atomic_cmpswap_b64 v[8:9], v1, v[2:5], s[2:3] offset:24 th:TH_ATOMIC_RETURN scope:SCOPE_SYS
	s_wait_loadcnt 0x0
	global_inv scope:SCOPE_SYS
	v_cmp_eq_u64_e32 vcc_lo, v[8:9], v[4:5]
	s_or_b32 s5, vcc_lo, s5
	s_wait_xcnt 0x0
	s_and_not1_b32 exec_lo, exec_lo, s5
	s_cbranch_execnz .LBB7_109
; %bb.110:
	s_or_b32 exec_lo, exec_lo, s5
.LBB7_111:
	s_delay_alu instid0(SALU_CYCLE_1)
	s_or_b32 exec_lo, exec_lo, s4
.LBB7_112:
	s_delay_alu instid0(SALU_CYCLE_1)
	s_or_b32 exec_lo, exec_lo, s1
	v_readfirstlane_b32 s4, v8
	v_mov_b32_e32 v1, 0
	v_readfirstlane_b32 s5, v9
	s_mov_b32 s1, exec_lo
	global_load_b64 v[10:11], v1, s[2:3] offset:40
	s_wait_loadcnt 0x1
	global_load_b128 v[2:5], v1, s[2:3]
	s_wait_loadcnt 0x1
	v_and_b32_e32 v8, s4, v10
	v_and_b32_e32 v9, s5, v11
	s_delay_alu instid0(VALU_DEP_1) | instskip(SKIP_1) | instid1(VALU_DEP_1)
	v_mul_u64_e32 v[10:11], 24, v[8:9]
	s_wait_loadcnt 0x0
	v_add_nc_u64_e32 v[10:11], v[2:3], v[10:11]
	s_wait_xcnt 0x0
	s_and_saveexec_b32 s6, s0
	s_cbranch_execz .LBB7_114
; %bb.113:
	v_mov_b64_e32 v[14:15], 0x100000002
	v_dual_mov_b32 v12, s1 :: v_dual_mov_b32 v13, v1
	global_store_b128 v[10:11], v[12:15], off offset:8
.LBB7_114:
	s_wait_xcnt 0x0
	s_or_b32 exec_lo, exec_lo, s6
	v_lshlrev_b64_e32 v[8:9], 12, v[8:9]
	s_mov_b32 s12, 0
	v_and_or_b32 v6, 0xffffff1f, v6, 32
	s_mov_b32 s14, s12
	s_mov_b32 s15, s12
	;; [unrolled: 1-line block ×3, first 2 shown]
	v_mov_b64_e32 v[16:17], s[14:15]
	v_add_nc_u64_e32 v[12:13], v[4:5], v[8:9]
	v_mov_b64_e32 v[14:15], s[12:13]
	v_dual_mov_b32 v8, v1 :: v_dual_mov_b32 v9, v1
	s_delay_alu instid0(VALU_DEP_3) | instskip(NEXT) | instid1(VALU_DEP_4)
	v_readfirstlane_b32 s6, v12
	v_readfirstlane_b32 s7, v13
	s_clause 0x3
	global_store_b128 v0, v[6:9], s[6:7]
	global_store_b128 v0, v[14:17], s[6:7] offset:16
	global_store_b128 v0, v[14:17], s[6:7] offset:32
	;; [unrolled: 1-line block ×3, first 2 shown]
	s_wait_xcnt 0x0
	s_and_saveexec_b32 s1, s0
	s_cbranch_execz .LBB7_122
; %bb.115:
	v_dual_mov_b32 v8, 0 :: v_dual_mov_b32 v15, s5
	s_mov_b32 s6, exec_lo
	s_clause 0x1
	global_load_b64 v[16:17], v8, s[2:3] offset:32 scope:SCOPE_SYS
	global_load_b64 v[4:5], v8, s[2:3] offset:40
	s_wait_loadcnt 0x0
	v_dual_mov_b32 v14, s4 :: v_dual_bitop2_b32 v5, s5, v5 bitop3:0x40
	v_and_b32_e32 v4, s4, v4
	s_delay_alu instid0(VALU_DEP_1) | instskip(NEXT) | instid1(VALU_DEP_1)
	v_mul_u64_e32 v[4:5], 24, v[4:5]
	v_add_nc_u64_e32 v[6:7], v[2:3], v[4:5]
	global_store_b64 v[6:7], v[16:17], off
	global_wb scope:SCOPE_SYS
	s_wait_storecnt 0x0
	s_wait_xcnt 0x0
	global_atomic_cmpswap_b64 v[4:5], v8, v[14:17], s[2:3] offset:32 th:TH_ATOMIC_RETURN scope:SCOPE_SYS
	s_wait_loadcnt 0x0
	v_cmpx_ne_u64_e64 v[4:5], v[16:17]
	s_cbranch_execz .LBB7_118
; %bb.116:
	s_mov_b32 s7, 0
.LBB7_117:                              ; =>This Inner Loop Header: Depth=1
	v_dual_mov_b32 v2, s4 :: v_dual_mov_b32 v3, s5
	s_sleep 1
	global_store_b64 v[6:7], v[4:5], off
	global_wb scope:SCOPE_SYS
	s_wait_storecnt 0x0
	s_wait_xcnt 0x0
	global_atomic_cmpswap_b64 v[2:3], v8, v[2:5], s[2:3] offset:32 th:TH_ATOMIC_RETURN scope:SCOPE_SYS
	s_wait_loadcnt 0x0
	v_cmp_eq_u64_e32 vcc_lo, v[2:3], v[4:5]
	v_mov_b64_e32 v[4:5], v[2:3]
	s_or_b32 s7, vcc_lo, s7
	s_delay_alu instid0(SALU_CYCLE_1)
	s_and_not1_b32 exec_lo, exec_lo, s7
	s_cbranch_execnz .LBB7_117
.LBB7_118:
	s_or_b32 exec_lo, exec_lo, s6
	v_mov_b32_e32 v5, 0
	s_mov_b32 s7, exec_lo
	s_mov_b32 s6, exec_lo
	v_mbcnt_lo_u32_b32 v4, s7, 0
	global_load_b64 v[2:3], v5, s[2:3] offset:16
	s_wait_xcnt 0x0
	v_cmpx_eq_u32_e32 0, v4
	s_cbranch_execz .LBB7_120
; %bb.119:
	s_bcnt1_i32_b32 s7, s7
	s_delay_alu instid0(SALU_CYCLE_1)
	v_mov_b32_e32 v4, s7
	global_wb scope:SCOPE_SYS
	s_wait_loadcnt 0x0
	s_wait_storecnt 0x0
	global_atomic_add_u64 v[2:3], v[4:5], off offset:8 scope:SCOPE_SYS
.LBB7_120:
	s_wait_xcnt 0x0
	s_or_b32 exec_lo, exec_lo, s6
	s_wait_loadcnt 0x0
	global_load_b64 v[4:5], v[2:3], off offset:16
	s_wait_loadcnt 0x0
	v_cmp_eq_u64_e32 vcc_lo, 0, v[4:5]
	s_cbranch_vccnz .LBB7_122
; %bb.121:
	global_load_b32 v2, v[2:3], off offset:24
	s_wait_xcnt 0x0
	v_mov_b32_e32 v3, 0
	s_wait_loadcnt 0x0
	v_readfirstlane_b32 s6, v2
	global_wb scope:SCOPE_SYS
	s_wait_storecnt 0x0
	global_store_b64 v[4:5], v[2:3], off scope:SCOPE_SYS
	s_and_b32 m0, s6, 0xffffff
	s_sendmsg sendmsg(MSG_INTERRUPT)
.LBB7_122:
	s_wait_xcnt 0x0
	s_or_b32 exec_lo, exec_lo, s1
	v_add_nc_u64_e32 v[2:3], v[12:13], v[0:1]
	s_branch .LBB7_126
.LBB7_123:                              ;   in Loop: Header=BB7_126 Depth=1
	s_wait_xcnt 0x0
	s_or_b32 exec_lo, exec_lo, s1
	s_delay_alu instid0(VALU_DEP_1)
	v_readfirstlane_b32 s1, v1
	s_cmp_eq_u32 s1, 0
	s_cbranch_scc1 .LBB7_125
; %bb.124:                              ;   in Loop: Header=BB7_126 Depth=1
	s_sleep 1
	s_cbranch_execnz .LBB7_126
	s_branch .LBB7_128
.LBB7_125:
	s_branch .LBB7_128
.LBB7_126:                              ; =>This Inner Loop Header: Depth=1
	v_mov_b32_e32 v1, 1
	s_and_saveexec_b32 s1, s0
	s_cbranch_execz .LBB7_123
; %bb.127:                              ;   in Loop: Header=BB7_126 Depth=1
	global_load_b32 v1, v[10:11], off offset:20 scope:SCOPE_SYS
	s_wait_loadcnt 0x0
	global_inv scope:SCOPE_SYS
	v_and_b32_e32 v1, 1, v1
	s_branch .LBB7_123
.LBB7_128:
	global_load_b64 v[2:3], v[2:3], off
	s_wait_xcnt 0x0
	s_and_saveexec_b32 s6, s0
	s_cbranch_execz .LBB7_132
; %bb.129:
	v_mov_b32_e32 v1, 0
	s_clause 0x2
	global_load_b64 v[4:5], v1, s[2:3] offset:40
	global_load_b64 v[12:13], v1, s[2:3] offset:24 scope:SCOPE_SYS
	global_load_b64 v[6:7], v1, s[2:3]
	s_wait_loadcnt 0x2
	v_readfirstlane_b32 s10, v4
	v_readfirstlane_b32 s11, v5
	s_add_nc_u64 s[0:1], s[10:11], 1
	s_delay_alu instid0(SALU_CYCLE_1) | instskip(NEXT) | instid1(SALU_CYCLE_1)
	s_add_nc_u64 s[4:5], s[0:1], s[4:5]
	s_cmp_eq_u64 s[4:5], 0
	s_cselect_b32 s1, s1, s5
	s_cselect_b32 s0, s0, s4
	v_mov_b32_e32 v11, s1
	s_and_b64 s[4:5], s[0:1], s[10:11]
	v_mov_b32_e32 v10, s0
	s_mul_u64 s[4:5], s[4:5], 24
	s_wait_loadcnt 0x0
	v_add_nc_u64_e32 v[8:9], s[4:5], v[6:7]
	global_store_b64 v[8:9], v[12:13], off
	global_wb scope:SCOPE_SYS
	s_wait_storecnt 0x0
	s_wait_xcnt 0x0
	global_atomic_cmpswap_b64 v[6:7], v1, v[10:13], s[2:3] offset:24 th:TH_ATOMIC_RETURN scope:SCOPE_SYS
	s_wait_loadcnt 0x0
	v_cmp_ne_u64_e32 vcc_lo, v[6:7], v[12:13]
	s_and_b32 exec_lo, exec_lo, vcc_lo
	s_cbranch_execz .LBB7_132
; %bb.130:
	s_mov_b32 s4, 0
.LBB7_131:                              ; =>This Inner Loop Header: Depth=1
	v_dual_mov_b32 v4, s0 :: v_dual_mov_b32 v5, s1
	s_sleep 1
	global_store_b64 v[8:9], v[6:7], off
	global_wb scope:SCOPE_SYS
	s_wait_storecnt 0x0
	s_wait_xcnt 0x0
	global_atomic_cmpswap_b64 v[4:5], v1, v[4:7], s[2:3] offset:24 th:TH_ATOMIC_RETURN scope:SCOPE_SYS
	s_wait_loadcnt 0x0
	v_cmp_eq_u64_e32 vcc_lo, v[4:5], v[6:7]
	v_mov_b64_e32 v[6:7], v[4:5]
	s_or_b32 s4, vcc_lo, s4
	s_delay_alu instid0(SALU_CYCLE_1)
	s_and_not1_b32 exec_lo, exec_lo, s4
	s_cbranch_execnz .LBB7_131
.LBB7_132:
	s_or_b32 exec_lo, exec_lo, s6
.LBB7_133:
	s_get_pc_i64 s[4:5]
	s_add_nc_u64 s[4:5], s[4:5], .str.3@rel64+4
	s_mov_b64 s[6:7], 0
	s_cmp_lg_u64 s[4:5], 0
	s_cselect_b32 s10, -1, 0
	s_cmp_eq_u64 s[4:5], 0
	s_cbranch_scc1 .LBB7_137
; %bb.134:
	s_get_pc_i64 s[0:1]
	s_add_nc_u64 s[0:1], s[0:1], .str.3@rel64+3
.LBB7_135:                              ; =>This Inner Loop Header: Depth=1
	s_load_u8 s6, s[0:1], 0x1
	s_wait_xcnt 0x0
	s_add_nc_u64 s[0:1], s[0:1], 1
	s_wait_kmcnt 0x0
	s_cmp_lg_u32 s6, 0
	s_cbranch_scc1 .LBB7_135
; %bb.136:
	s_get_pc_i64 s[6:7]
	s_add_nc_u64 s[6:7], s[6:7], .str.3@rel64+4
	s_delay_alu instid0(SALU_CYCLE_1) | instskip(NEXT) | instid1(SALU_CYCLE_1)
	s_sub_nc_u64 s[0:1], s[0:1], s[6:7]
	s_add_nc_u64 s[6:7], s[0:1], 1
.LBB7_137:
	s_and_b32 vcc_lo, exec_lo, s10
	s_cbranch_vccz .LBB7_215
; %bb.138:
	v_mov_b64_e32 v[10:11], 0x100000002
	s_wait_loadcnt 0x0
	v_dual_mov_b32 v9, 0 :: v_dual_bitop2_b32 v28, 2, v2 bitop3:0x40
	v_dual_mov_b32 v5, v3 :: v_dual_bitop2_b32 v4, -3, v2 bitop3:0x40
	s_branch .LBB7_140
.LBB7_139:                              ;   in Loop: Header=BB7_140 Depth=1
	s_or_b32 exec_lo, exec_lo, s14
	s_sub_nc_u64 s[6:7], s[6:7], s[10:11]
	s_add_nc_u64 s[4:5], s[4:5], s[10:11]
	s_cmp_lg_u64 s[6:7], 0
	s_cbranch_scc0 .LBB7_216
.LBB7_140:                              ; =>This Loop Header: Depth=1
                                        ;     Child Loop BB7_143 Depth 2
                                        ;     Child Loop BB7_150 Depth 2
	;; [unrolled: 1-line block ×11, first 2 shown]
	v_min_u64 v[6:7], s[6:7], 56
	v_cmp_gt_u64_e64 s0, s[6:7], 7
	s_and_b32 vcc_lo, exec_lo, s0
	v_readfirstlane_b32 s10, v6
	v_readfirstlane_b32 s11, v7
	s_cbranch_vccnz .LBB7_145
; %bb.141:                              ;   in Loop: Header=BB7_140 Depth=1
	v_mov_b64_e32 v[6:7], 0
	s_cmp_eq_u64 s[6:7], 0
	s_cbranch_scc1 .LBB7_144
; %bb.142:                              ;   in Loop: Header=BB7_140 Depth=1
	s_mov_b64 s[0:1], 0
	s_mov_b64 s[12:13], 0
.LBB7_143:                              ;   Parent Loop BB7_140 Depth=1
                                        ; =>  This Inner Loop Header: Depth=2
	s_wait_xcnt 0x0
	s_add_nc_u64 s[14:15], s[4:5], s[12:13]
	s_add_nc_u64 s[12:13], s[12:13], 1
	global_load_u8 v1, v9, s[14:15]
	s_cmp_lg_u32 s10, s12
	s_wait_loadcnt 0x0
	v_and_b32_e32 v8, 0xffff, v1
	s_delay_alu instid0(VALU_DEP_1) | instskip(SKIP_1) | instid1(VALU_DEP_1)
	v_lshlrev_b64_e32 v[12:13], s0, v[8:9]
	s_add_nc_u64 s[0:1], s[0:1], 8
	v_or_b32_e32 v6, v12, v6
	s_delay_alu instid0(VALU_DEP_2)
	v_or_b32_e32 v7, v13, v7
	s_cbranch_scc1 .LBB7_143
.LBB7_144:                              ;   in Loop: Header=BB7_140 Depth=1
	s_mov_b64 s[12:13], s[4:5]
	s_mov_b32 s16, 0
	s_cbranch_execz .LBB7_146
	s_branch .LBB7_147
.LBB7_145:                              ;   in Loop: Header=BB7_140 Depth=1
	s_add_nc_u64 s[12:13], s[4:5], 8
	s_mov_b32 s16, 0
.LBB7_146:                              ;   in Loop: Header=BB7_140 Depth=1
	global_load_b64 v[6:7], v9, s[4:5]
	s_add_co_i32 s16, s10, -8
.LBB7_147:                              ;   in Loop: Header=BB7_140 Depth=1
	s_delay_alu instid0(SALU_CYCLE_1)
	s_cmp_gt_u32 s16, 7
	s_cbranch_scc1 .LBB7_152
; %bb.148:                              ;   in Loop: Header=BB7_140 Depth=1
	v_mov_b64_e32 v[12:13], 0
	s_cmp_eq_u32 s16, 0
	s_cbranch_scc1 .LBB7_151
; %bb.149:                              ;   in Loop: Header=BB7_140 Depth=1
	s_mov_b64 s[0:1], 0
	s_wait_xcnt 0x0
	s_mov_b64 s[14:15], 0
.LBB7_150:                              ;   Parent Loop BB7_140 Depth=1
                                        ; =>  This Inner Loop Header: Depth=2
	s_wait_xcnt 0x0
	s_add_nc_u64 s[18:19], s[12:13], s[14:15]
	s_add_nc_u64 s[14:15], s[14:15], 1
	global_load_u8 v1, v9, s[18:19]
	s_cmp_lg_u32 s16, s14
	s_wait_loadcnt 0x0
	v_and_b32_e32 v8, 0xffff, v1
	s_delay_alu instid0(VALU_DEP_1) | instskip(SKIP_1) | instid1(VALU_DEP_1)
	v_lshlrev_b64_e32 v[14:15], s0, v[8:9]
	s_add_nc_u64 s[0:1], s[0:1], 8
	v_or_b32_e32 v12, v14, v12
	s_delay_alu instid0(VALU_DEP_2)
	v_or_b32_e32 v13, v15, v13
	s_cbranch_scc1 .LBB7_150
.LBB7_151:                              ;   in Loop: Header=BB7_140 Depth=1
	s_wait_xcnt 0x0
	s_mov_b64 s[0:1], s[12:13]
	s_mov_b32 s17, 0
	s_cbranch_execz .LBB7_153
	s_branch .LBB7_154
.LBB7_152:                              ;   in Loop: Header=BB7_140 Depth=1
	s_add_nc_u64 s[0:1], s[12:13], 8
	s_wait_xcnt 0x0
                                        ; implicit-def: $vgpr12_vgpr13
	s_mov_b32 s17, 0
.LBB7_153:                              ;   in Loop: Header=BB7_140 Depth=1
	global_load_b64 v[12:13], v9, s[12:13]
	s_add_co_i32 s17, s16, -8
.LBB7_154:                              ;   in Loop: Header=BB7_140 Depth=1
	s_delay_alu instid0(SALU_CYCLE_1)
	s_cmp_gt_u32 s17, 7
	s_cbranch_scc1 .LBB7_159
; %bb.155:                              ;   in Loop: Header=BB7_140 Depth=1
	v_mov_b64_e32 v[14:15], 0
	s_cmp_eq_u32 s17, 0
	s_cbranch_scc1 .LBB7_158
; %bb.156:                              ;   in Loop: Header=BB7_140 Depth=1
	s_wait_xcnt 0x0
	s_mov_b64 s[12:13], 0
	s_mov_b64 s[14:15], 0
.LBB7_157:                              ;   Parent Loop BB7_140 Depth=1
                                        ; =>  This Inner Loop Header: Depth=2
	s_wait_xcnt 0x0
	s_add_nc_u64 s[18:19], s[0:1], s[14:15]
	s_add_nc_u64 s[14:15], s[14:15], 1
	global_load_u8 v1, v9, s[18:19]
	s_cmp_lg_u32 s17, s14
	s_wait_loadcnt 0x0
	v_and_b32_e32 v8, 0xffff, v1
	s_delay_alu instid0(VALU_DEP_1) | instskip(SKIP_1) | instid1(VALU_DEP_1)
	v_lshlrev_b64_e32 v[16:17], s12, v[8:9]
	s_add_nc_u64 s[12:13], s[12:13], 8
	v_or_b32_e32 v14, v16, v14
	s_delay_alu instid0(VALU_DEP_2)
	v_or_b32_e32 v15, v17, v15
	s_cbranch_scc1 .LBB7_157
.LBB7_158:                              ;   in Loop: Header=BB7_140 Depth=1
	s_wait_xcnt 0x0
	s_mov_b64 s[12:13], s[0:1]
	s_mov_b32 s16, 0
	s_cbranch_execz .LBB7_160
	s_branch .LBB7_161
.LBB7_159:                              ;   in Loop: Header=BB7_140 Depth=1
	s_wait_xcnt 0x0
	s_add_nc_u64 s[12:13], s[0:1], 8
	s_mov_b32 s16, 0
.LBB7_160:                              ;   in Loop: Header=BB7_140 Depth=1
	global_load_b64 v[14:15], v9, s[0:1]
	s_add_co_i32 s16, s17, -8
.LBB7_161:                              ;   in Loop: Header=BB7_140 Depth=1
	s_delay_alu instid0(SALU_CYCLE_1)
	s_cmp_gt_u32 s16, 7
	s_cbranch_scc1 .LBB7_166
; %bb.162:                              ;   in Loop: Header=BB7_140 Depth=1
	v_mov_b64_e32 v[16:17], 0
	s_cmp_eq_u32 s16, 0
	s_cbranch_scc1 .LBB7_165
; %bb.163:                              ;   in Loop: Header=BB7_140 Depth=1
	s_wait_xcnt 0x0
	s_mov_b64 s[0:1], 0
	s_mov_b64 s[14:15], 0
.LBB7_164:                              ;   Parent Loop BB7_140 Depth=1
                                        ; =>  This Inner Loop Header: Depth=2
	s_wait_xcnt 0x0
	s_add_nc_u64 s[18:19], s[12:13], s[14:15]
	s_add_nc_u64 s[14:15], s[14:15], 1
	global_load_u8 v1, v9, s[18:19]
	s_cmp_lg_u32 s16, s14
	s_wait_loadcnt 0x0
	v_and_b32_e32 v8, 0xffff, v1
	s_delay_alu instid0(VALU_DEP_1) | instskip(SKIP_1) | instid1(VALU_DEP_1)
	v_lshlrev_b64_e32 v[18:19], s0, v[8:9]
	s_add_nc_u64 s[0:1], s[0:1], 8
	v_or_b32_e32 v16, v18, v16
	s_delay_alu instid0(VALU_DEP_2)
	v_or_b32_e32 v17, v19, v17
	s_cbranch_scc1 .LBB7_164
.LBB7_165:                              ;   in Loop: Header=BB7_140 Depth=1
	s_wait_xcnt 0x0
	s_mov_b64 s[0:1], s[12:13]
	s_mov_b32 s17, 0
	s_cbranch_execz .LBB7_167
	s_branch .LBB7_168
.LBB7_166:                              ;   in Loop: Header=BB7_140 Depth=1
	s_wait_xcnt 0x0
	s_add_nc_u64 s[0:1], s[12:13], 8
                                        ; implicit-def: $vgpr16_vgpr17
	s_mov_b32 s17, 0
.LBB7_167:                              ;   in Loop: Header=BB7_140 Depth=1
	global_load_b64 v[16:17], v9, s[12:13]
	s_add_co_i32 s17, s16, -8
.LBB7_168:                              ;   in Loop: Header=BB7_140 Depth=1
	s_delay_alu instid0(SALU_CYCLE_1)
	s_cmp_gt_u32 s17, 7
	s_cbranch_scc1 .LBB7_173
; %bb.169:                              ;   in Loop: Header=BB7_140 Depth=1
	v_mov_b64_e32 v[18:19], 0
	s_cmp_eq_u32 s17, 0
	s_cbranch_scc1 .LBB7_172
; %bb.170:                              ;   in Loop: Header=BB7_140 Depth=1
	s_wait_xcnt 0x0
	s_mov_b64 s[12:13], 0
	s_mov_b64 s[14:15], 0
.LBB7_171:                              ;   Parent Loop BB7_140 Depth=1
                                        ; =>  This Inner Loop Header: Depth=2
	s_wait_xcnt 0x0
	s_add_nc_u64 s[18:19], s[0:1], s[14:15]
	s_add_nc_u64 s[14:15], s[14:15], 1
	global_load_u8 v1, v9, s[18:19]
	s_cmp_lg_u32 s17, s14
	s_wait_loadcnt 0x0
	v_and_b32_e32 v8, 0xffff, v1
	s_delay_alu instid0(VALU_DEP_1) | instskip(SKIP_1) | instid1(VALU_DEP_1)
	v_lshlrev_b64_e32 v[20:21], s12, v[8:9]
	s_add_nc_u64 s[12:13], s[12:13], 8
	v_or_b32_e32 v18, v20, v18
	s_delay_alu instid0(VALU_DEP_2)
	v_or_b32_e32 v19, v21, v19
	s_cbranch_scc1 .LBB7_171
.LBB7_172:                              ;   in Loop: Header=BB7_140 Depth=1
	s_wait_xcnt 0x0
	s_mov_b64 s[12:13], s[0:1]
	s_mov_b32 s16, 0
	s_cbranch_execz .LBB7_174
	s_branch .LBB7_175
.LBB7_173:                              ;   in Loop: Header=BB7_140 Depth=1
	s_wait_xcnt 0x0
	s_add_nc_u64 s[12:13], s[0:1], 8
	s_mov_b32 s16, 0
.LBB7_174:                              ;   in Loop: Header=BB7_140 Depth=1
	global_load_b64 v[18:19], v9, s[0:1]
	s_add_co_i32 s16, s17, -8
.LBB7_175:                              ;   in Loop: Header=BB7_140 Depth=1
	s_delay_alu instid0(SALU_CYCLE_1)
	s_cmp_gt_u32 s16, 7
	s_cbranch_scc1 .LBB7_180
; %bb.176:                              ;   in Loop: Header=BB7_140 Depth=1
	v_mov_b64_e32 v[20:21], 0
	s_cmp_eq_u32 s16, 0
	s_cbranch_scc1 .LBB7_179
; %bb.177:                              ;   in Loop: Header=BB7_140 Depth=1
	s_wait_xcnt 0x0
	s_mov_b64 s[0:1], 0
	s_mov_b64 s[14:15], 0
.LBB7_178:                              ;   Parent Loop BB7_140 Depth=1
                                        ; =>  This Inner Loop Header: Depth=2
	s_wait_xcnt 0x0
	s_add_nc_u64 s[18:19], s[12:13], s[14:15]
	s_add_nc_u64 s[14:15], s[14:15], 1
	global_load_u8 v1, v9, s[18:19]
	s_cmp_lg_u32 s16, s14
	s_wait_loadcnt 0x0
	v_and_b32_e32 v8, 0xffff, v1
	s_delay_alu instid0(VALU_DEP_1) | instskip(SKIP_1) | instid1(VALU_DEP_1)
	v_lshlrev_b64_e32 v[22:23], s0, v[8:9]
	s_add_nc_u64 s[0:1], s[0:1], 8
	v_or_b32_e32 v20, v22, v20
	s_delay_alu instid0(VALU_DEP_2)
	v_or_b32_e32 v21, v23, v21
	s_cbranch_scc1 .LBB7_178
.LBB7_179:                              ;   in Loop: Header=BB7_140 Depth=1
	s_wait_xcnt 0x0
	s_mov_b64 s[0:1], s[12:13]
	s_mov_b32 s17, 0
	s_cbranch_execz .LBB7_181
	s_branch .LBB7_182
.LBB7_180:                              ;   in Loop: Header=BB7_140 Depth=1
	s_wait_xcnt 0x0
	s_add_nc_u64 s[0:1], s[12:13], 8
                                        ; implicit-def: $vgpr20_vgpr21
	s_mov_b32 s17, 0
.LBB7_181:                              ;   in Loop: Header=BB7_140 Depth=1
	global_load_b64 v[20:21], v9, s[12:13]
	s_add_co_i32 s17, s16, -8
.LBB7_182:                              ;   in Loop: Header=BB7_140 Depth=1
	s_delay_alu instid0(SALU_CYCLE_1)
	s_cmp_gt_u32 s17, 7
	s_cbranch_scc1 .LBB7_187
; %bb.183:                              ;   in Loop: Header=BB7_140 Depth=1
	v_mov_b64_e32 v[22:23], 0
	s_cmp_eq_u32 s17, 0
	s_cbranch_scc1 .LBB7_186
; %bb.184:                              ;   in Loop: Header=BB7_140 Depth=1
	s_wait_xcnt 0x0
	s_mov_b64 s[12:13], 0
	s_mov_b64 s[14:15], s[0:1]
.LBB7_185:                              ;   Parent Loop BB7_140 Depth=1
                                        ; =>  This Inner Loop Header: Depth=2
	global_load_u8 v1, v9, s[14:15]
	s_add_co_i32 s17, s17, -1
	s_wait_xcnt 0x0
	s_add_nc_u64 s[14:15], s[14:15], 1
	s_cmp_lg_u32 s17, 0
	s_wait_loadcnt 0x0
	v_and_b32_e32 v8, 0xffff, v1
	s_delay_alu instid0(VALU_DEP_1) | instskip(SKIP_1) | instid1(VALU_DEP_1)
	v_lshlrev_b64_e32 v[24:25], s12, v[8:9]
	s_add_nc_u64 s[12:13], s[12:13], 8
	v_or_b32_e32 v22, v24, v22
	s_delay_alu instid0(VALU_DEP_2)
	v_or_b32_e32 v23, v25, v23
	s_cbranch_scc1 .LBB7_185
.LBB7_186:                              ;   in Loop: Header=BB7_140 Depth=1
	s_wait_xcnt 0x0
	s_cbranch_execz .LBB7_188
	s_branch .LBB7_189
.LBB7_187:                              ;   in Loop: Header=BB7_140 Depth=1
	s_wait_xcnt 0x0
.LBB7_188:                              ;   in Loop: Header=BB7_140 Depth=1
	global_load_b64 v[22:23], v9, s[0:1]
.LBB7_189:                              ;   in Loop: Header=BB7_140 Depth=1
	s_wait_xcnt 0x0
	v_readfirstlane_b32 s0, v29
	v_mov_b64_e32 v[30:31], 0
	s_delay_alu instid0(VALU_DEP_2)
	v_cmp_eq_u32_e64 s0, s0, v29
	s_and_saveexec_b32 s1, s0
	s_cbranch_execz .LBB7_195
; %bb.190:                              ;   in Loop: Header=BB7_140 Depth=1
	global_load_b64 v[26:27], v9, s[2:3] offset:24 scope:SCOPE_SYS
	s_wait_loadcnt 0x0
	global_inv scope:SCOPE_SYS
	s_clause 0x1
	global_load_b64 v[24:25], v9, s[2:3] offset:40
	global_load_b64 v[30:31], v9, s[2:3]
	s_mov_b32 s12, exec_lo
	s_wait_loadcnt 0x1
	v_and_b32_e32 v24, v24, v26
	v_and_b32_e32 v25, v25, v27
	s_delay_alu instid0(VALU_DEP_1) | instskip(SKIP_1) | instid1(VALU_DEP_1)
	v_mul_u64_e32 v[24:25], 24, v[24:25]
	s_wait_loadcnt 0x0
	v_add_nc_u64_e32 v[24:25], v[30:31], v[24:25]
	global_load_b64 v[24:25], v[24:25], off scope:SCOPE_SYS
	s_wait_xcnt 0x0
	s_wait_loadcnt 0x0
	global_atomic_cmpswap_b64 v[30:31], v9, v[24:27], s[2:3] offset:24 th:TH_ATOMIC_RETURN scope:SCOPE_SYS
	s_wait_loadcnt 0x0
	global_inv scope:SCOPE_SYS
	s_wait_xcnt 0x0
	v_cmpx_ne_u64_e64 v[30:31], v[26:27]
	s_cbranch_execz .LBB7_194
; %bb.191:                              ;   in Loop: Header=BB7_140 Depth=1
	s_mov_b32 s13, 0
.LBB7_192:                              ;   Parent Loop BB7_140 Depth=1
                                        ; =>  This Inner Loop Header: Depth=2
	s_sleep 1
	s_clause 0x1
	global_load_b64 v[24:25], v9, s[2:3] offset:40
	global_load_b64 v[32:33], v9, s[2:3]
	v_mov_b64_e32 v[26:27], v[30:31]
	s_wait_loadcnt 0x1
	s_delay_alu instid0(VALU_DEP_1) | instskip(SKIP_1) | instid1(VALU_DEP_1)
	v_and_b32_e32 v1, v24, v26
	s_wait_loadcnt 0x0
	v_mad_nc_u64_u32 v[30:31], v1, 24, v[32:33]
	s_delay_alu instid0(VALU_DEP_3) | instskip(NEXT) | instid1(VALU_DEP_1)
	v_and_b32_e32 v1, v25, v27
	v_mad_u32 v31, v1, 24, v31
	global_load_b64 v[24:25], v[30:31], off scope:SCOPE_SYS
	s_wait_xcnt 0x0
	s_wait_loadcnt 0x0
	global_atomic_cmpswap_b64 v[30:31], v9, v[24:27], s[2:3] offset:24 th:TH_ATOMIC_RETURN scope:SCOPE_SYS
	s_wait_loadcnt 0x0
	global_inv scope:SCOPE_SYS
	v_cmp_eq_u64_e32 vcc_lo, v[30:31], v[26:27]
	s_or_b32 s13, vcc_lo, s13
	s_wait_xcnt 0x0
	s_and_not1_b32 exec_lo, exec_lo, s13
	s_cbranch_execnz .LBB7_192
; %bb.193:                              ;   in Loop: Header=BB7_140 Depth=1
	s_or_b32 exec_lo, exec_lo, s13
.LBB7_194:                              ;   in Loop: Header=BB7_140 Depth=1
	s_delay_alu instid0(SALU_CYCLE_1)
	s_or_b32 exec_lo, exec_lo, s12
.LBB7_195:                              ;   in Loop: Header=BB7_140 Depth=1
	s_delay_alu instid0(SALU_CYCLE_1)
	s_or_b32 exec_lo, exec_lo, s1
	s_clause 0x1
	global_load_b64 v[32:33], v9, s[2:3] offset:40
	global_load_b128 v[24:27], v9, s[2:3]
	v_readfirstlane_b32 s12, v30
	v_readfirstlane_b32 s13, v31
	s_mov_b32 s1, exec_lo
	s_wait_loadcnt 0x1
	v_and_b32_e32 v32, s12, v32
	v_and_b32_e32 v33, s13, v33
	s_delay_alu instid0(VALU_DEP_1) | instskip(SKIP_1) | instid1(VALU_DEP_1)
	v_mul_u64_e32 v[30:31], 24, v[32:33]
	s_wait_loadcnt 0x0
	v_add_nc_u64_e32 v[30:31], v[24:25], v[30:31]
	s_wait_xcnt 0x0
	s_and_saveexec_b32 s14, s0
	s_cbranch_execz .LBB7_197
; %bb.196:                              ;   in Loop: Header=BB7_140 Depth=1
	v_mov_b32_e32 v8, s1
	global_store_b128 v[30:31], v[8:11], off offset:8
.LBB7_197:                              ;   in Loop: Header=BB7_140 Depth=1
	s_wait_xcnt 0x0
	s_or_b32 exec_lo, exec_lo, s14
	v_cmp_lt_u64_e64 vcc_lo, s[6:7], 57
	v_lshlrev_b64_e32 v[32:33], 12, v[32:33]
	v_and_b32_e32 v4, 0xffffff1f, v4
	s_lshl_b32 s1, s10, 2
	s_delay_alu instid0(SALU_CYCLE_1) | instskip(SKIP_1) | instid1(VALU_DEP_3)
	s_add_co_i32 s1, s1, 28
	v_cndmask_b32_e32 v1, 0, v28, vcc_lo
	v_add_nc_u64_e32 v[26:27], v[26:27], v[32:33]
	s_delay_alu instid0(VALU_DEP_2) | instskip(NEXT) | instid1(VALU_DEP_2)
	v_or_b32_e32 v1, v4, v1
	v_readfirstlane_b32 s14, v26
	s_delay_alu instid0(VALU_DEP_3) | instskip(NEXT) | instid1(VALU_DEP_3)
	v_readfirstlane_b32 s15, v27
	v_and_or_b32 v4, 0x1e0, s1, v1
	s_clause 0x3
	global_store_b128 v0, v[4:7], s[14:15]
	global_store_b128 v0, v[12:15], s[14:15] offset:16
	global_store_b128 v0, v[16:19], s[14:15] offset:32
	;; [unrolled: 1-line block ×3, first 2 shown]
	s_wait_xcnt 0x0
	s_and_saveexec_b32 s1, s0
	s_cbranch_execz .LBB7_205
; %bb.198:                              ;   in Loop: Header=BB7_140 Depth=1
	s_clause 0x1
	global_load_b64 v[16:17], v9, s[2:3] offset:32 scope:SCOPE_SYS
	global_load_b64 v[4:5], v9, s[2:3] offset:40
	s_mov_b32 s14, exec_lo
	v_dual_mov_b32 v14, s12 :: v_dual_mov_b32 v15, s13
	s_wait_loadcnt 0x0
	v_and_b32_e32 v5, s13, v5
	v_and_b32_e32 v4, s12, v4
	s_delay_alu instid0(VALU_DEP_1) | instskip(NEXT) | instid1(VALU_DEP_1)
	v_mul_u64_e32 v[4:5], 24, v[4:5]
	v_add_nc_u64_e32 v[12:13], v[24:25], v[4:5]
	global_store_b64 v[12:13], v[16:17], off
	global_wb scope:SCOPE_SYS
	s_wait_storecnt 0x0
	s_wait_xcnt 0x0
	global_atomic_cmpswap_b64 v[6:7], v9, v[14:17], s[2:3] offset:32 th:TH_ATOMIC_RETURN scope:SCOPE_SYS
	s_wait_loadcnt 0x0
	v_cmpx_ne_u64_e64 v[6:7], v[16:17]
	s_cbranch_execz .LBB7_201
; %bb.199:                              ;   in Loop: Header=BB7_140 Depth=1
	s_mov_b32 s15, 0
.LBB7_200:                              ;   Parent Loop BB7_140 Depth=1
                                        ; =>  This Inner Loop Header: Depth=2
	v_dual_mov_b32 v4, s12 :: v_dual_mov_b32 v5, s13
	s_sleep 1
	global_store_b64 v[12:13], v[6:7], off
	global_wb scope:SCOPE_SYS
	s_wait_storecnt 0x0
	s_wait_xcnt 0x0
	global_atomic_cmpswap_b64 v[4:5], v9, v[4:7], s[2:3] offset:32 th:TH_ATOMIC_RETURN scope:SCOPE_SYS
	s_wait_loadcnt 0x0
	v_cmp_eq_u64_e32 vcc_lo, v[4:5], v[6:7]
	v_mov_b64_e32 v[6:7], v[4:5]
	s_or_b32 s15, vcc_lo, s15
	s_delay_alu instid0(SALU_CYCLE_1)
	s_and_not1_b32 exec_lo, exec_lo, s15
	s_cbranch_execnz .LBB7_200
.LBB7_201:                              ;   in Loop: Header=BB7_140 Depth=1
	s_or_b32 exec_lo, exec_lo, s14
	global_load_b64 v[4:5], v9, s[2:3] offset:16
	s_mov_b32 s15, exec_lo
	s_mov_b32 s14, exec_lo
	v_mbcnt_lo_u32_b32 v1, s15, 0
	s_wait_xcnt 0x0
	s_delay_alu instid0(VALU_DEP_1)
	v_cmpx_eq_u32_e32 0, v1
	s_cbranch_execz .LBB7_203
; %bb.202:                              ;   in Loop: Header=BB7_140 Depth=1
	s_bcnt1_i32_b32 s15, s15
	s_delay_alu instid0(SALU_CYCLE_1)
	v_mov_b32_e32 v8, s15
	global_wb scope:SCOPE_SYS
	s_wait_loadcnt 0x0
	s_wait_storecnt 0x0
	global_atomic_add_u64 v[4:5], v[8:9], off offset:8 scope:SCOPE_SYS
.LBB7_203:                              ;   in Loop: Header=BB7_140 Depth=1
	s_wait_xcnt 0x0
	s_or_b32 exec_lo, exec_lo, s14
	s_wait_loadcnt 0x0
	global_load_b64 v[6:7], v[4:5], off offset:16
	s_wait_loadcnt 0x0
	v_cmp_eq_u64_e32 vcc_lo, 0, v[6:7]
	s_cbranch_vccnz .LBB7_205
; %bb.204:                              ;   in Loop: Header=BB7_140 Depth=1
	global_load_b32 v8, v[4:5], off offset:24
	s_wait_loadcnt 0x0
	v_readfirstlane_b32 s14, v8
	global_wb scope:SCOPE_SYS
	s_wait_storecnt 0x0
	s_wait_xcnt 0x0
	global_store_b64 v[6:7], v[8:9], off scope:SCOPE_SYS
	s_and_b32 m0, s14, 0xffffff
	s_sendmsg sendmsg(MSG_INTERRUPT)
.LBB7_205:                              ;   in Loop: Header=BB7_140 Depth=1
	s_wait_xcnt 0x0
	s_or_b32 exec_lo, exec_lo, s1
	v_mov_b32_e32 v1, v9
	s_delay_alu instid0(VALU_DEP_1)
	v_add_nc_u64_e32 v[4:5], v[26:27], v[0:1]
	s_branch .LBB7_209
.LBB7_206:                              ;   in Loop: Header=BB7_209 Depth=2
	s_wait_xcnt 0x0
	s_or_b32 exec_lo, exec_lo, s1
	s_delay_alu instid0(VALU_DEP_1)
	v_readfirstlane_b32 s1, v1
	s_cmp_eq_u32 s1, 0
	s_cbranch_scc1 .LBB7_208
; %bb.207:                              ;   in Loop: Header=BB7_209 Depth=2
	s_sleep 1
	s_cbranch_execnz .LBB7_209
	s_branch .LBB7_211
.LBB7_208:                              ;   in Loop: Header=BB7_140 Depth=1
	s_branch .LBB7_211
.LBB7_209:                              ;   Parent Loop BB7_140 Depth=1
                                        ; =>  This Inner Loop Header: Depth=2
	v_mov_b32_e32 v1, 1
	s_and_saveexec_b32 s1, s0
	s_cbranch_execz .LBB7_206
; %bb.210:                              ;   in Loop: Header=BB7_209 Depth=2
	global_load_b32 v1, v[30:31], off offset:20 scope:SCOPE_SYS
	s_wait_loadcnt 0x0
	global_inv scope:SCOPE_SYS
	v_and_b32_e32 v1, 1, v1
	s_branch .LBB7_206
.LBB7_211:                              ;   in Loop: Header=BB7_140 Depth=1
	global_load_b64 v[4:5], v[4:5], off
	s_wait_xcnt 0x0
	s_and_saveexec_b32 s14, s0
	s_cbranch_execz .LBB7_139
; %bb.212:                              ;   in Loop: Header=BB7_140 Depth=1
	s_clause 0x2
	global_load_b64 v[6:7], v9, s[2:3] offset:40
	global_load_b64 v[16:17], v9, s[2:3] offset:24 scope:SCOPE_SYS
	global_load_b64 v[12:13], v9, s[2:3]
	s_wait_loadcnt 0x2
	v_readfirstlane_b32 s16, v6
	v_readfirstlane_b32 s17, v7
	s_add_nc_u64 s[0:1], s[16:17], 1
	s_delay_alu instid0(SALU_CYCLE_1) | instskip(NEXT) | instid1(SALU_CYCLE_1)
	s_add_nc_u64 s[12:13], s[0:1], s[12:13]
	s_cmp_eq_u64 s[12:13], 0
	s_cselect_b32 s1, s1, s13
	s_cselect_b32 s0, s0, s12
	s_delay_alu instid0(SALU_CYCLE_1) | instskip(SKIP_1) | instid1(SALU_CYCLE_1)
	v_dual_mov_b32 v15, s1 :: v_dual_mov_b32 v14, s0
	s_and_b64 s[12:13], s[0:1], s[16:17]
	s_mul_u64 s[12:13], s[12:13], 24
	s_wait_loadcnt 0x0
	v_add_nc_u64_e32 v[6:7], s[12:13], v[12:13]
	global_store_b64 v[6:7], v[16:17], off
	global_wb scope:SCOPE_SYS
	s_wait_storecnt 0x0
	s_wait_xcnt 0x0
	global_atomic_cmpswap_b64 v[14:15], v9, v[14:17], s[2:3] offset:24 th:TH_ATOMIC_RETURN scope:SCOPE_SYS
	s_wait_loadcnt 0x0
	v_cmp_ne_u64_e32 vcc_lo, v[14:15], v[16:17]
	s_and_b32 exec_lo, exec_lo, vcc_lo
	s_cbranch_execz .LBB7_139
; %bb.213:                              ;   in Loop: Header=BB7_140 Depth=1
	s_mov_b32 s12, 0
.LBB7_214:                              ;   Parent Loop BB7_140 Depth=1
                                        ; =>  This Inner Loop Header: Depth=2
	v_dual_mov_b32 v12, s0 :: v_dual_mov_b32 v13, s1
	s_sleep 1
	global_store_b64 v[6:7], v[14:15], off
	global_wb scope:SCOPE_SYS
	s_wait_storecnt 0x0
	s_wait_xcnt 0x0
	global_atomic_cmpswap_b64 v[12:13], v9, v[12:15], s[2:3] offset:24 th:TH_ATOMIC_RETURN scope:SCOPE_SYS
	s_wait_loadcnt 0x0
	v_cmp_eq_u64_e32 vcc_lo, v[12:13], v[14:15]
	v_mov_b64_e32 v[14:15], v[12:13]
	s_or_b32 s12, vcc_lo, s12
	s_delay_alu instid0(SALU_CYCLE_1)
	s_and_not1_b32 exec_lo, exec_lo, s12
	s_cbranch_execnz .LBB7_214
	s_branch .LBB7_139
.LBB7_215:
                                        ; implicit-def: $vgpr4_vgpr5
	s_cbranch_execnz .LBB7_217
	s_branch .LBB7_244
.LBB7_216:
	s_branch .LBB7_244
.LBB7_217:
	v_readfirstlane_b32 s0, v29
	s_wait_loadcnt 0x0
	v_mov_b64_e32 v[4:5], 0
	s_delay_alu instid0(VALU_DEP_2)
	v_cmp_eq_u32_e64 s0, s0, v29
	s_and_saveexec_b32 s1, s0
	s_cbranch_execz .LBB7_223
; %bb.218:
	v_mov_b32_e32 v1, 0
	s_mov_b32 s4, exec_lo
	global_load_b64 v[6:7], v1, s[2:3] offset:24 scope:SCOPE_SYS
	s_wait_loadcnt 0x0
	global_inv scope:SCOPE_SYS
	s_clause 0x1
	global_load_b64 v[4:5], v1, s[2:3] offset:40
	global_load_b64 v[8:9], v1, s[2:3]
	s_wait_loadcnt 0x1
	v_and_b32_e32 v4, v4, v6
	v_and_b32_e32 v5, v5, v7
	s_delay_alu instid0(VALU_DEP_1) | instskip(SKIP_1) | instid1(VALU_DEP_1)
	v_mul_u64_e32 v[4:5], 24, v[4:5]
	s_wait_loadcnt 0x0
	v_add_nc_u64_e32 v[4:5], v[8:9], v[4:5]
	global_load_b64 v[4:5], v[4:5], off scope:SCOPE_SYS
	s_wait_xcnt 0x0
	s_wait_loadcnt 0x0
	global_atomic_cmpswap_b64 v[4:5], v1, v[4:7], s[2:3] offset:24 th:TH_ATOMIC_RETURN scope:SCOPE_SYS
	s_wait_loadcnt 0x0
	global_inv scope:SCOPE_SYS
	s_wait_xcnt 0x0
	v_cmpx_ne_u64_e64 v[4:5], v[6:7]
	s_cbranch_execz .LBB7_222
; %bb.219:
	s_mov_b32 s5, 0
.LBB7_220:                              ; =>This Inner Loop Header: Depth=1
	s_sleep 1
	s_clause 0x1
	global_load_b64 v[8:9], v1, s[2:3] offset:40
	global_load_b64 v[10:11], v1, s[2:3]
	v_mov_b64_e32 v[6:7], v[4:5]
	s_wait_loadcnt 0x1
	s_delay_alu instid0(VALU_DEP_1) | instskip(NEXT) | instid1(VALU_DEP_2)
	v_and_b32_e32 v4, v8, v6
	v_and_b32_e32 v8, v9, v7
	s_wait_loadcnt 0x0
	s_delay_alu instid0(VALU_DEP_2) | instskip(NEXT) | instid1(VALU_DEP_1)
	v_mad_nc_u64_u32 v[4:5], v4, 24, v[10:11]
	v_mad_u32 v5, v8, 24, v5
	global_load_b64 v[4:5], v[4:5], off scope:SCOPE_SYS
	s_wait_xcnt 0x0
	s_wait_loadcnt 0x0
	global_atomic_cmpswap_b64 v[4:5], v1, v[4:7], s[2:3] offset:24 th:TH_ATOMIC_RETURN scope:SCOPE_SYS
	s_wait_loadcnt 0x0
	global_inv scope:SCOPE_SYS
	v_cmp_eq_u64_e32 vcc_lo, v[4:5], v[6:7]
	s_or_b32 s5, vcc_lo, s5
	s_wait_xcnt 0x0
	s_and_not1_b32 exec_lo, exec_lo, s5
	s_cbranch_execnz .LBB7_220
; %bb.221:
	s_or_b32 exec_lo, exec_lo, s5
.LBB7_222:
	s_delay_alu instid0(SALU_CYCLE_1)
	s_or_b32 exec_lo, exec_lo, s4
.LBB7_223:
	s_delay_alu instid0(SALU_CYCLE_1)
	s_or_b32 exec_lo, exec_lo, s1
	v_readfirstlane_b32 s4, v4
	v_mov_b32_e32 v1, 0
	v_readfirstlane_b32 s5, v5
	s_mov_b32 s1, exec_lo
	s_clause 0x1
	global_load_b64 v[10:11], v1, s[2:3] offset:40
	global_load_b128 v[6:9], v1, s[2:3]
	s_wait_loadcnt 0x1
	v_and_b32_e32 v4, s4, v10
	v_and_b32_e32 v5, s5, v11
	s_delay_alu instid0(VALU_DEP_1) | instskip(SKIP_1) | instid1(VALU_DEP_1)
	v_mul_u64_e32 v[10:11], 24, v[4:5]
	s_wait_loadcnt 0x0
	v_add_nc_u64_e32 v[10:11], v[6:7], v[10:11]
	s_wait_xcnt 0x0
	s_and_saveexec_b32 s6, s0
	s_cbranch_execz .LBB7_225
; %bb.224:
	v_mov_b64_e32 v[14:15], 0x100000002
	v_dual_mov_b32 v12, s1 :: v_dual_mov_b32 v13, v1
	global_store_b128 v[10:11], v[12:15], off offset:8
.LBB7_225:
	s_wait_xcnt 0x0
	s_or_b32 exec_lo, exec_lo, s6
	v_lshlrev_b64_e32 v[4:5], 12, v[4:5]
	s_mov_b32 s12, 0
	v_and_or_b32 v2, 0xffffff1f, v2, 32
	s_mov_b32 s13, s12
	s_mov_b32 s14, s12
	;; [unrolled: 1-line block ×3, first 2 shown]
	v_mov_b64_e32 v[12:13], s[12:13]
	v_add_nc_u64_e32 v[8:9], v[8:9], v[4:5]
	v_mov_b64_e32 v[14:15], s[14:15]
	v_dual_mov_b32 v4, v1 :: v_dual_mov_b32 v5, v1
	s_delay_alu instid0(VALU_DEP_3) | instskip(NEXT) | instid1(VALU_DEP_4)
	v_readfirstlane_b32 s6, v8
	v_readfirstlane_b32 s7, v9
	s_clause 0x3
	global_store_b128 v0, v[2:5], s[6:7]
	global_store_b128 v0, v[12:15], s[6:7] offset:16
	global_store_b128 v0, v[12:15], s[6:7] offset:32
	;; [unrolled: 1-line block ×3, first 2 shown]
	s_wait_xcnt 0x0
	s_and_saveexec_b32 s1, s0
	s_cbranch_execz .LBB7_233
; %bb.226:
	v_dual_mov_b32 v12, 0 :: v_dual_mov_b32 v15, s5
	s_mov_b32 s6, exec_lo
	s_clause 0x1
	global_load_b64 v[16:17], v12, s[2:3] offset:32 scope:SCOPE_SYS
	global_load_b64 v[2:3], v12, s[2:3] offset:40
	s_wait_loadcnt 0x0
	v_dual_mov_b32 v14, s4 :: v_dual_bitop2_b32 v3, s5, v3 bitop3:0x40
	v_and_b32_e32 v2, s4, v2
	s_delay_alu instid0(VALU_DEP_1) | instskip(NEXT) | instid1(VALU_DEP_1)
	v_mul_u64_e32 v[2:3], 24, v[2:3]
	v_add_nc_u64_e32 v[6:7], v[6:7], v[2:3]
	global_store_b64 v[6:7], v[16:17], off
	global_wb scope:SCOPE_SYS
	s_wait_storecnt 0x0
	s_wait_xcnt 0x0
	global_atomic_cmpswap_b64 v[4:5], v12, v[14:17], s[2:3] offset:32 th:TH_ATOMIC_RETURN scope:SCOPE_SYS
	s_wait_loadcnt 0x0
	v_cmpx_ne_u64_e64 v[4:5], v[16:17]
	s_cbranch_execz .LBB7_229
; %bb.227:
	s_mov_b32 s7, 0
.LBB7_228:                              ; =>This Inner Loop Header: Depth=1
	v_dual_mov_b32 v2, s4 :: v_dual_mov_b32 v3, s5
	s_sleep 1
	global_store_b64 v[6:7], v[4:5], off
	global_wb scope:SCOPE_SYS
	s_wait_storecnt 0x0
	s_wait_xcnt 0x0
	global_atomic_cmpswap_b64 v[2:3], v12, v[2:5], s[2:3] offset:32 th:TH_ATOMIC_RETURN scope:SCOPE_SYS
	s_wait_loadcnt 0x0
	v_cmp_eq_u64_e32 vcc_lo, v[2:3], v[4:5]
	v_mov_b64_e32 v[4:5], v[2:3]
	s_or_b32 s7, vcc_lo, s7
	s_delay_alu instid0(SALU_CYCLE_1)
	s_and_not1_b32 exec_lo, exec_lo, s7
	s_cbranch_execnz .LBB7_228
.LBB7_229:
	s_or_b32 exec_lo, exec_lo, s6
	v_mov_b32_e32 v5, 0
	s_mov_b32 s7, exec_lo
	s_mov_b32 s6, exec_lo
	v_mbcnt_lo_u32_b32 v4, s7, 0
	global_load_b64 v[2:3], v5, s[2:3] offset:16
	s_wait_xcnt 0x0
	v_cmpx_eq_u32_e32 0, v4
	s_cbranch_execz .LBB7_231
; %bb.230:
	s_bcnt1_i32_b32 s7, s7
	s_delay_alu instid0(SALU_CYCLE_1)
	v_mov_b32_e32 v4, s7
	global_wb scope:SCOPE_SYS
	s_wait_loadcnt 0x0
	s_wait_storecnt 0x0
	global_atomic_add_u64 v[2:3], v[4:5], off offset:8 scope:SCOPE_SYS
.LBB7_231:
	s_wait_xcnt 0x0
	s_or_b32 exec_lo, exec_lo, s6
	s_wait_loadcnt 0x0
	global_load_b64 v[4:5], v[2:3], off offset:16
	s_wait_loadcnt 0x0
	v_cmp_eq_u64_e32 vcc_lo, 0, v[4:5]
	s_cbranch_vccnz .LBB7_233
; %bb.232:
	global_load_b32 v2, v[2:3], off offset:24
	s_wait_xcnt 0x0
	v_mov_b32_e32 v3, 0
	s_wait_loadcnt 0x0
	v_readfirstlane_b32 s6, v2
	global_wb scope:SCOPE_SYS
	s_wait_storecnt 0x0
	global_store_b64 v[4:5], v[2:3], off scope:SCOPE_SYS
	s_and_b32 m0, s6, 0xffffff
	s_sendmsg sendmsg(MSG_INTERRUPT)
.LBB7_233:
	s_wait_xcnt 0x0
	s_or_b32 exec_lo, exec_lo, s1
	v_add_nc_u64_e32 v[2:3], v[8:9], v[0:1]
	s_branch .LBB7_237
.LBB7_234:                              ;   in Loop: Header=BB7_237 Depth=1
	s_wait_xcnt 0x0
	s_or_b32 exec_lo, exec_lo, s1
	s_delay_alu instid0(VALU_DEP_1)
	v_readfirstlane_b32 s1, v1
	s_cmp_eq_u32 s1, 0
	s_cbranch_scc1 .LBB7_236
; %bb.235:                              ;   in Loop: Header=BB7_237 Depth=1
	s_sleep 1
	s_cbranch_execnz .LBB7_237
	s_branch .LBB7_239
.LBB7_236:
	s_branch .LBB7_239
.LBB7_237:                              ; =>This Inner Loop Header: Depth=1
	v_mov_b32_e32 v1, 1
	s_and_saveexec_b32 s1, s0
	s_cbranch_execz .LBB7_234
; %bb.238:                              ;   in Loop: Header=BB7_237 Depth=1
	global_load_b32 v1, v[10:11], off offset:20 scope:SCOPE_SYS
	s_wait_loadcnt 0x0
	global_inv scope:SCOPE_SYS
	v_and_b32_e32 v1, 1, v1
	s_branch .LBB7_234
.LBB7_239:
	global_load_b64 v[4:5], v[2:3], off
	s_wait_xcnt 0x0
	s_and_saveexec_b32 s6, s0
	s_cbranch_execz .LBB7_243
; %bb.240:
	v_mov_b32_e32 v1, 0
	s_clause 0x2
	global_load_b64 v[2:3], v1, s[2:3] offset:40
	global_load_b64 v[10:11], v1, s[2:3] offset:24 scope:SCOPE_SYS
	global_load_b64 v[6:7], v1, s[2:3]
	s_wait_loadcnt 0x2
	v_readfirstlane_b32 s10, v2
	v_readfirstlane_b32 s11, v3
	s_add_nc_u64 s[0:1], s[10:11], 1
	s_delay_alu instid0(SALU_CYCLE_1) | instskip(NEXT) | instid1(SALU_CYCLE_1)
	s_add_nc_u64 s[4:5], s[0:1], s[4:5]
	s_cmp_eq_u64 s[4:5], 0
	s_cselect_b32 s1, s1, s5
	s_cselect_b32 s0, s0, s4
	v_mov_b32_e32 v9, s1
	s_and_b64 s[4:5], s[0:1], s[10:11]
	v_mov_b32_e32 v8, s0
	s_mul_u64 s[4:5], s[4:5], 24
	s_wait_loadcnt 0x0
	v_add_nc_u64_e32 v[2:3], s[4:5], v[6:7]
	global_store_b64 v[2:3], v[10:11], off
	global_wb scope:SCOPE_SYS
	s_wait_storecnt 0x0
	s_wait_xcnt 0x0
	global_atomic_cmpswap_b64 v[8:9], v1, v[8:11], s[2:3] offset:24 th:TH_ATOMIC_RETURN scope:SCOPE_SYS
	s_wait_loadcnt 0x0
	v_cmp_ne_u64_e32 vcc_lo, v[8:9], v[10:11]
	s_and_b32 exec_lo, exec_lo, vcc_lo
	s_cbranch_execz .LBB7_243
; %bb.241:
	s_mov_b32 s4, 0
.LBB7_242:                              ; =>This Inner Loop Header: Depth=1
	v_dual_mov_b32 v6, s0 :: v_dual_mov_b32 v7, s1
	s_sleep 1
	global_store_b64 v[2:3], v[8:9], off
	global_wb scope:SCOPE_SYS
	s_wait_storecnt 0x0
	s_wait_xcnt 0x0
	global_atomic_cmpswap_b64 v[6:7], v1, v[6:9], s[2:3] offset:24 th:TH_ATOMIC_RETURN scope:SCOPE_SYS
	s_wait_loadcnt 0x0
	v_cmp_eq_u64_e32 vcc_lo, v[6:7], v[8:9]
	v_mov_b64_e32 v[8:9], v[6:7]
	s_or_b32 s4, vcc_lo, s4
	s_delay_alu instid0(SALU_CYCLE_1)
	s_and_not1_b32 exec_lo, exec_lo, s4
	s_cbranch_execnz .LBB7_242
.LBB7_243:
	s_or_b32 exec_lo, exec_lo, s6
.LBB7_244:
	v_readfirstlane_b32 s0, v29
	s_wait_loadcnt 0x0
	v_mov_b64_e32 v[2:3], 0
	s_delay_alu instid0(VALU_DEP_2)
	v_cmp_eq_u32_e64 s0, s0, v29
	s_and_saveexec_b32 s1, s0
	s_cbranch_execz .LBB7_250
; %bb.245:
	v_mov_b32_e32 v1, 0
	s_mov_b32 s4, exec_lo
	global_load_b64 v[8:9], v1, s[2:3] offset:24 scope:SCOPE_SYS
	s_wait_loadcnt 0x0
	global_inv scope:SCOPE_SYS
	s_clause 0x1
	global_load_b64 v[2:3], v1, s[2:3] offset:40
	global_load_b64 v[6:7], v1, s[2:3]
	s_wait_loadcnt 0x1
	v_and_b32_e32 v2, v2, v8
	v_and_b32_e32 v3, v3, v9
	s_delay_alu instid0(VALU_DEP_1) | instskip(SKIP_1) | instid1(VALU_DEP_1)
	v_mul_u64_e32 v[2:3], 24, v[2:3]
	s_wait_loadcnt 0x0
	v_add_nc_u64_e32 v[2:3], v[6:7], v[2:3]
	global_load_b64 v[6:7], v[2:3], off scope:SCOPE_SYS
	s_wait_xcnt 0x0
	s_wait_loadcnt 0x0
	global_atomic_cmpswap_b64 v[2:3], v1, v[6:9], s[2:3] offset:24 th:TH_ATOMIC_RETURN scope:SCOPE_SYS
	s_wait_loadcnt 0x0
	global_inv scope:SCOPE_SYS
	s_wait_xcnt 0x0
	v_cmpx_ne_u64_e64 v[2:3], v[8:9]
	s_cbranch_execz .LBB7_249
; %bb.246:
	s_mov_b32 s5, 0
.LBB7_247:                              ; =>This Inner Loop Header: Depth=1
	s_sleep 1
	s_clause 0x1
	global_load_b64 v[6:7], v1, s[2:3] offset:40
	global_load_b64 v[10:11], v1, s[2:3]
	v_mov_b64_e32 v[8:9], v[2:3]
	s_wait_loadcnt 0x1
	s_delay_alu instid0(VALU_DEP_1) | instskip(NEXT) | instid1(VALU_DEP_2)
	v_and_b32_e32 v2, v6, v8
	v_and_b32_e32 v6, v7, v9
	s_wait_loadcnt 0x0
	s_delay_alu instid0(VALU_DEP_2) | instskip(NEXT) | instid1(VALU_DEP_1)
	v_mad_nc_u64_u32 v[2:3], v2, 24, v[10:11]
	v_mad_u32 v3, v6, 24, v3
	global_load_b64 v[6:7], v[2:3], off scope:SCOPE_SYS
	s_wait_xcnt 0x0
	s_wait_loadcnt 0x0
	global_atomic_cmpswap_b64 v[2:3], v1, v[6:9], s[2:3] offset:24 th:TH_ATOMIC_RETURN scope:SCOPE_SYS
	s_wait_loadcnt 0x0
	global_inv scope:SCOPE_SYS
	v_cmp_eq_u64_e32 vcc_lo, v[2:3], v[8:9]
	s_or_b32 s5, vcc_lo, s5
	s_wait_xcnt 0x0
	s_and_not1_b32 exec_lo, exec_lo, s5
	s_cbranch_execnz .LBB7_247
; %bb.248:
	s_or_b32 exec_lo, exec_lo, s5
.LBB7_249:
	s_delay_alu instid0(SALU_CYCLE_1)
	s_or_b32 exec_lo, exec_lo, s4
.LBB7_250:
	s_delay_alu instid0(SALU_CYCLE_1)
	s_or_b32 exec_lo, exec_lo, s1
	v_readfirstlane_b32 s4, v2
	v_mov_b32_e32 v1, 0
	v_readfirstlane_b32 s5, v3
	s_mov_b32 s1, exec_lo
	s_clause 0x1
	global_load_b64 v[6:7], v1, s[2:3] offset:40
	global_load_b128 v[8:11], v1, s[2:3]
	s_wait_loadcnt 0x1
	v_and_b32_e32 v2, s4, v6
	v_and_b32_e32 v3, s5, v7
	s_delay_alu instid0(VALU_DEP_1) | instskip(SKIP_1) | instid1(VALU_DEP_1)
	v_mul_u64_e32 v[6:7], 24, v[2:3]
	s_wait_loadcnt 0x0
	v_add_nc_u64_e32 v[12:13], v[8:9], v[6:7]
	s_wait_xcnt 0x0
	s_and_saveexec_b32 s6, s0
	s_cbranch_execz .LBB7_252
; %bb.251:
	v_mov_b64_e32 v[16:17], 0x100000002
	v_dual_mov_b32 v14, s1 :: v_dual_mov_b32 v15, v1
	global_store_b128 v[12:13], v[14:17], off offset:8
.LBB7_252:
	s_wait_xcnt 0x0
	s_or_b32 exec_lo, exec_lo, s6
	v_lshlrev_b64_e32 v[2:3], 12, v[2:3]
	s_mov_b32 s12, 0
	v_and_or_b32 v4, 0xffffff1f, v4, 32
	s_mov_b32 s14, s12
	s_mov_b32 s15, s12
	;; [unrolled: 1-line block ×3, first 2 shown]
	v_mov_b64_e32 v[16:17], s[14:15]
	v_add_nc_u64_e32 v[10:11], v[10:11], v[2:3]
	v_mov_b64_e32 v[14:15], s[12:13]
	v_dual_mov_b32 v6, 0x41 :: v_dual_mov_b32 v7, v1
	s_delay_alu instid0(VALU_DEP_3) | instskip(NEXT) | instid1(VALU_DEP_4)
	v_readfirstlane_b32 s6, v10
	v_readfirstlane_b32 s7, v11
	s_clause 0x3
	global_store_b128 v0, v[4:7], s[6:7]
	global_store_b128 v0, v[14:17], s[6:7] offset:16
	global_store_b128 v0, v[14:17], s[6:7] offset:32
	;; [unrolled: 1-line block ×3, first 2 shown]
	s_wait_xcnt 0x0
	s_and_saveexec_b32 s1, s0
	s_cbranch_execz .LBB7_260
; %bb.253:
	v_dual_mov_b32 v14, 0 :: v_dual_mov_b32 v17, s5
	s_mov_b32 s6, exec_lo
	s_clause 0x1
	global_load_b64 v[18:19], v14, s[2:3] offset:32 scope:SCOPE_SYS
	global_load_b64 v[2:3], v14, s[2:3] offset:40
	s_wait_loadcnt 0x0
	v_dual_mov_b32 v16, s4 :: v_dual_bitop2_b32 v3, s5, v3 bitop3:0x40
	v_and_b32_e32 v2, s4, v2
	s_delay_alu instid0(VALU_DEP_1) | instskip(NEXT) | instid1(VALU_DEP_1)
	v_mul_u64_e32 v[2:3], 24, v[2:3]
	v_add_nc_u64_e32 v[6:7], v[8:9], v[2:3]
	global_store_b64 v[6:7], v[18:19], off
	global_wb scope:SCOPE_SYS
	s_wait_storecnt 0x0
	s_wait_xcnt 0x0
	global_atomic_cmpswap_b64 v[4:5], v14, v[16:19], s[2:3] offset:32 th:TH_ATOMIC_RETURN scope:SCOPE_SYS
	s_wait_loadcnt 0x0
	v_cmpx_ne_u64_e64 v[4:5], v[18:19]
	s_cbranch_execz .LBB7_256
; %bb.254:
	s_mov_b32 s7, 0
.LBB7_255:                              ; =>This Inner Loop Header: Depth=1
	v_dual_mov_b32 v2, s4 :: v_dual_mov_b32 v3, s5
	s_sleep 1
	global_store_b64 v[6:7], v[4:5], off
	global_wb scope:SCOPE_SYS
	s_wait_storecnt 0x0
	s_wait_xcnt 0x0
	global_atomic_cmpswap_b64 v[2:3], v14, v[2:5], s[2:3] offset:32 th:TH_ATOMIC_RETURN scope:SCOPE_SYS
	s_wait_loadcnt 0x0
	v_cmp_eq_u64_e32 vcc_lo, v[2:3], v[4:5]
	v_mov_b64_e32 v[4:5], v[2:3]
	s_or_b32 s7, vcc_lo, s7
	s_delay_alu instid0(SALU_CYCLE_1)
	s_and_not1_b32 exec_lo, exec_lo, s7
	s_cbranch_execnz .LBB7_255
.LBB7_256:
	s_or_b32 exec_lo, exec_lo, s6
	v_mov_b32_e32 v5, 0
	s_mov_b32 s7, exec_lo
	s_mov_b32 s6, exec_lo
	v_mbcnt_lo_u32_b32 v4, s7, 0
	global_load_b64 v[2:3], v5, s[2:3] offset:16
	s_wait_xcnt 0x0
	v_cmpx_eq_u32_e32 0, v4
	s_cbranch_execz .LBB7_258
; %bb.257:
	s_bcnt1_i32_b32 s7, s7
	s_delay_alu instid0(SALU_CYCLE_1)
	v_mov_b32_e32 v4, s7
	global_wb scope:SCOPE_SYS
	s_wait_loadcnt 0x0
	s_wait_storecnt 0x0
	global_atomic_add_u64 v[2:3], v[4:5], off offset:8 scope:SCOPE_SYS
.LBB7_258:
	s_wait_xcnt 0x0
	s_or_b32 exec_lo, exec_lo, s6
	s_wait_loadcnt 0x0
	global_load_b64 v[4:5], v[2:3], off offset:16
	s_wait_loadcnt 0x0
	v_cmp_eq_u64_e32 vcc_lo, 0, v[4:5]
	s_cbranch_vccnz .LBB7_260
; %bb.259:
	global_load_b32 v2, v[2:3], off offset:24
	s_wait_xcnt 0x0
	v_mov_b32_e32 v3, 0
	s_wait_loadcnt 0x0
	v_readfirstlane_b32 s6, v2
	global_wb scope:SCOPE_SYS
	s_wait_storecnt 0x0
	global_store_b64 v[4:5], v[2:3], off scope:SCOPE_SYS
	s_and_b32 m0, s6, 0xffffff
	s_sendmsg sendmsg(MSG_INTERRUPT)
.LBB7_260:
	s_wait_xcnt 0x0
	s_or_b32 exec_lo, exec_lo, s1
	v_add_nc_u64_e32 v[0:1], v[10:11], v[0:1]
	s_branch .LBB7_264
.LBB7_261:                              ;   in Loop: Header=BB7_264 Depth=1
	s_wait_xcnt 0x0
	s_or_b32 exec_lo, exec_lo, s1
	s_delay_alu instid0(VALU_DEP_1)
	v_readfirstlane_b32 s1, v2
	s_cmp_eq_u32 s1, 0
	s_cbranch_scc1 .LBB7_263
; %bb.262:                              ;   in Loop: Header=BB7_264 Depth=1
	s_sleep 1
	s_cbranch_execnz .LBB7_264
	s_branch .LBB7_266
.LBB7_263:
	s_branch .LBB7_266
.LBB7_264:                              ; =>This Inner Loop Header: Depth=1
	v_mov_b32_e32 v2, 1
	s_and_saveexec_b32 s1, s0
	s_cbranch_execz .LBB7_261
; %bb.265:                              ;   in Loop: Header=BB7_264 Depth=1
	global_load_b32 v2, v[12:13], off offset:20 scope:SCOPE_SYS
	s_wait_loadcnt 0x0
	global_inv scope:SCOPE_SYS
	v_and_b32_e32 v2, 1, v2
	s_branch .LBB7_261
.LBB7_266:
	global_load_b64 v[0:1], v[0:1], off
	s_wait_xcnt 0x0
	s_and_saveexec_b32 s6, s0
	s_cbranch_execz .LBB7_270
; %bb.267:
	v_mov_b32_e32 v8, 0
	s_clause 0x2
	global_load_b64 v[2:3], v8, s[2:3] offset:40
	global_load_b64 v[12:13], v8, s[2:3] offset:24 scope:SCOPE_SYS
	global_load_b64 v[4:5], v8, s[2:3]
	s_wait_loadcnt 0x2
	v_readfirstlane_b32 s10, v2
	v_readfirstlane_b32 s11, v3
	s_add_nc_u64 s[0:1], s[10:11], 1
	s_delay_alu instid0(SALU_CYCLE_1) | instskip(NEXT) | instid1(SALU_CYCLE_1)
	s_add_nc_u64 s[4:5], s[0:1], s[4:5]
	s_cmp_eq_u64 s[4:5], 0
	s_cselect_b32 s1, s1, s5
	s_cselect_b32 s0, s0, s4
	v_mov_b32_e32 v11, s1
	s_and_b64 s[4:5], s[0:1], s[10:11]
	v_mov_b32_e32 v10, s0
	s_mul_u64 s[4:5], s[4:5], 24
	s_wait_loadcnt 0x0
	v_add_nc_u64_e32 v[6:7], s[4:5], v[4:5]
	global_store_b64 v[6:7], v[12:13], off
	global_wb scope:SCOPE_SYS
	s_wait_storecnt 0x0
	s_wait_xcnt 0x0
	global_atomic_cmpswap_b64 v[4:5], v8, v[10:13], s[2:3] offset:24 th:TH_ATOMIC_RETURN scope:SCOPE_SYS
	s_wait_loadcnt 0x0
	v_cmp_ne_u64_e32 vcc_lo, v[4:5], v[12:13]
	s_and_b32 exec_lo, exec_lo, vcc_lo
	s_cbranch_execz .LBB7_270
; %bb.268:
	s_mov_b32 s4, 0
.LBB7_269:                              ; =>This Inner Loop Header: Depth=1
	v_dual_mov_b32 v2, s0 :: v_dual_mov_b32 v3, s1
	s_sleep 1
	global_store_b64 v[6:7], v[4:5], off
	global_wb scope:SCOPE_SYS
	s_wait_storecnt 0x0
	s_wait_xcnt 0x0
	global_atomic_cmpswap_b64 v[2:3], v8, v[2:5], s[2:3] offset:24 th:TH_ATOMIC_RETURN scope:SCOPE_SYS
	s_wait_loadcnt 0x0
	v_cmp_eq_u64_e32 vcc_lo, v[2:3], v[4:5]
	v_mov_b64_e32 v[4:5], v[2:3]
	s_or_b32 s4, vcc_lo, s4
	s_delay_alu instid0(SALU_CYCLE_1)
	s_and_not1_b32 exec_lo, exec_lo, s4
	s_cbranch_execnz .LBB7_269
.LBB7_270:
	s_or_b32 exec_lo, exec_lo, s6
	s_get_pc_i64 s[0:1]
	s_add_nc_u64 s[0:1], s[0:1], __FUNCTION__._ZL18flash_attn_ext_vecILi64ELi1EL9ggml_type6ELS0_6ELb1EEvPKcS2_S2_S2_S2_PKiPfP15HIP_vector_typeIfLj2EEffffjfiS6_IjLj3EEiiiiiiiiiiiliiliiiiil@rel64+4
	s_get_pc_i64 s[2:3]
	s_add_nc_u64 s[2:3], s[2:3], __ockl_printf_append_string_n@rel64+4
	s_cmp_lg_u64 s[0:1], 0
	v_dual_mov_b32 v2, s0 :: v_dual_mov_b32 v3, s1
	s_cselect_b32 s4, 19, 0
	s_delay_alu instid0(SALU_CYCLE_1)
	v_dual_mov_b32 v5, 0 :: v_dual_mov_b32 v4, s4
	s_mov_b64 s[14:15], s[8:9]
	s_swap_pc_i64 s[30:31], s[2:3]
	v_dual_mov_b32 v2, 0x514 :: v_dual_mov_b32 v3, 0
	v_mov_b32_e32 v4, 1
	s_get_pc_i64 s[0:1]
	s_add_nc_u64 s[0:1], s[0:1], __ockl_printf_append_args@rel64+4
	s_mov_b64 s[8:9], s[14:15]
	s_swap_pc_i64 s[30:31], s[0:1]
	s_trap 2
.Lfunc_end7:
	.size	_ZL14no_device_codePKciS0_iS0_, .Lfunc_end7-_ZL14no_device_codePKciS0_iS0_
                                        ; -- End function
	.set .L_ZL14no_device_codePKciS0_iS0_.num_vgpr, max(41, .L__ockl_printf_append_string_n.num_vgpr, .L__ockl_printf_append_args.num_vgpr)
	.set .L_ZL14no_device_codePKciS0_iS0_.num_agpr, max(0, .L__ockl_printf_append_string_n.num_agpr, .L__ockl_printf_append_args.num_agpr)
	.set .L_ZL14no_device_codePKciS0_iS0_.numbered_sgpr, max(34, .L__ockl_printf_append_string_n.numbered_sgpr, .L__ockl_printf_append_args.numbered_sgpr)
	.set .L_ZL14no_device_codePKciS0_iS0_.num_named_barrier, max(0, .L__ockl_printf_append_string_n.num_named_barrier, .L__ockl_printf_append_args.num_named_barrier)
	.set .L_ZL14no_device_codePKciS0_iS0_.private_seg_size, 16+max(.L__ockl_printf_append_string_n.private_seg_size, .L__ockl_printf_append_args.private_seg_size)
	.set .L_ZL14no_device_codePKciS0_iS0_.uses_vcc, or(1, .L__ockl_printf_append_string_n.uses_vcc, .L__ockl_printf_append_args.uses_vcc)
	.set .L_ZL14no_device_codePKciS0_iS0_.uses_flat_scratch, or(0, .L__ockl_printf_append_string_n.uses_flat_scratch, .L__ockl_printf_append_args.uses_flat_scratch)
	.set .L_ZL14no_device_codePKciS0_iS0_.has_dyn_sized_stack, or(0, .L__ockl_printf_append_string_n.has_dyn_sized_stack, .L__ockl_printf_append_args.has_dyn_sized_stack)
	.set .L_ZL14no_device_codePKciS0_iS0_.has_recursion, or(0, .L__ockl_printf_append_string_n.has_recursion, .L__ockl_printf_append_args.has_recursion)
	.set .L_ZL14no_device_codePKciS0_iS0_.has_indirect_call, or(0, .L__ockl_printf_append_string_n.has_indirect_call, .L__ockl_printf_append_args.has_indirect_call)
	.section	.AMDGPU.csdata,"",@progbits
; Function info:
; codeLenInByte = 11008
; TotalNumSgprs: 36
; NumVgprs: 50
; ScratchSize: 16
; MemoryBound: 0
	.section	.text._ZL18flash_attn_ext_vecILi64ELi1EL9ggml_type6ELS0_6ELb1EEvPKcS2_S2_S2_S2_PKiPfP15HIP_vector_typeIfLj2EEffffjfiS6_IjLj3EEiiiiiiiiiiiliiliiiiil,"axG",@progbits,_ZL18flash_attn_ext_vecILi64ELi1EL9ggml_type6ELS0_6ELb1EEvPKcS2_S2_S2_S2_PKiPfP15HIP_vector_typeIfLj2EEffffjfiS6_IjLj3EEiiiiiiiiiiiliiliiiiil,comdat
	.globl	_ZL18flash_attn_ext_vecILi64ELi1EL9ggml_type6ELS0_6ELb1EEvPKcS2_S2_S2_S2_PKiPfP15HIP_vector_typeIfLj2EEffffjfiS6_IjLj3EEiiiiiiiiiiiliiliiiiil ; -- Begin function _ZL18flash_attn_ext_vecILi64ELi1EL9ggml_type6ELS0_6ELb1EEvPKcS2_S2_S2_S2_PKiPfP15HIP_vector_typeIfLj2EEffffjfiS6_IjLj3EEiiiiiiiiiiiliiliiiiil
	.p2align	8
	.type	_ZL18flash_attn_ext_vecILi64ELi1EL9ggml_type6ELS0_6ELb1EEvPKcS2_S2_S2_S2_PKiPfP15HIP_vector_typeIfLj2EEffffjfiS6_IjLj3EEiiiiiiiiiiiliiliiiiil,@function
_ZL18flash_attn_ext_vecILi64ELi1EL9ggml_type6ELS0_6ELb1EEvPKcS2_S2_S2_S2_PKiPfP15HIP_vector_typeIfLj2EEffffjfiS6_IjLj3EEiiiiiiiiiiiliiliiiiil: ; @_ZL18flash_attn_ext_vecILi64ELi1EL9ggml_type6ELS0_6ELb1EEvPKcS2_S2_S2_S2_PKiPfP15HIP_vector_typeIfLj2EEffffjfiS6_IjLj3EEiiiiiiiiiiiliiliiiiil
; %bb.0:
	s_get_pc_i64 s[2:3]
	s_add_nc_u64 s[2:3], s[2:3], _ZL14no_device_codePKciS0_iS0_@rel64+4
	s_add_nc_u64 s[8:9], s[0:1], 0xd0
	s_mov_b32 s32, 0
	s_swap_pc_i64 s[30:31], s[2:3]
	.section	.rodata,"a",@progbits
	.p2align	6, 0x0
	.amdhsa_kernel _ZL18flash_attn_ext_vecILi64ELi1EL9ggml_type6ELS0_6ELb1EEvPKcS2_S2_S2_S2_PKiPfP15HIP_vector_typeIfLj2EEffffjfiS6_IjLj3EEiiiiiiiiiiiliiliiiiil
		.amdhsa_group_segment_fixed_size 0
		.amdhsa_private_segment_fixed_size 16
		.amdhsa_kernarg_size 464
		.amdhsa_user_sgpr_count 2
		.amdhsa_user_sgpr_dispatch_ptr 0
		.amdhsa_user_sgpr_queue_ptr 0
		.amdhsa_user_sgpr_kernarg_segment_ptr 1
		.amdhsa_user_sgpr_dispatch_id 0
		.amdhsa_user_sgpr_kernarg_preload_length 0
		.amdhsa_user_sgpr_kernarg_preload_offset 0
		.amdhsa_user_sgpr_private_segment_size 0
		.amdhsa_wavefront_size32 1
		.amdhsa_uses_dynamic_stack 0
		.amdhsa_enable_private_segment 1
		.amdhsa_system_sgpr_workgroup_id_x 1
		.amdhsa_system_sgpr_workgroup_id_y 0
		.amdhsa_system_sgpr_workgroup_id_z 0
		.amdhsa_system_sgpr_workgroup_info 0
		.amdhsa_system_vgpr_workitem_id 0
		.amdhsa_next_free_vgpr 50
		.amdhsa_next_free_sgpr 34
		.amdhsa_named_barrier_count 0
		.amdhsa_reserve_vcc 1
		.amdhsa_float_round_mode_32 0
		.amdhsa_float_round_mode_16_64 0
		.amdhsa_float_denorm_mode_32 3
		.amdhsa_float_denorm_mode_16_64 3
		.amdhsa_fp16_overflow 0
		.amdhsa_memory_ordered 1
		.amdhsa_forward_progress 1
		.amdhsa_inst_pref_size 1
		.amdhsa_round_robin_scheduling 0
		.amdhsa_exception_fp_ieee_invalid_op 0
		.amdhsa_exception_fp_denorm_src 0
		.amdhsa_exception_fp_ieee_div_zero 0
		.amdhsa_exception_fp_ieee_overflow 0
		.amdhsa_exception_fp_ieee_underflow 0
		.amdhsa_exception_fp_ieee_inexact 0
		.amdhsa_exception_int_div_zero 0
	.end_amdhsa_kernel
	.section	.text._ZL18flash_attn_ext_vecILi64ELi1EL9ggml_type6ELS0_6ELb1EEvPKcS2_S2_S2_S2_PKiPfP15HIP_vector_typeIfLj2EEffffjfiS6_IjLj3EEiiiiiiiiiiiliiliiiiil,"axG",@progbits,_ZL18flash_attn_ext_vecILi64ELi1EL9ggml_type6ELS0_6ELb1EEvPKcS2_S2_S2_S2_PKiPfP15HIP_vector_typeIfLj2EEffffjfiS6_IjLj3EEiiiiiiiiiiiliiliiiiil,comdat
.Lfunc_end8:
	.size	_ZL18flash_attn_ext_vecILi64ELi1EL9ggml_type6ELS0_6ELb1EEvPKcS2_S2_S2_S2_PKiPfP15HIP_vector_typeIfLj2EEffffjfiS6_IjLj3EEiiiiiiiiiiiliiliiiiil, .Lfunc_end8-_ZL18flash_attn_ext_vecILi64ELi1EL9ggml_type6ELS0_6ELb1EEvPKcS2_S2_S2_S2_PKiPfP15HIP_vector_typeIfLj2EEffffjfiS6_IjLj3EEiiiiiiiiiiiliiliiiiil
                                        ; -- End function
	.set _ZL18flash_attn_ext_vecILi64ELi1EL9ggml_type6ELS0_6ELb1EEvPKcS2_S2_S2_S2_PKiPfP15HIP_vector_typeIfLj2EEffffjfiS6_IjLj3EEiiiiiiiiiiiliiliiiiil.num_vgpr, max(0, .L_ZL14no_device_codePKciS0_iS0_.num_vgpr)
	.set _ZL18flash_attn_ext_vecILi64ELi1EL9ggml_type6ELS0_6ELb1EEvPKcS2_S2_S2_S2_PKiPfP15HIP_vector_typeIfLj2EEffffjfiS6_IjLj3EEiiiiiiiiiiiliiliiiiil.num_agpr, max(0, .L_ZL14no_device_codePKciS0_iS0_.num_agpr)
	.set _ZL18flash_attn_ext_vecILi64ELi1EL9ggml_type6ELS0_6ELb1EEvPKcS2_S2_S2_S2_PKiPfP15HIP_vector_typeIfLj2EEffffjfiS6_IjLj3EEiiiiiiiiiiiliiliiiiil.numbered_sgpr, max(33, .L_ZL14no_device_codePKciS0_iS0_.numbered_sgpr)
	.set _ZL18flash_attn_ext_vecILi64ELi1EL9ggml_type6ELS0_6ELb1EEvPKcS2_S2_S2_S2_PKiPfP15HIP_vector_typeIfLj2EEffffjfiS6_IjLj3EEiiiiiiiiiiiliiliiiiil.num_named_barrier, max(0, .L_ZL14no_device_codePKciS0_iS0_.num_named_barrier)
	.set _ZL18flash_attn_ext_vecILi64ELi1EL9ggml_type6ELS0_6ELb1EEvPKcS2_S2_S2_S2_PKiPfP15HIP_vector_typeIfLj2EEffffjfiS6_IjLj3EEiiiiiiiiiiiliiliiiiil.private_seg_size, 0+max(.L_ZL14no_device_codePKciS0_iS0_.private_seg_size)
	.set _ZL18flash_attn_ext_vecILi64ELi1EL9ggml_type6ELS0_6ELb1EEvPKcS2_S2_S2_S2_PKiPfP15HIP_vector_typeIfLj2EEffffjfiS6_IjLj3EEiiiiiiiiiiiliiliiiiil.uses_vcc, or(1, .L_ZL14no_device_codePKciS0_iS0_.uses_vcc)
	.set _ZL18flash_attn_ext_vecILi64ELi1EL9ggml_type6ELS0_6ELb1EEvPKcS2_S2_S2_S2_PKiPfP15HIP_vector_typeIfLj2EEffffjfiS6_IjLj3EEiiiiiiiiiiiliiliiiiil.uses_flat_scratch, or(0, .L_ZL14no_device_codePKciS0_iS0_.uses_flat_scratch)
	.set _ZL18flash_attn_ext_vecILi64ELi1EL9ggml_type6ELS0_6ELb1EEvPKcS2_S2_S2_S2_PKiPfP15HIP_vector_typeIfLj2EEffffjfiS6_IjLj3EEiiiiiiiiiiiliiliiiiil.has_dyn_sized_stack, or(0, .L_ZL14no_device_codePKciS0_iS0_.has_dyn_sized_stack)
	.set _ZL18flash_attn_ext_vecILi64ELi1EL9ggml_type6ELS0_6ELb1EEvPKcS2_S2_S2_S2_PKiPfP15HIP_vector_typeIfLj2EEffffjfiS6_IjLj3EEiiiiiiiiiiiliiliiiiil.has_recursion, or(0, .L_ZL14no_device_codePKciS0_iS0_.has_recursion)
	.set _ZL18flash_attn_ext_vecILi64ELi1EL9ggml_type6ELS0_6ELb1EEvPKcS2_S2_S2_S2_PKiPfP15HIP_vector_typeIfLj2EEffffjfiS6_IjLj3EEiiiiiiiiiiiliiliiiiil.has_indirect_call, or(0, .L_ZL14no_device_codePKciS0_iS0_.has_indirect_call)
	.section	.AMDGPU.csdata,"",@progbits
; Kernel info:
; codeLenInByte = 32
; TotalNumSgprs: 36
; NumVgprs: 50
; ScratchSize: 16
; MemoryBound: 0
; FloatMode: 240
; IeeeMode: 1
; LDSByteSize: 0 bytes/workgroup (compile time only)
; SGPRBlocks: 0
; VGPRBlocks: 3
; NumSGPRsForWavesPerEU: 36
; NumVGPRsForWavesPerEU: 50
; NamedBarCnt: 0
; Occupancy: 16
; WaveLimiterHint : 1
; COMPUTE_PGM_RSRC2:SCRATCH_EN: 1
; COMPUTE_PGM_RSRC2:USER_SGPR: 2
; COMPUTE_PGM_RSRC2:TRAP_HANDLER: 0
; COMPUTE_PGM_RSRC2:TGID_X_EN: 1
; COMPUTE_PGM_RSRC2:TGID_Y_EN: 0
; COMPUTE_PGM_RSRC2:TGID_Z_EN: 0
; COMPUTE_PGM_RSRC2:TIDIG_COMP_CNT: 0
	.section	.text._ZL18flash_attn_ext_vecILi64ELi2EL9ggml_type6ELS0_6ELb0EEvPKcS2_S2_S2_S2_PKiPfP15HIP_vector_typeIfLj2EEffffjfiS6_IjLj3EEiiiiiiiiiiiliiliiiiil,"axG",@progbits,_ZL18flash_attn_ext_vecILi64ELi2EL9ggml_type6ELS0_6ELb0EEvPKcS2_S2_S2_S2_PKiPfP15HIP_vector_typeIfLj2EEffffjfiS6_IjLj3EEiiiiiiiiiiiliiliiiiil,comdat
	.globl	_ZL18flash_attn_ext_vecILi64ELi2EL9ggml_type6ELS0_6ELb0EEvPKcS2_S2_S2_S2_PKiPfP15HIP_vector_typeIfLj2EEffffjfiS6_IjLj3EEiiiiiiiiiiiliiliiiiil ; -- Begin function _ZL18flash_attn_ext_vecILi64ELi2EL9ggml_type6ELS0_6ELb0EEvPKcS2_S2_S2_S2_PKiPfP15HIP_vector_typeIfLj2EEffffjfiS6_IjLj3EEiiiiiiiiiiiliiliiiiil
	.p2align	8
	.type	_ZL18flash_attn_ext_vecILi64ELi2EL9ggml_type6ELS0_6ELb0EEvPKcS2_S2_S2_S2_PKiPfP15HIP_vector_typeIfLj2EEffffjfiS6_IjLj3EEiiiiiiiiiiiliiliiiiil,@function
_ZL18flash_attn_ext_vecILi64ELi2EL9ggml_type6ELS0_6ELb0EEvPKcS2_S2_S2_S2_PKiPfP15HIP_vector_typeIfLj2EEffffjfiS6_IjLj3EEiiiiiiiiiiiliiliiiiil: ; @_ZL18flash_attn_ext_vecILi64ELi2EL9ggml_type6ELS0_6ELb0EEvPKcS2_S2_S2_S2_PKiPfP15HIP_vector_typeIfLj2EEffffjfiS6_IjLj3EEiiiiiiiiiiiliiliiiiil
; %bb.0:
	s_clause 0x2
	s_load_b64 s[24:25], s[2:3], 0x64
	s_load_b64 s[36:37], s[2:3], 0x80
	s_load_b64 s[30:31], s[2:3], 0xb8
	s_bfe_u32 s6, ttmp6, 0x40014
	s_lshr_b32 s5, ttmp7, 16
	s_add_co_i32 s6, s6, 1
	s_bfe_u32 s7, ttmp6, 0x40008
	s_mul_i32 s6, s5, s6
	s_getreg_b32 s27, hwreg(HW_REG_IB_STS2, 6, 4)
	s_add_co_i32 s7, s7, s6
	s_load_b128 s[20:23], s[2:3], 0x40
	v_mov_b32_e32 v132, 1.0
	s_mov_b32 s35, 0
	s_wait_kmcnt 0x0
	s_cvt_f32_u32 s4, s25
	s_sub_co_i32 s8, 0, s25
	s_delay_alu instid0(SALU_CYCLE_2) | instskip(SKIP_1) | instid1(TRANS32_DEP_1)
	v_rcp_iflag_f32_e32 v1, s4
	v_nop
	v_readfirstlane_b32 s4, v1
	s_mul_f32 s4, s4, 0x4f7ffffe
	s_delay_alu instid0(SALU_CYCLE_3) | instskip(NEXT) | instid1(SALU_CYCLE_3)
	s_cvt_u32_f32 s4, s4
	s_mul_i32 s8, s8, s4
	s_delay_alu instid0(SALU_CYCLE_1) | instskip(NEXT) | instid1(SALU_CYCLE_1)
	s_mul_hi_u32 s8, s4, s8
	s_add_co_i32 s4, s4, s8
	s_cmp_eq_u32 s27, 0
	s_cselect_b32 s5, s5, s7
	s_delay_alu instid0(SALU_CYCLE_1) | instskip(NEXT) | instid1(SALU_CYCLE_1)
	s_mul_hi_u32 s4, s5, s4
	s_mul_i32 s6, s4, s25
	s_add_co_i32 s7, s4, 1
	s_sub_co_i32 s6, s5, s6
	s_delay_alu instid0(SALU_CYCLE_1)
	s_sub_co_i32 s8, s6, s25
	s_cmp_ge_u32 s6, s25
	s_cselect_b32 s4, s7, s4
	s_cselect_b32 s6, s8, s6
	s_add_co_i32 s7, s4, 1
	s_cmp_ge_u32 s6, s25
	s_cselect_b32 s26, s7, s4
	s_abs_i32 s4, s37
	s_abs_i32 s9, s25
	s_cvt_f32_u32 s6, s4
	s_sub_co_i32 s7, 0, s4
	s_xor_b32 s8, s25, s37
	s_delay_alu instid0(SALU_CYCLE_1) | instskip(SKIP_2) | instid1(TRANS32_DEP_1)
	v_rcp_iflag_f32_e32 v1, s6
	s_ashr_i32 s8, s8, 31
	v_nop
	v_readfirstlane_b32 s6, v1
	s_mul_f32 s6, s6, 0x4f7ffffe
	s_delay_alu instid0(SALU_CYCLE_3) | instskip(NEXT) | instid1(SALU_CYCLE_3)
	s_cvt_u32_f32 s6, s6
	s_mul_i32 s7, s7, s6
	s_delay_alu instid0(SALU_CYCLE_1) | instskip(NEXT) | instid1(SALU_CYCLE_1)
	s_mul_hi_u32 s7, s6, s7
	s_add_co_i32 s6, s6, s7
	s_mul_i32 s7, s26, s25
	s_mul_hi_u32 s6, s9, s6
	s_sub_co_i32 s28, s5, s7
	s_mul_i32 s10, s6, s4
	s_add_co_i32 s7, s6, 1
	s_sub_co_i32 s5, s9, s10
	s_delay_alu instid0(SALU_CYCLE_1)
	s_sub_co_i32 s9, s5, s4
	s_cmp_ge_u32 s5, s4
	s_cselect_b32 s6, s7, s6
	s_cselect_b32 s5, s9, s5
	s_add_co_i32 s7, s6, 1
	s_cmp_ge_u32 s5, s4
	s_cselect_b32 s4, s7, s6
	s_abs_i32 s30, s30
	s_xor_b32 s5, s4, s8
	s_load_b32 s4, s[2:3], 0x50
	s_sub_co_i32 s39, s5, s8
	s_cvt_f32_u32 s5, s30
	s_abs_i32 s37, s39
	s_cmp_le_f32 s21, 0
	s_cvt_f32_u32 s6, s37
	v_rcp_iflag_f32_e32 v1, s5
	s_delay_alu instid0(SALU_CYCLE_2) | instskip(NEXT) | instid1(TRANS32_DEP_2)
	v_rcp_iflag_f32_e32 v2, s6
	v_readfirstlane_b32 s21, v1
	s_delay_alu instid0(TRANS32_DEP_1)
	v_readfirstlane_b32 s34, v2
	s_cbranch_scc1 .LBB9_2
; %bb.1:
	s_wait_kmcnt 0x0
	v_sub_co_u32 v1, s4, s28, s4
	s_and_b32 s6, s4, exec_lo
	s_cselect_b32 s6, s22, s23
	s_add_co_i32 s7, s28, 1
	v_readfirstlane_b32 s5, v1
	s_lshl_b32 s5, s5, 1
	s_delay_alu instid0(SALU_CYCLE_1) | instskip(SKIP_4) | instid1(SALU_CYCLE_3)
	s_or_b32 s5, s5, 1
	s_and_b32 s4, s4, exec_lo
	s_cselect_b32 s4, s7, s5
	s_cmp_neq_f32 s6, 1.0
	s_cvt_f32_i32 s4, s4
	s_cselect_b32 s5, s4, 1.0
	s_delay_alu instid0(SALU_CYCLE_1) | instskip(SKIP_1) | instid1(SALU_CYCLE_1)
	s_cmp_neq_f32 s5, 0
	s_cselect_b32 s4, s6, 1.0
	v_cvt_f64_f32_e64 v[2:3], |s4|
	s_delay_alu instid0(VALU_DEP_1) | instskip(SKIP_1) | instid1(VALU_DEP_1)
	v_frexp_exp_i32_f64_e32 v1, v[2:3]
	v_frexp_mant_f32_e64 v2, |s4|
	v_readfirstlane_b32 s6, v2
	s_cmp_lt_f32 s6, 0x3f2aaaab
	s_cselect_b32 vcc_lo, -1, 0
	s_delay_alu instid0(SALU_CYCLE_1) | instskip(SKIP_1) | instid1(SALU_CYCLE_1)
	s_and_b32 s7, vcc_lo, exec_lo
	s_cselect_b32 s7, 2.0, 1.0
	s_mul_f32 s6, s6, s7
	s_delay_alu instid0(SALU_CYCLE_3) | instskip(SKIP_1) | instid1(SALU_CYCLE_2)
	s_add_f32 s7, s6, 1.0
	s_add_f32 s9, s6, -1.0
	v_s_rcp_f32 s8, s7
	s_add_f32 s12, s7, -1.0
	v_subrev_co_ci_u32_e64 v1, null, 0, v1, vcc_lo
	s_delay_alu instid0(SALU_CYCLE_2) | instskip(NEXT) | instid1(TRANS32_DEP_1)
	s_sub_f32 s6, s6, s12
	s_mul_f32 s10, s9, s8
	v_cvt_f32_i32_e32 v1, v1
	s_delay_alu instid0(SALU_CYCLE_2) | instskip(NEXT) | instid1(SALU_CYCLE_3)
	s_mul_f32 s11, s7, s10
	v_dual_mov_b32 v3, s9 :: v_dual_mov_b32 v4, s11
	s_xor_b32 s13, s11, 0x80000000
	s_delay_alu instid0(SALU_CYCLE_1) | instskip(NEXT) | instid1(SALU_CYCLE_3)
	s_fmac_f32 s13, s10, s7
	s_fmac_f32 s13, s10, s6
	s_delay_alu instid0(SALU_CYCLE_3) | instskip(SKIP_2) | instid1(SALU_CYCLE_1)
	s_add_f32 s6, s11, s13
	v_mov_b32_e32 v6, s13
	s_mov_b32 s11, 0x3e76c4e1
	s_sub_f32 s7, s9, s6
	v_dual_mov_b32 v2, s6 :: v_dual_mov_b32 v7, s6
	s_delay_alu instid0(SALU_CYCLE_2) | instskip(NEXT) | instid1(VALU_DEP_1)
	v_mov_b32_e32 v5, s7
	v_pk_add_f32 v[2:3], v[2:3], v[4:5] neg_lo:[0,1] neg_hi:[0,1]
	s_delay_alu instid0(VALU_DEP_1) | instskip(NEXT) | instid1(VALU_DEP_1)
	v_pk_add_f32 v[2:3], v[2:3], v[6:7] neg_lo:[0,1] neg_hi:[0,1]
	v_readfirstlane_b32 s6, v3
	s_delay_alu instid0(VALU_DEP_2) | instskip(SKIP_1) | instid1(SALU_CYCLE_3)
	v_readfirstlane_b32 s9, v2
	s_add_f32 s6, s9, s6
	s_add_f32 s6, s7, s6
	s_delay_alu instid0(SALU_CYCLE_3) | instskip(NEXT) | instid1(SALU_CYCLE_3)
	s_mul_f32 s7, s8, s6
	s_add_f32 s6, s10, s7
	s_delay_alu instid0(SALU_CYCLE_3) | instskip(SKIP_1) | instid1(SALU_CYCLE_2)
	s_sub_f32 s8, s6, s10
	s_mul_f32 s9, s6, s6
	s_sub_f32 s10, s7, s8
	s_delay_alu instid0(SALU_CYCLE_2) | instskip(NEXT) | instid1(SALU_CYCLE_1)
	s_xor_b32 s7, s9, 0x80000000
	s_fmac_f32 s7, s6, s6
	s_delay_alu instid0(SALU_CYCLE_1) | instskip(NEXT) | instid1(SALU_CYCLE_3)
	s_add_f32 s8, s10, s10
	s_fmac_f32 s7, s6, s8
	s_delay_alu instid0(SALU_CYCLE_3) | instskip(NEXT) | instid1(SALU_CYCLE_3)
	s_add_f32 s8, s9, s7
	s_fmaak_f32 s11, s8, s11, 0x3e91f4c4
	s_sub_f32 s9, s8, s9
	s_delay_alu instid0(SALU_CYCLE_2) | instskip(NEXT) | instid1(SALU_CYCLE_2)
	s_fmaak_f32 s11, s8, s11, 0x3ecccdef
	s_sub_f32 s14, s7, s9
	s_delay_alu instid0(SALU_CYCLE_2) | instskip(NEXT) | instid1(SALU_CYCLE_3)
	s_mul_f32 s12, s8, s11
	s_xor_b32 s13, s12, 0x80000000
	s_delay_alu instid0(SALU_CYCLE_1) | instskip(NEXT) | instid1(SALU_CYCLE_3)
	s_fmac_f32 s13, s8, s11
	s_fmac_f32 s13, s14, s11
	s_delay_alu instid0(SALU_CYCLE_3) | instskip(NEXT) | instid1(SALU_CYCLE_3)
	s_add_f32 s9, s12, s13
	s_sub_f32 s7, s9, s12
	s_add_f32 s11, s9, 0x3f2aaaaa
	s_delay_alu instid0(SALU_CYCLE_2) | instskip(NEXT) | instid1(SALU_CYCLE_2)
	s_sub_f32 s7, s13, s7
	s_add_f32 s12, s11, 0xbf2aaaaa
	s_delay_alu instid0(SALU_CYCLE_2) | instskip(NEXT) | instid1(SALU_CYCLE_2)
	s_add_f32 s7, s7, 0x31739010
	s_sub_f32 s9, s9, s12
	s_delay_alu instid0(SALU_CYCLE_2) | instskip(NEXT) | instid1(SALU_CYCLE_2)
	v_mov_b64_e32 v[2:3], s[6:7]
	v_mov_b64_e32 v[4:5], s[8:9]
	s_delay_alu instid0(VALU_DEP_1) | instskip(SKIP_2) | instid1(VALU_DEP_3)
	v_pk_mul_f32 v[6:7], v[2:3], v[4:5]
	v_pk_add_f32 v[2:3], v[2:3], v[4:5]
	v_mov_b32_e32 v9, s11
	v_xor_b32_e32 v8, 0x80000000, v6
	s_delay_alu instid0(VALU_DEP_3) | instskip(NEXT) | instid1(VALU_DEP_2)
	v_mov_b32_e32 v7, v3
	v_fmac_f32_e64 v8, s8, s6
	s_delay_alu instid0(VALU_DEP_1) | instskip(NEXT) | instid1(VALU_DEP_1)
	v_fmac_f32_e64 v8, s8, s10
	v_fmac_f32_e64 v8, s14, s6
	s_delay_alu instid0(VALU_DEP_1) | instskip(NEXT) | instid1(VALU_DEP_1)
	v_pk_add_f32 v[4:5], v[6:7], v[8:9]
	v_dual_mov_b32 v2, v5 :: v_dual_sub_f32 v7, s11, v5
	v_mul_f32_e32 v12, 0x3f317218, v1
	s_delay_alu instid0(VALU_DEP_2) | instskip(NEXT) | instid1(VALU_DEP_3)
	v_pk_mul_f32 v[10:11], v[4:5], v[2:3]
	v_add_f32_e32 v3, v3, v7
	s_delay_alu instid0(VALU_DEP_3) | instskip(NEXT) | instid1(VALU_DEP_3)
	v_xor_b32_e32 v7, 0x80000000, v12
	v_xor_b32_e32 v2, 0x80000000, v10
	s_delay_alu instid0(VALU_DEP_2) | instskip(NEXT) | instid1(VALU_DEP_2)
	v_dual_sub_f32 v6, v4, v6 :: v_dual_fmac_f32 v7, 0x3f317218, v1
	v_fmac_f32_e32 v2, v4, v5
	s_delay_alu instid0(VALU_DEP_2) | instskip(NEXT) | instid1(VALU_DEP_2)
	v_sub_f32_e32 v6, v8, v6
	v_fmac_f32_e32 v2, v4, v3
	s_delay_alu instid0(VALU_DEP_1) | instskip(SKIP_3) | instid1(VALU_DEP_2)
	v_fmac_f32_e32 v2, v6, v5
	v_fmamk_f32 v4, v1, 0xb102e308, v7
	v_ldexp_f32 v5, s6, 1
	v_ldexp_f32 v1, s10, 1
	v_dual_add_f32 v13, v10, v2 :: v_dual_mov_b32 v11, v5
	s_delay_alu instid0(VALU_DEP_1) | instskip(SKIP_1) | instid1(VALU_DEP_2)
	v_pk_add_f32 v[6:7], v[12:13], v[4:5]
	v_dual_mov_b32 v8, v13 :: v_dual_mov_b32 v3, v13
	v_dual_mov_b32 v9, v7 :: v_dual_mov_b32 v5, v6
	v_mov_b32_e32 v14, v7
	s_delay_alu instid0(VALU_DEP_2) | instskip(NEXT) | instid1(VALU_DEP_1)
	v_pk_add_f32 v[8:9], v[8:9], v[10:11] neg_lo:[0,1] neg_hi:[0,1]
	v_pk_add_f32 v[2:3], v[2:3], v[8:9] neg_lo:[0,1] neg_hi:[0,1]
	s_delay_alu instid0(VALU_DEP_1) | instskip(NEXT) | instid1(VALU_DEP_1)
	v_add_f32_e32 v1, v1, v2
	v_add_f32_e32 v13, v1, v3
	s_delay_alu instid0(VALU_DEP_1) | instskip(SKIP_1) | instid1(VALU_DEP_2)
	v_pk_add_f32 v[2:3], v[6:7], v[12:13]
	v_pk_add_f32 v[8:9], v[6:7], v[12:13] neg_lo:[0,1] neg_hi:[0,1]
	v_mov_b32_e32 v9, v3
	s_delay_alu instid0(VALU_DEP_1) | instskip(SKIP_2) | instid1(VALU_DEP_3)
	v_pk_add_f32 v[10:11], v[4:5], v[8:9]
	v_pk_add_f32 v[4:5], v[4:5], v[8:9] neg_lo:[0,1] neg_hi:[0,1]
	v_dual_mov_b32 v16, v3 :: v_dual_mov_b32 v5, v6
	v_dual_mov_b32 v12, v11 :: v_dual_mov_b32 v17, v11
	s_delay_alu instid0(VALU_DEP_3) | instskip(NEXT) | instid1(VALU_DEP_2)
	v_readfirstlane_b32 s6, v4
	v_pk_add_f32 v[8:9], v[12:13], v[6:7] neg_lo:[0,1] neg_hi:[0,1]
	s_delay_alu instid0(VALU_DEP_2) | instskip(NEXT) | instid1(VALU_DEP_2)
	v_dual_mov_b32 v4, v13 :: v_dual_mov_b32 v10, s6
	v_dual_mov_b32 v15, v8 :: v_dual_mov_b32 v1, v8
	s_delay_alu instid0(VALU_DEP_1) | instskip(NEXT) | instid1(VALU_DEP_2)
	v_pk_add_f32 v[6:7], v[16:17], v[14:15] neg_lo:[0,1] neg_hi:[0,1]
	v_pk_add_f32 v[2:3], v[2:3], v[0:1] neg_lo:[0,1] neg_hi:[0,1]
	v_mov_b32_e32 v2, s6
	s_delay_alu instid0(VALU_DEP_3) | instskip(NEXT) | instid1(VALU_DEP_1)
	v_pk_add_f32 v[4:5], v[4:5], v[6:7] neg_lo:[0,1] neg_hi:[0,1]
	v_pk_add_f32 v[2:3], v[2:3], v[4:5]
	s_delay_alu instid0(VALU_DEP_1) | instskip(NEXT) | instid1(VALU_DEP_2)
	v_readfirstlane_b32 s7, v2
	v_mov_b32_e32 v6, v3
	s_delay_alu instid0(VALU_DEP_1) | instskip(NEXT) | instid1(VALU_DEP_3)
	v_pk_add_f32 v[6:7], v[2:3], v[6:7]
	v_mov_b32_e32 v2, s7
	s_delay_alu instid0(VALU_DEP_2) | instskip(SKIP_1) | instid1(VALU_DEP_2)
	v_pk_add_f32 v[8:9], v[12:13], v[6:7]
	v_mov_b32_e32 v5, v6
	v_readfirstlane_b32 s8, v8
	s_delay_alu instid0(VALU_DEP_1) | instskip(NEXT) | instid1(VALU_DEP_1)
	v_mov_b32_e32 v3, s8
	v_pk_add_f32 v[2:3], v[2:3], v[10:11] neg_lo:[0,1] neg_hi:[0,1]
	s_delay_alu instid0(VALU_DEP_1) | instskip(NEXT) | instid1(VALU_DEP_2)
	v_readfirstlane_b32 s9, v2
	v_pk_add_f32 v[2:3], v[4:5], v[2:3] neg_lo:[0,1] neg_hi:[0,1]
	s_sub_f32 s7, s7, s9
	s_delay_alu instid0(VALU_DEP_1) | instskip(NEXT) | instid1(SALU_CYCLE_2)
	v_readfirstlane_b32 s9, v2
	s_sub_f32 s6, s6, s7
	v_readfirstlane_b32 s7, v3
	s_delay_alu instid0(SALU_CYCLE_2) | instskip(NEXT) | instid1(SALU_CYCLE_3)
	s_add_f32 s6, s9, s6
	s_add_f32 s6, s6, s7
	s_delay_alu instid0(SALU_CYCLE_3) | instskip(NEXT) | instid1(SALU_CYCLE_3)
	s_add_f32 s7, s8, s6
	s_mul_f32 s9, s5, s7
	s_sub_f32 s8, s7, s8
	s_delay_alu instid0(SALU_CYCLE_2) | instskip(NEXT) | instid1(SALU_CYCLE_2)
	s_xor_b32 s10, s9, 0x80000000
	s_sub_f32 s6, s6, s8
	s_fmac_f32 s10, s5, s7
	s_delay_alu instid0(SALU_CYCLE_3) | instskip(SKIP_1) | instid1(SALU_CYCLE_2)
	s_fmac_f32 s10, s5, s6
	v_cmp_class_f32_e64 s6, s9, 0x204
	s_add_f32 s7, s9, s10
	s_and_b32 s6, s6, exec_lo
	s_delay_alu instid0(SALU_CYCLE_2) | instskip(SKIP_1) | instid1(SALU_CYCLE_1)
	s_sub_f32 s6, s7, s9
	s_cselect_b32 s7, s9, s7
	s_and_b32 s8, s7, 0x7fffffff
	s_delay_alu instid0(SALU_CYCLE_1) | instskip(SKIP_1) | instid1(SALU_CYCLE_2)
	s_sub_f32 s6, s10, s6
	s_cmp_neq_f32 s8, 0x7f800000
	s_cselect_b32 s6, s6, 0
	s_cmp_eq_f32 s7, 0x42b17218
	s_cselect_b32 s8, 0x37000000, 0
	s_delay_alu instid0(SALU_CYCLE_1) | instskip(SKIP_1) | instid1(SALU_CYCLE_2)
	s_sub_f32 s7, s7, s8
	s_add_f32 s6, s8, s6
	s_mul_f32 s9, s7, 0x3fb8aa3b
	s_delay_alu instid0(SALU_CYCLE_3) | instskip(SKIP_3) | instid1(SALU_CYCLE_1)
	s_xor_b32 s10, s9, 0x80000000
	s_rndne_f32 s11, s9
	s_fmamk_f32 s10, s7, 0x3fb8aa3b, s10
	s_cmp_nlt_f32 s7, 0xc2ce8ed0
	s_sub_f32 s9, s9, s11
	s_delay_alu instid0(SALU_CYCLE_1)
	s_fmamk_f32 s10, s7, 0x32a5705f, s10
	s_cselect_b32 vcc_lo, -1, 0
	s_cmp_ngt_f32 s7, 0x42b17218
	s_trunc_f32 s7, s5
	s_add_f32 s9, s9, s10
	s_cvt_i32_f32 s10, s11
	s_delay_alu instid0(SALU_CYCLE_2)
	v_s_exp_f32 s9, s9
	v_nop
	s_delay_alu instid0(TRANS32_DEP_1) | instid1(SALU_CYCLE_1)
	v_ldexp_f32 v1, s9, s10
	s_mul_f32 s9, s5, 0.5
	s_delay_alu instid0(VALU_DEP_1) | instskip(SKIP_3) | instid1(VALU_DEP_1)
	v_cndmask_b32_e32 v1, 0, v1, vcc_lo
	s_cselect_b32 vcc_lo, -1, 0
	s_cmp_eq_f32 s7, s5
	s_trunc_f32 s10, s9
	v_cndmask_b32_e32 v1, 0x7f800000, v1, vcc_lo
	s_cselect_b32 s11, -1, 0
	s_delay_alu instid0(SALU_CYCLE_1) | instskip(NEXT) | instid1(VALU_DEP_1)
	s_cmp_neq_f32 s10, s9
	v_fma_f32 v2, s6, v1, v1
	v_cmp_class_f32_e64 vcc_lo, v1, 0x204
	s_cselect_b32 s8, -1, 0
	s_delay_alu instid0(SALU_CYCLE_1)
	s_and_b32 s6, s11, s8
	v_cndmask_b32_e32 v1, v2, v1, vcc_lo
	s_and_b32 s8, s6, exec_lo
	s_cselect_b32 s8, s4, 1.0
	s_cmp_eq_f32 s7, s5
	v_cmp_class_f32_e64 s7, s4, 0x204
	v_bfi_b32 v1, 0x7fffffff, v1, s8
	s_cselect_b32 vcc_lo, -1, 0
	s_cmp_lt_f32 s4, 0
	s_delay_alu instid0(VALU_DEP_1) | instskip(SKIP_2) | instid1(VALU_DEP_1)
	v_cndmask_b32_e32 v2, 0x7fc00000, v1, vcc_lo
	s_cselect_b32 vcc_lo, -1, 0
	s_cmp_eq_f32 s4, 0
	v_cndmask_b32_e32 v1, v1, v2, vcc_lo
	s_cselect_b32 s8, -1, 0
	s_delay_alu instid0(SALU_CYCLE_1) | instskip(SKIP_2) | instid1(SALU_CYCLE_1)
	s_or_b32 vcc_lo, s8, s7
	s_cmp_lt_f32 s5, 0
	s_cselect_b32 s5, -1, 0
	s_xor_b32 s5, s5, s8
	s_delay_alu instid0(SALU_CYCLE_1)
	s_and_b32 s5, s5, exec_lo
	s_cselect_b32 s5, 0, 0x7f800000
	s_and_b32 s6, s6, exec_lo
	s_cselect_b32 s6, s4, 0
	s_cmp_o_f32 s4, s4
	v_mov_b32_e32 v2, s6
	s_delay_alu instid0(VALU_DEP_1) | instskip(NEXT) | instid1(VALU_DEP_1)
	v_bfi_b32 v2, 0x7fffffff, s5, v2
	v_cndmask_b32_e32 v1, v1, v2, vcc_lo
	s_cselect_b32 vcc_lo, -1, 0
	s_delay_alu instid0(VALU_DEP_1)
	v_cndmask_b32_e32 v132, 0x7fc00000, v1, vcc_lo
.LBB9_2:
	s_load_b64 s[22:23], s[0:1], 0x4
	v_bfe_u32 v127, v0, 10, 10
	s_wait_kmcnt 0x0
	s_load_b512 s[4:19], s[2:3], 0x0
	v_and_b32_e32 v126, 0x3ff, v0
	v_bfe_u32 v0, v0, 20, 10
	s_and_b32 s1, ttmp6, 15
	s_delay_alu instid0(VALU_DEP_2)
	v_dual_mov_b32 v13, 0 :: v_dual_lshlrev_b32 v129, 2, v126
	v_mul_u32_u24_e32 v1, s23, v127
	s_lshr_b32 s0, s22, 16
	s_bfe_u32 s22, ttmp6, 0x4000c
	s_mul_i32 s0, s0, s23
	s_add_co_i32 s22, s22, 1
	v_mad_u32_u24 v1, s0, v126, v1
	s_mul_i32 s22, ttmp9, s22
	v_cmp_lt_u32_e64 s0, 1, v127
	s_add_co_i32 s1, s1, s22
	s_cmp_eq_u32 s27, 0
	v_add_lshl_u32 v10, v1, v0, 4
	s_cselect_b32 s22, ttmp9, s1
	s_mov_b32 s23, exec_lo
	s_lshl_b32 s33, s22, 1
	s_delay_alu instid0(VALU_DEP_1)
	v_add_nc_u32_e32 v0, 0x604, v10
	v_add_nc_u32_e32 v1, 0x400, v10
	ds_store_2addr_b32 v0, v13, v13 offset1:1
	ds_store_2addr_b32 v1, v13, v13 offset0:128 offset1:131
	v_cmpx_gt_u32_e32 2, v127
	s_cbranch_execz .LBB9_23
; %bb.3:
	v_dual_lshlrev_b32 v5, 7, v127 :: v_dual_bitop2_b32 v0, s33, v127 bitop3:0x54
	s_mov_b32 s29, exec_lo
	v_cmp_gt_u32_e32 vcc_lo, 16, v126
	s_delay_alu instid0(VALU_DEP_2) | instskip(NEXT) | instid1(VALU_DEP_3)
	v_add_nc_u32_e32 v4, v5, v129
	v_cmpx_le_i32_e64 s24, v0
	s_xor_b32 s29, exec_lo, s29
	s_cbranch_execz .LBB9_9
; %bb.4:
	s_and_saveexec_b32 s1, vcc_lo
; %bb.5:
	v_mov_b32_e32 v0, 0
	ds_store_b32 v4, v0
; %bb.6:
	s_or_b32 exec_lo, exec_lo, s1
	s_delay_alu instid0(SALU_CYCLE_1)
	s_mov_b32 s38, exec_lo
	v_cmpx_gt_u32_e32 2, v126
; %bb.7:
	v_mov_b64_e32 v[0:1], 0
	v_add_nc_u32_e32 v2, v4, v129
	ds_store_b64 v2, v[0:1] offset:64
; %bb.8:
	s_or_b32 exec_lo, exec_lo, s38
                                        ; implicit-def: $vgpr4
                                        ; implicit-def: $vgpr5
.LBB9_9:
	s_and_not1_saveexec_b32 s1, s29
	s_cbranch_execz .LBB9_23
; %bb.10:
	s_load_b96 s[40:42], s[2:3], 0x70
	v_mov_b32_e32 v6, 0
	s_wait_kmcnt 0x0
	v_mul_lo_u32 v0, s40, v127
	s_mul_i32 s1, s26, s42
	s_mul_i32 s29, s40, s33
	;; [unrolled: 1-line block ×3, first 2 shown]
	s_add_co_i32 s1, s1, s29
	s_delay_alu instid0(SALU_CYCLE_1) | instskip(NEXT) | instid1(SALU_CYCLE_1)
	s_add_co_i32 s40, s1, s38
	s_ashr_i32 s41, s40, 31
	s_delay_alu instid0(SALU_CYCLE_1) | instskip(NEXT) | instid1(VALU_DEP_1)
	s_add_nc_u64 s[4:5], s[4:5], s[40:41]
	v_ashrrev_i32_e32 v1, 31, v0
	s_delay_alu instid0(VALU_DEP_1) | instskip(SKIP_1) | instid1(VALU_DEP_1)
	v_add_nc_u64_e32 v[2:3], s[4:5], v[0:1]
	v_dual_mov_b32 v1, 0 :: v_dual_lshlrev_b32 v0, 2, v129
	v_add_nc_u64_e32 v[2:3], v[2:3], v[0:1]
	s_and_saveexec_b32 s1, vcc_lo
	s_cbranch_execz .LBB9_12
; %bb.11:
	global_load_b32 v0, v[2:3], off
	s_wait_loadcnt 0x0
	v_mul_f32_e32 v6, s20, v0
.LBB9_12:
	s_or_b32 exec_lo, exec_lo, s1
	s_and_saveexec_b32 s1, vcc_lo
	s_cbranch_execz .LBB9_14
; %bb.13:
	global_load_b32 v0, v[2:3], off offset:4
	s_wait_loadcnt 0x0
	v_mul_f32_e32 v1, s20, v0
.LBB9_14:
	s_or_b32 exec_lo, exec_lo, s1
	v_dual_mov_b32 v7, 0 :: v_dual_mov_b32 v8, 0
	s_and_saveexec_b32 s1, vcc_lo
	s_cbranch_execz .LBB9_16
; %bb.15:
	global_load_b32 v0, v[2:3], off offset:8
	s_wait_loadcnt 0x0
	v_mul_f32_e32 v8, s20, v0
.LBB9_16:
	s_or_b32 exec_lo, exec_lo, s1
	s_and_saveexec_b32 s1, vcc_lo
	s_cbranch_execz .LBB9_18
; %bb.17:
	global_load_b32 v0, v[2:3], off offset:12
	s_wait_loadcnt 0x0
	v_mul_f32_e32 v7, s20, v0
.LBB9_18:
	s_or_b32 exec_lo, exec_lo, s1
	v_mbcnt_lo_u32_b32 v0, -1, 0
	v_max_num_f32_e64 v2, |v1|, |v1|
	v_max_num_f32_e64 v3, |v6|, |v6|
	s_mov_b32 s20, exec_lo
	s_delay_alu instid0(VALU_DEP_3) | instskip(NEXT) | instid1(VALU_DEP_2)
	v_xor_b32_e32 v9, 4, v0
	v_dual_max_num_f32 v2, v3, v2 :: v_dual_bitop2_b32 v11, 2, v0 bitop3:0x14
	v_xor_b32_e32 v12, 1, v0
	s_delay_alu instid0(VALU_DEP_3) | instskip(NEXT) | instid1(VALU_DEP_3)
	v_cmp_gt_i32_e32 vcc_lo, 32, v9
	v_max3_num_f32 v2, v2, |v8|, |v7|
	v_cndmask_b32_e32 v3, v0, v9, vcc_lo
	v_cmp_gt_i32_e32 vcc_lo, 32, v11
	s_delay_alu instid0(VALU_DEP_2) | instskip(SKIP_4) | instid1(VALU_DEP_2)
	v_lshlrev_b32_e32 v3, 2, v3
	ds_bpermute_b32 v9, v3, v2
	s_wait_dscnt 0x0
	v_dual_max_num_f32 v9, v9, v9 :: v_dual_cndmask_b32 v11, v0, v11, vcc_lo
	v_cmp_gt_i32_e32 vcc_lo, 32, v12
	v_dual_max_num_f32 v2, v2, v9 :: v_dual_lshlrev_b32 v11, 2, v11
	ds_bpermute_b32 v9, v11, v2
	s_wait_dscnt 0x0
	v_dual_cndmask_b32 v0, v0, v12 :: v_dual_max_num_f32 v9, v9, v9
	s_delay_alu instid0(VALU_DEP_1) | instskip(SKIP_3) | instid1(VALU_DEP_1)
	v_dual_lshlrev_b32 v0, 2, v0 :: v_dual_max_num_f32 v2, v2, v9
	ds_bpermute_b32 v9, v0, v2
	s_wait_dscnt 0x0
	v_max_num_f32_e32 v9, v9, v9
	v_max_num_f32_e32 v9, v2, v9
	s_delay_alu instid0(VALU_DEP_1) | instskip(NEXT) | instid1(VALU_DEP_1)
	v_div_scale_f32 v14, null, 0x42fe0000, 0x42fe0000, v9
	v_rcp_f32_e32 v15, v14
	v_add_f32_e32 v12, v6, v1
	s_delay_alu instid0(VALU_DEP_1) | instskip(NEXT) | instid1(VALU_DEP_1)
	v_add_f32_e32 v12, v12, v8
	v_add_f32_e32 v12, v12, v7
	ds_bpermute_b32 v3, v3, v12
	s_wait_dscnt 0x0
	v_add_f32_e32 v2, v12, v3
	v_fma_f32 v3, -v14, v15, 1.0
	v_div_scale_f32 v12, vcc_lo, v9, 0x42fe0000, v9
	ds_bpermute_b32 v11, v11, v2
	v_fmac_f32_e32 v15, v3, v15
	s_delay_alu instid0(VALU_DEP_1) | instskip(NEXT) | instid1(VALU_DEP_1)
	v_mul_f32_e32 v16, v12, v15
	v_fma_f32 v3, -v14, v16, v12
	s_delay_alu instid0(VALU_DEP_1) | instskip(SKIP_4) | instid1(VALU_DEP_1)
	v_fmac_f32_e32 v16, v3, v15
	s_wait_dscnt 0x0
	v_add_f32_e32 v2, v2, v11
	ds_bpermute_b32 v3, v0, v2
	v_fma_f32 v0, -v14, v16, v12
	v_div_fmas_f32 v0, v0, v15, v16
	s_delay_alu instid0(VALU_DEP_1) | instskip(SKIP_1) | instid1(VALU_DEP_2)
	v_div_fixup_f32 v0, v0, 0x42fe0000, v9
	v_mov_b32_e32 v9, 0
	v_cmpx_neq_f32_e32 0, v0
	s_cbranch_execz .LBB9_20
; %bb.19:
	v_div_scale_f32 v9, null, v0, v0, v6
	v_div_scale_f32 v11, null, v0, v0, v1
	;; [unrolled: 1-line block ×3, first 2 shown]
	s_delay_alu instid0(VALU_DEP_3) | instskip(NEXT) | instid1(VALU_DEP_2)
	v_rcp_f32_e32 v12, v9
	v_rcp_f32_e32 v15, v11
	v_div_scale_f32 v20, null, v0, v0, v7
	s_delay_alu instid0(VALU_DEP_2) | instskip(SKIP_1) | instid1(TRANS32_DEP_3)
	v_rcp_f32_e32 v17, v14
	v_div_scale_f32 v16, vcc_lo, v6, v0, v6
	v_fma_f32 v18, -v9, v12, 1.0
	s_delay_alu instid0(TRANS32_DEP_2) | instskip(SKIP_1) | instid1(VALU_DEP_2)
	v_fma_f32 v19, -v11, v15, 1.0
	v_div_scale_f32 v21, s1, v1, v0, v1
	v_dual_fmac_f32 v12, v18, v12 :: v_dual_fmac_f32 v15, v19, v15
	v_rcp_f32_e32 v19, v20
	v_fma_f32 v18, -v14, v17, 1.0
	s_delay_alu instid0(VALU_DEP_2) | instskip(NEXT) | instid1(VALU_DEP_2)
	v_dual_mul_f32 v22, v16, v12 :: v_dual_mul_f32 v23, v21, v15
	v_fmac_f32_e32 v17, v18, v17
	s_delay_alu instid0(TRANS32_DEP_1) | instskip(SKIP_1) | instid1(VALU_DEP_4)
	v_fma_f32 v24, -v20, v19, 1.0
	v_div_scale_f32 v18, s4, v8, v0, v8
	v_dual_fma_f32 v25, -v9, v22, v16 :: v_dual_fma_f32 v26, -v11, v23, v21
	s_delay_alu instid0(VALU_DEP_3) | instskip(SKIP_1) | instid1(VALU_DEP_3)
	v_fmac_f32_e32 v19, v24, v19
	v_div_scale_f32 v24, s5, v7, v0, v7
	v_dual_mul_f32 v27, v18, v17 :: v_dual_fmac_f32 v22, v25, v12
	s_delay_alu instid0(VALU_DEP_4) | instskip(NEXT) | instid1(VALU_DEP_3)
	v_fmac_f32_e32 v23, v26, v15
	v_mul_f32_e32 v26, v24, v19
	s_delay_alu instid0(VALU_DEP_3) | instskip(NEXT) | instid1(VALU_DEP_1)
	v_dual_fma_f32 v25, -v14, v27, v18 :: v_dual_fma_f32 v9, -v9, v22, v16
	v_dual_fma_f32 v16, -v20, v26, v24 :: v_dual_fmac_f32 v27, v25, v17
	s_delay_alu instid0(VALU_DEP_2) | instskip(SKIP_1) | instid1(VALU_DEP_2)
	v_div_fmas_f32 v9, v9, v12, v22
	s_mov_b32 vcc_lo, s1
	v_fmac_f32_e32 v26, v16, v19
	v_fma_f32 v11, -v11, v23, v21
	v_fma_f32 v12, -v14, v27, v18
	v_div_fixup_f32 v6, v9, v0, v6
	s_delay_alu instid0(VALU_DEP_4) | instskip(NEXT) | instid1(VALU_DEP_4)
	v_fma_f32 v14, -v20, v26, v24
	v_div_fmas_f32 v11, v11, v15, v23
	s_mov_b32 vcc_lo, s4
	s_delay_alu instid0(VALU_DEP_3) | instskip(SKIP_3) | instid1(VALU_DEP_2)
	v_trunc_f32_e32 v16, v6
	v_div_fmas_f32 v12, v12, v17, v27
	s_mov_b32 vcc_lo, s5
	v_div_fixup_f32 v1, v11, v0, v1
	v_div_fixup_f32 v8, v12, v0, v8
	v_div_fmas_f32 v12, v14, v19, v26
	s_delay_alu instid0(VALU_DEP_2) | instskip(NEXT) | instid1(VALU_DEP_2)
	v_trunc_f32_e32 v11, v8
	v_div_fixup_f32 v7, v12, v0, v7
	v_trunc_f32_e32 v12, v1
	s_delay_alu instid0(VALU_DEP_3) | instskip(NEXT) | instid1(VALU_DEP_3)
	v_sub_f32_e32 v14, v8, v11
	v_trunc_f32_e32 v9, v7
	s_delay_alu instid0(VALU_DEP_3) | instskip(NEXT) | instid1(VALU_DEP_3)
	v_sub_f32_e32 v15, v1, v12
	v_cmp_ge_f32_e64 s1, |v14|, 0.5
	s_delay_alu instid0(VALU_DEP_3) | instskip(NEXT) | instid1(VALU_DEP_2)
	v_sub_f32_e32 v17, v7, v9
	v_cndmask_b32_e64 v14, 0, 1.0, s1
	s_delay_alu instid0(VALU_DEP_4) | instskip(NEXT) | instid1(VALU_DEP_2)
	v_cmp_ge_f32_e64 s1, |v15|, 0.5
	v_bfi_b32 v8, 0x7fffffff, v14, v8
	s_delay_alu instid0(VALU_DEP_2) | instskip(SKIP_1) | instid1(VALU_DEP_3)
	v_cndmask_b32_e64 v15, 0, 1.0, s1
	v_cmp_ge_f32_e64 s1, |v17|, 0.5
	v_add_f32_e32 v8, v11, v8
	s_delay_alu instid0(VALU_DEP_3) | instskip(SKIP_1) | instid1(VALU_DEP_4)
	v_bfi_b32 v1, 0x7fffffff, v15, v1
	v_sub_f32_e32 v14, v6, v16
	v_cndmask_b32_e64 v17, 0, 1.0, s1
	s_delay_alu instid0(VALU_DEP_4) | instskip(NEXT) | instid1(VALU_DEP_4)
	v_cvt_i32_f32_e32 v8, v8
	v_add_f32_e32 v1, v12, v1
	s_delay_alu instid0(VALU_DEP_4) | instskip(NEXT) | instid1(VALU_DEP_4)
	v_cmp_ge_f32_e64 s1, |v14|, 0.5
	v_bfi_b32 v7, 0x7fffffff, v17, v7
	s_delay_alu instid0(VALU_DEP_4) | instskip(NEXT) | instid1(VALU_DEP_4)
	v_and_b32_e32 v8, 0xff, v8
	v_cvt_i32_f32_e32 v1, v1
	s_delay_alu instid0(VALU_DEP_4) | instskip(NEXT) | instid1(VALU_DEP_2)
	v_cndmask_b32_e64 v11, 0, 1.0, s1
	v_and_b32_e32 v1, 0xff, v1
	s_delay_alu instid0(VALU_DEP_2) | instskip(SKIP_1) | instid1(VALU_DEP_2)
	v_bfi_b32 v6, 0x7fffffff, v11, v6
	v_dual_add_f32 v7, v9, v7 :: v_dual_lshlrev_b32 v8, 16, v8
	v_dual_add_f32 v6, v16, v6 :: v_dual_lshlrev_b32 v1, 8, v1
	s_delay_alu instid0(VALU_DEP_2) | instskip(NEXT) | instid1(VALU_DEP_2)
	v_cvt_i32_f32_e32 v7, v7
	v_cvt_i32_f32_e32 v6, v6
	s_delay_alu instid0(VALU_DEP_2) | instskip(NEXT) | instid1(VALU_DEP_2)
	v_lshl_or_b32 v7, v7, 24, v8
	v_and_b32_e32 v6, 0xff, v6
	s_delay_alu instid0(VALU_DEP_1)
	v_or3_b32 v9, v7, v1, v6
.LBB9_20:
	s_or_b32 exec_lo, exec_lo, s20
	v_and_b32_e32 v1, 0x77, v126
	s_mov_b32 s1, exec_lo
	ds_store_b32 v4, v9
	v_cmpx_eq_u32_e32 0, v1
	s_cbranch_execz .LBB9_22
; %bb.21:
	s_wait_dscnt 0x1
	v_dual_add_f32 v1, v2, v3 :: v_dual_add_nc_u32 v2, v5, v126
	ds_store_b64 v2, v[0:1] offset:64
.LBB9_22:
	s_or_b32 exec_lo, exec_lo, s1
.LBB9_23:
	s_delay_alu instid0(SALU_CYCLE_1) | instskip(SKIP_4) | instid1(VALU_DEP_1)
	s_or_b32 exec_lo, exec_lo, s23
	v_and_b32_e32 v8, 1, v126
	s_wait_dscnt 0x0
	s_barrier_signal -1
	s_barrier_wait -1
	v_lshlrev_b32_e32 v14, 2, v8
	s_wait_kmcnt 0x0
	s_cmp_eq_u64 s[14:15], 0
	s_mov_b32 s29, s36
	ds_load_2addr_b32 v[16:17], v14 offset1:2
	ds_load_2addr_b32 v[18:19], v14 offset0:4 offset1:6
	ds_load_2addr_b32 v[20:21], v14 offset0:8 offset1:10
	;; [unrolled: 1-line block ×4, first 2 shown]
	ds_load_b128 v[0:3], v13 offset:64
	ds_load_b128 v[4:7], v13 offset:192
	ds_load_2addr_b32 v[26:27], v14 offset0:36 offset1:38
	ds_load_2addr_b32 v[28:29], v14 offset0:40 offset1:42
	;; [unrolled: 1-line block ×3, first 2 shown]
	s_wait_dscnt 0x0
	s_barrier_signal -1
	s_barrier_wait -1
	s_cbranch_scc1 .LBB9_25
; %bb.24:
	s_load_b32 s1, s[2:3], 0xd0
	s_wait_kmcnt 0x0
	s_mul_i32 s1, s1, s26
	s_delay_alu instid0(SALU_CYCLE_1)
	s_add_co_i32 s1, s1, s22
	s_load_b32 s29, s[14:15], s1 offset:0x0 scale_offset
.LBB9_25:
	v_lshlrev_b32_e32 v9, 5, v127
	s_wait_xcnt 0x0
	s_bfe_u32 s1, ttmp6, 0x40010
	s_and_b32 s4, ttmp7, 0xffff
	s_add_co_i32 s1, s1, 1
	s_bfe_u32 s5, ttmp6, 0x40004
	s_mul_i32 s1, s4, s1
	v_add_nc_u32_e32 v128, v9, v126
	s_add_co_i32 s5, s5, s1
	s_cmp_eq_u32 s27, 0
	v_add_nc_u32_e32 v131, 0x600, v10
	s_cselect_b32 s48, s4, s5
	v_mbcnt_lo_u32_b32 v133, -1, 0
	v_lshlrev_b32_e32 v130, 1, v128
	s_lshl_b32 s49, s48, 7
	s_mov_b32 s5, 0
	s_wait_kmcnt 0x0
	s_cmp_ge_i32 s49, s29
	s_cbranch_scc1 .LBB9_37
; %bb.26:
	s_mul_f32 s1, s34, 0x4f7ffffe
	s_mul_f32 s4, s21, 0x4f7ffffe
	s_sub_co_i32 s15, 0, s37
	s_sub_co_i32 s20, 0, s30
	s_cvt_u32_f32 s1, s1
	s_cvt_u32_f32 s4, s4
	s_load_b64 s[42:43], s[2:3], 0xa8
	s_abs_i32 s34, s28
	s_mul_i32 s15, s15, s1
	s_mul_i32 s20, s20, s4
	s_mul_hi_u32 s15, s1, s15
	s_mul_hi_u32 s21, s4, s20
	s_add_co_i32 s20, s1, s15
	s_add_co_i32 s38, s4, s21
	s_mov_b32 s21, s35
	v_bfe_u32 v10, v126, 3, 1
	s_mul_u64 s[40:41], s[34:35], s[20:21]
	s_clause 0x1
	s_load_b128 s[20:23], s[2:3], 0x98
	s_load_b64 s[44:45], s[2:3], 0x8c
	v_dual_mov_b32 v15, 0 :: v_dual_lshrrev_b32 v44, 4, v126
	v_mul_hi_u32_u24_e32 v11, 22, v10
	v_mul_u32_u24_e32 v10, 22, v10
	s_ashr_i32 s1, s28, 31
	s_ashr_i32 s4, s39, 31
	s_mul_i32 s15, s41, s37
	v_dual_add_nc_u32 v46, v9, v44 :: v_dual_bitop2_b32 v12, 12, v129 bitop3:0x40
	s_xor_b32 s1, s1, s4
	s_sub_co_i32 s4, s34, s15
	s_wait_kmcnt 0x0
	v_mad_nc_u64_u32 v[10:11], s42, s26, v[10:11]
	s_abs_i32 s14, s26
	s_ashr_i32 s27, s26, 31
	s_add_co_i32 s15, s41, 1
	s_sub_co_i32 s34, s4, s37
	s_cmp_ge_u32 s4, s37
	v_dual_add_nc_u32 v13, 30, v46 :: v_dual_add_nc_u32 v33, 28, v46
	s_cselect_b32 s15, s15, s41
	s_cselect_b32 s4, s34, s4
	s_add_co_i32 s34, s15, 1
	s_cmp_ge_u32 s4, s37
	v_mul_lo_u32 v32, s22, v13
	s_cselect_b32 s4, s34, s15
	s_mul_i32 s15, s43, s26
	s_mul_i32 s37, s42, s27
	v_mov_b32_e32 v13, v15
	v_add3_u32 v11, s37, s15, v11
	v_mul_lo_u32 v34, s22, v33
	v_dual_add_nc_u32 v33, 26, v46 :: v_dual_add_nc_u32 v37, 24, v46
	s_mov_b32 s15, s35
	s_delay_alu instid0(VALU_DEP_3) | instskip(SKIP_1) | instid1(VALU_DEP_2)
	v_add_nc_u64_e32 v[12:13], v[10:11], v[12:13]
	s_mov_b32 s39, s35
	v_mul_lo_u32 v36, s22, v33
	v_ashrrev_i32_e32 v33, 31, v32
	v_mul_lo_u32 v38, s22, v37
	s_xor_b32 s4, s4, s1
	s_mul_u64 s[38:39], s[14:15], s[38:39]
	v_ashrrev_i32_e32 v35, 31, v34
	v_add_nc_u64_e32 v[48:49], v[12:13], v[32:33]
	v_add_nc_u64_e32 v[56:57], v[10:11], v[32:33]
	v_dual_add_nc_u32 v32, 22, v46 :: v_dual_add_nc_u32 v33, 20, v46
	s_sub_co_i32 s1, s4, s1
	v_ashrrev_i32_e32 v37, 31, v36
	v_add_nc_u64_e32 v[50:51], v[12:13], v[34:35]
	s_delay_alu instid0(VALU_DEP_3)
	v_mul_lo_u32 v32, s22, v32
	v_add_nc_u64_e32 v[60:61], v[10:11], v[34:35]
	v_add_nc_u32_e32 v35, 18, v46
	v_mul_lo_u32 v34, s22, v33
	v_add_nc_u32_e32 v33, 16, v46
	v_add_nc_u64_e32 v[54:55], v[12:13], v[36:37]
	v_add_nc_u64_e32 v[64:65], v[10:11], v[36:37]
	v_mul_lo_u32 v40, s22, v35
	v_dual_add_nc_u32 v35, 14, v46 :: v_dual_add_nc_u32 v37, 12, v46
	v_mul_lo_u32 v36, s22, v33
	v_dual_ashrrev_i32 v39, 31, v38 :: v_dual_ashrrev_i32 v33, 31, v32
	s_delay_alu instid0(VALU_DEP_3) | instskip(SKIP_2) | instid1(VALU_DEP_3)
	v_mul_lo_u32 v42, s22, v35
	v_ashrrev_i32_e32 v35, 31, v34
	s_mul_i32 s4, s39, s30
	v_add_nc_u64_e32 v[58:59], v[12:13], v[38:39]
	v_add_nc_u64_e32 v[62:63], v[12:13], v[32:33]
	v_add_nc_u64_e32 v[72:73], v[10:11], v[32:33]
	v_mul_lo_u32 v32, s22, v37
	v_ashrrev_i32_e32 v41, 31, v40
	v_add_nc_u64_e32 v[66:67], v[12:13], v[34:35]
	v_ashrrev_i32_e32 v37, 31, v36
	v_add_nc_u64_e32 v[76:77], v[10:11], v[34:35]
	v_dual_add_nc_u32 v33, 10, v46 :: v_dual_add_nc_u32 v35, 8, v46
	v_ashrrev_i32_e32 v43, 31, v42
	s_delay_alu instid0(VALU_DEP_4) | instskip(SKIP_1) | instid1(VALU_DEP_4)
	v_add_nc_u64_e32 v[74:75], v[12:13], v[36:37]
	v_add_nc_u64_e32 v[84:85], v[10:11], v[36:37]
	v_mul_lo_u32 v34, s22, v33
	v_mul_lo_u32 v36, s22, v35
	v_dual_add_nc_u32 v33, 6, v46 :: v_dual_add_nc_u32 v35, 4, v46
	v_add_nc_u32_e32 v37, 2, v46
	v_add_nc_u64_e32 v[68:69], v[10:11], v[38:39]
	v_add_nc_u64_e32 v[70:71], v[12:13], v[40:41]
	;; [unrolled: 1-line block ×5, first 2 shown]
	v_mul_lo_u32 v38, s22, v33
	v_ashrrev_i32_e32 v33, 31, v32
	v_mul_lo_u32 v40, s22, v35
	v_mul_lo_u32 v42, s22, v37
	s_mul_i32 s42, s1, s23
	s_mul_i32 s38, s1, s45
	v_add_nc_u64_e32 v[82:83], v[12:13], v[32:33]
	v_add_nc_u64_e32 v[92:93], v[10:11], v[32:33]
	v_mul_lo_u32 v32, s22, v46
	s_sub_co_i32 s1, s14, s4
	s_ashr_i32 s43, s42, 31
	s_ashr_i32 s39, s38, 31
	s_sub_co_i32 s4, s1, s30
	s_cmp_ge_u32 s1, s30
	v_dual_ashrrev_i32 v35, 31, v34 :: v_dual_ashrrev_i32 v37, 31, v36
	v_dual_ashrrev_i32 v39, 31, v38 :: v_dual_ashrrev_i32 v41, 31, v40
	s_delay_alu instid0(VALU_DEP_3) | instskip(SKIP_1) | instid1(VALU_DEP_3)
	v_dual_ashrrev_i32 v43, 31, v42 :: v_dual_ashrrev_i32 v33, 31, v32
	s_cselect_b32 s1, s4, s1
	v_add_nc_u64_e32 v[96:97], v[10:11], v[34:35]
	s_sub_co_i32 s4, s1, s30
	s_cmp_ge_u32 s1, s30
	v_add_nc_u64_e32 v[100:101], v[10:11], v[36:37]
	v_add_nc_u64_e32 v[104:105], v[10:11], v[38:39]
	;; [unrolled: 1-line block ×5, first 2 shown]
	s_cselect_b32 s1, s4, s1
	v_add_nc_u64_e32 v[86:87], v[12:13], v[34:35]
	s_xor_b32 s4, s1, s27
	v_cmp_eq_u32_e64 s1, 0, v8
	v_and_b32_e32 v8, 0x7e, v126
	v_add_nc_u64_e32 v[90:91], v[12:13], v[36:37]
	v_add_nc_u64_e32 v[116:117], v[10:11], v[32:33]
	v_xor_b32_e32 v11, 1, v133
	v_add_nc_u64_e32 v[98:99], v[12:13], v[38:39]
	v_dual_add_nc_u32 v8, v9, v8 :: v_dual_bitop2_b32 v34, 30, v133 bitop3:0x40
	v_add_nc_u64_e32 v[102:103], v[12:13], v[40:41]
	v_add_nc_u64_e32 v[106:107], v[12:13], v[42:43]
	;; [unrolled: 1-line block ×3, first 2 shown]
	s_clause 0x1
	s_load_b64 s[40:41], s[2:3], 0xc8
	s_load_b32 s34, s[2:3], 0xd4
	v_add_nc_u32_e32 v10, 2, v34
	s_mul_u64 s[46:47], s[20:21], s[26:27]
	s_sub_co_i32 s50, s4, s27
	s_mul_i32 s14, s31, s33
	v_add_nc_u64_e32 v[40:41], s[46:47], v[14:15]
	v_add_nc_u64_e32 v[12:13], v[12:13], v[32:33]
	v_or_b32_e32 v33, v9, v44
	v_cmp_lt_i32_e32 vcc_lo, v11, v10
	v_dual_add_nc_u32 v44, s36, v8 :: v_dual_bitop2_b32 v32, 4, v133 bitop3:0x14
	s_ashr_i32 s51, s50, 31
	s_ashr_i32 s15, s14, 31
	s_delay_alu instid0(VALU_DEP_1) | instskip(SKIP_3) | instid1(VALU_DEP_2)
	v_dual_cndmask_b32 v10, v133, v11 :: v_dual_ashrrev_i32 v45, 31, v44
	s_cmp_lg_u64 s[10:11], 0
	v_lshlrev_b32_e32 v140, 1, v46
	s_cselect_b32 s45, -1, 0
	v_lshlrev_b32_e32 v134, 2, v10
	v_mul_lo_u32 v10, v8, s44
	v_xor_b32_e32 v9, 2, v133
	v_xor_b32_e32 v34, 8, v133
	s_wait_kmcnt 0x0
	s_lshl_b32 s30, s34, 7
	s_cmp_lt_i32 s33, s24
	v_add_nc_u64_e32 v[52:53], s[38:39], v[40:41]
	s_cselect_b32 s27, -1, 0
	s_or_b32 s31, s33, 1
	s_and_b32 s27, s45, s27
	s_cmp_lt_i32 s31, s24
	s_mul_u64 s[40:41], s[40:41], s[50:51]
	v_ashrrev_i32_e32 v11, 31, v10
	v_cmp_gt_i32_e32 vcc_lo, 32, v9
	v_add_nc_u32_e32 v42, s44, v10
	s_cselect_b32 s50, -1, 0
	s_ashr_i32 s37, s36, 31
	s_add_nc_u64 s[52:53], s[6:7], s[38:39]
	v_cndmask_b32_e32 v9, v133, v9, vcc_lo
	v_cmp_gt_i32_e32 vcc_lo, 32, v32
	v_ashrrev_i32_e32 v43, 31, v42
	s_lshl_b32 s54, s49, 1
	s_mov_b32 s55, s5
	v_add_nc_u64_e32 v[12:13], s[8:9], v[12:13]
	v_cndmask_b32_e32 v32, v133, v32, vcc_lo
	v_cmp_gt_i32_e32 vcc_lo, 32, v34
	v_xor_b32_e32 v35, 16, v133
	v_add_nc_u64_e32 v[46:47], v[40:41], v[42:43]
	s_delay_alu instid0(VALU_DEP_4) | instskip(SKIP_1) | instid1(VALU_DEP_4)
	v_dual_lshlrev_b32 v135, 2, v9 :: v_dual_lshlrev_b32 v136, 2, v32
	v_cndmask_b32_e32 v34, v133, v34, vcc_lo
	v_cmp_gt_i32_e32 vcc_lo, 32, v35
	v_mov_b32_e32 v9, v15
	v_dual_add_f32 v32, v7, v7 :: v_dual_lshlrev_b32 v139, 1, v33
	v_add_nc_u64_e32 v[40:41], s[52:53], v[46:47]
	v_cndmask_b32_e32 v35, v133, v35, vcc_lo
	v_add_nc_u64_e32 v[46:47], v[52:53], v[10:11]
	v_add_nc_u64_e32 v[52:53], s[36:37], v[8:9]
	v_lshlrev_b32_e32 v8, 1, v8
	s_add_nc_u64 s[52:53], s[52:53], s[46:47]
	s_add_nc_u64 s[36:37], s[40:41], s[54:55]
	v_add_nc_u64_e32 v[42:43], s[52:53], v[42:43]
	s_add_nc_u64 s[52:53], s[10:11], s[54:55]
	s_add_nc_u64 s[10:11], s[10:11], s[36:37]
	;; [unrolled: 1-line block ×3, first 2 shown]
	v_add_nc_u64_e32 v[8:9], s[10:11], v[8:9]
	v_lshl_add_u64 v[52:53], v[52:53], 1, s[36:37]
	v_lshl_add_u64 v[44:45], v[44:45], 1, s[36:37]
	s_add_nc_u64 s[36:37], s[46:47], s[38:39]
	v_add_nc_u64_e32 v[46:47], s[6:7], v[46:47]
	s_add_nc_u64 s[10:11], s[8:9], s[42:43]
	s_add_nc_u64 s[6:7], s[6:7], s[36:37]
	v_add_nc_u64_e32 v[94:95], s[10:11], v[48:49]
	v_add_nc_u64_e32 v[48:49], 2, v[8:9]
	;; [unrolled: 1-line block ×11, first 2 shown]
	v_dual_lshlrev_b32 v137, 2, v34 :: v_dual_lshlrev_b32 v138, 2, v35
	v_add_nc_u64_e32 v[62:63], 6, v[10:11]
	v_add_nc_u64_e32 v[10:11], s[10:11], v[66:67]
	;; [unrolled: 1-line block ×6, first 2 shown]
	v_dual_add_f32 v34, v5, v5 :: v_dual_mov_b32 v33, v32
	v_add_nc_u64_e32 v[74:75], 6, v[10:11]
	v_add_nc_u64_e32 v[10:11], s[10:11], v[78:79]
	;; [unrolled: 1-line block ×6, first 2 shown]
	v_dual_add_f32 v36, v3, v3 :: v_dual_mov_b32 v5, v4
	v_add_nc_u64_e32 v[86:87], 6, v[10:11]
	v_add_nc_u64_e32 v[10:11], s[10:11], v[90:91]
	;; [unrolled: 1-line block ×3, first 2 shown]
	v_dual_mov_b32 v35, v34 :: v_dual_add_f32 v38, v1, v1
	v_add_nc_u64_e32 v[94:95], 6, v[8:9]
	v_add_nc_u64_e32 v[8:9], s[10:11], v[98:99]
	v_dual_mov_b32 v118, v15 :: v_dual_bitop2_b32 v141, 28, v129 bitop3:0x40
	v_add_nc_u64_e32 v[98:99], 6, v[10:11]
	v_add_nc_u64_e32 v[10:11], s[10:11], v[106:107]
	;; [unrolled: 1-line block ×9, first 2 shown]
	ds_load_b128 v[8:11], v131
	v_add_nc_u64_e32 v[72:73], s[10:11], v[72:73]
	v_add_nc_u64_e32 v[76:77], s[10:11], v[76:77]
	;; [unrolled: 1-line block ×13, first 2 shown]
	v_dual_mov_b32 v7, v6 :: v_dual_mov_b32 v3, v2
	v_dual_mov_b32 v37, v36 :: v_dual_mov_b32 v1, v0
	;; [unrolled: 1-line block ×3, first 2 shown]
	v_dual_mov_b32 v13, v15 :: v_dual_bitop2_b32 v142, 8, v14 bitop3:0x54
	v_or_b32_e32 v143, 16, v14
	v_or_b32_e32 v144, 24, v14
	v_and_b32_e32 v145, 4, v126
	v_or_b32_e32 v146, 1, v141
	v_or_b32_e32 v147, 2, v141
	v_or_b32_e32 v148, 3, v141
	v_mov_b32_e32 v149, 0xfeffffff
	v_mov_b32_e32 v119, 0xfeffffff
	s_mov_b32 s31, s5
	s_mul_i32 s4, s22, s49
	s_mul_i32 s20, s44, s49
	s_mov_b32 s21, s5
	s_mul_i32 s34, s30, s44
	s_mov_b32 s35, s5
	;; [unrolled: 2-line block ×3, first 2 shown]
	s_and_b32 s8, s45, s50
	s_lshl_b64 s[6:7], s[30:31], 1
.LBB9_27:                               ; =>This Inner Loop Header: Depth=1
	v_add_nc_u64_e32 v[154:155], s[20:21], v[46:47]
	v_add_nc_u64_e32 v[122:123], s[20:21], v[52:53]
	s_and_b32 vcc_lo, exec_lo, s27
	global_load_b32 v15, v[154:155], off offset:6
	global_load_b32 v124, v[122:123], off offset:2
	s_wait_loadcnt 0x1
	v_and_b32_e32 v125, 0xf0f0f0f, v15
	s_wait_loadcnt 0x0
	v_dual_ashrrev_i32 v120, v14, v124 :: v_dual_lshrrev_b32 v15, 4, v15
	s_delay_alu instid0(VALU_DEP_1) | instskip(NEXT) | instid1(VALU_DEP_1)
	v_lshlrev_b32_e32 v121, 4, v120
	v_dual_lshlrev_b32 v150, 11, v120 :: v_dual_bitop2_b32 v121, 16, v121 bitop3:0x40
	v_dual_lshlrev_b32 v151, 18, v120 :: v_dual_lshlrev_b32 v120, 25, v120
	s_delay_alu instid0(VALU_DEP_2) | instskip(NEXT) | instid1(VALU_DEP_2)
	v_and_b32_e32 v150, 0x1000, v150
	v_and_b32_e32 v151, 0x100000, v151
	s_delay_alu instid0(VALU_DEP_3) | instskip(NEXT) | instid1(VALU_DEP_1)
	v_and_b32_e32 v120, 0x10000000, v120
	v_or3_b32 v120, v120, v125, v151
	global_load_b32 v151, v[154:155], off offset:14
	v_ashrrev_i32_e32 v125, v142, v124
	v_or3_b32 v121, v120, v121, v150
	global_load_u16 v120, v[122:123], off
	v_lshlrev_b32_e32 v150, 4, v125
	s_delay_alu instid0(VALU_DEP_1) | instskip(SKIP_1) | instid1(VALU_DEP_2)
	v_dual_lshlrev_b32 v153, 11, v125 :: v_dual_bitop2_b32 v150, 16, v150 bitop3:0x40
	v_dual_lshlrev_b32 v156, 18, v125 :: v_dual_lshlrev_b32 v125, 25, v125
	v_and_b32_e32 v153, 0x1000, v153
	s_delay_alu instid0(VALU_DEP_2) | instskip(NEXT) | instid1(VALU_DEP_3)
	v_and_b32_e32 v156, 0x100000, v156
	v_and_b32_e32 v125, 0x10000000, v125
	s_delay_alu instid0(VALU_DEP_1) | instskip(SKIP_2) | instid1(VALU_DEP_2)
	v_or3_b32 v125, v156, v125, v150
	v_ashrrev_i32_e32 v150, v143, v124
	v_and_b32_e32 v15, 0xf0f0f0f, v15
	v_dual_ashrrev_i32 v124, v144, v124 :: v_dual_lshlrev_b32 v156, 18, v150
	s_delay_alu instid0(VALU_DEP_1) | instskip(SKIP_2) | instid1(VALU_DEP_1)
	v_and_b32_e32 v156, 0x100000, v156
	s_wait_loadcnt 0x1
	v_and_b32_e32 v152, 0xf0f0f0f, v151
	v_or3_b32 v125, v125, v153, v152
	v_dual_lshlrev_b32 v152, 4, v150 :: v_dual_lshlrev_b32 v153, 11, v150
	v_lshlrev_b32_e32 v150, 25, v150
	s_wait_loadcnt 0x0
	v_cvt_f32_f16_e32 v120, v120
	s_delay_alu instid0(VALU_DEP_3) | instskip(SKIP_2) | instid1(VALU_DEP_1)
	v_and_b32_e32 v152, 16, v152
	v_and_b32_e32 v153, 0x1000, v153
	;; [unrolled: 1-line block ×3, first 2 shown]
	v_or3_b32 v15, v150, v15, v156
	s_delay_alu instid0(VALU_DEP_1) | instskip(SKIP_1) | instid1(VALU_DEP_1)
	v_or3_b32 v150, v15, v152, v153
	v_dual_lshrrev_b32 v15, 4, v151 :: v_dual_lshlrev_b32 v151, 4, v124
	v_and_b32_e32 v15, 0xf0f0f0f, v15
	s_delay_alu instid0(VALU_DEP_2) | instskip(SKIP_1) | instid1(VALU_DEP_2)
	v_dual_lshlrev_b32 v152, 11, v124 :: v_dual_bitop2_b32 v151, 16, v151 bitop3:0x40
	v_dual_lshlrev_b32 v153, 18, v124 :: v_dual_lshlrev_b32 v124, 25, v124
	v_and_b32_e32 v152, 0x1000, v152
	s_delay_alu instid0(VALU_DEP_2) | instskip(NEXT) | instid1(VALU_DEP_3)
	v_and_b32_e32 v153, 0x100000, v153
	v_and_b32_e32 v124, 0x10000000, v124
	s_delay_alu instid0(VALU_DEP_1) | instskip(NEXT) | instid1(VALU_DEP_1)
	v_or3_b32 v124, v153, v124, v151
	v_or3_b32 v151, v124, v152, v15
	global_load_b32 v15, v[154:155], off offset:28
	s_clause 0x1
	global_load_b32 v156, v[122:123], off offset:24
	global_load_u16 v122, v[122:123], off offset:22
	s_wait_loadcnt 0x2
	v_and_b32_e32 v153, 0xf0f0f0f, v15
	s_wait_loadcnt 0x1
	s_wait_xcnt 0x0
	v_ashrrev_i32_e32 v123, v142, v156
	v_dual_ashrrev_i32 v124, v14, v156 :: v_dual_lshrrev_b32 v15, 4, v15
	s_delay_alu instid0(VALU_DEP_1) | instskip(SKIP_1) | instid1(VALU_DEP_2)
	v_dual_lshlrev_b32 v152, 4, v124 :: v_dual_lshlrev_b32 v157, 11, v124
	v_dual_lshlrev_b32 v158, 18, v124 :: v_dual_lshlrev_b32 v124, 25, v124
	v_and_b32_e32 v157, 0x1000, v157
	s_delay_alu instid0(VALU_DEP_2) | instskip(NEXT) | instid1(VALU_DEP_3)
	v_and_b32_e32 v158, 0x100000, v158
	v_and_b32_e32 v124, 0x10000000, v124
	s_delay_alu instid0(VALU_DEP_1) | instskip(SKIP_1) | instid1(VALU_DEP_1)
	v_or3_b32 v124, v124, v153, v158
	v_lshlrev_b32_e32 v153, 4, v123
	v_and_b32_e32 v153, 16, v153
	v_and_b32_e32 v152, 16, v152
	s_delay_alu instid0(VALU_DEP_1)
	v_or3_b32 v152, v124, v152, v157
	s_wait_loadcnt 0x0
	v_cvt_f32_f16_e32 v124, v122
	global_load_b32 v122, v[154:155], off offset:36
	s_wait_xcnt 0x0
	v_dual_lshlrev_b32 v155, 11, v123 :: v_dual_lshlrev_b32 v157, 18, v123
	v_lshlrev_b32_e32 v123, 25, v123
	s_delay_alu instid0(VALU_DEP_2) | instskip(NEXT) | instid1(VALU_DEP_3)
	v_and_b32_e32 v155, 0x1000, v155
	v_and_b32_e32 v157, 0x100000, v157
	s_delay_alu instid0(VALU_DEP_3) | instskip(NEXT) | instid1(VALU_DEP_1)
	v_and_b32_e32 v123, 0x10000000, v123
	v_or3_b32 v123, v157, v123, v153
	s_wait_loadcnt 0x0
	v_and_b32_e32 v154, 0xf0f0f0f, v122
	s_delay_alu instid0(VALU_DEP_1) | instskip(SKIP_2) | instid1(VALU_DEP_2)
	v_or3_b32 v153, v123, v155, v154
	v_ashrrev_i32_e32 v123, v143, v156
	v_and_b32_e32 v15, 0xf0f0f0f, v15
	v_dual_lshlrev_b32 v154, 4, v123 :: v_dual_lshlrev_b32 v155, 11, v123
	v_dual_lshlrev_b32 v157, 18, v123 :: v_dual_lshlrev_b32 v123, 25, v123
	s_delay_alu instid0(VALU_DEP_2) | instskip(NEXT) | instid1(VALU_DEP_3)
	v_and_b32_e32 v154, 16, v154
	v_and_b32_e32 v155, 0x1000, v155
	s_delay_alu instid0(VALU_DEP_3) | instskip(NEXT) | instid1(VALU_DEP_4)
	v_and_b32_e32 v157, 0x100000, v157
	v_and_b32_e32 v123, 0x10000000, v123
	s_delay_alu instid0(VALU_DEP_1) | instskip(NEXT) | instid1(VALU_DEP_1)
	v_or3_b32 v15, v123, v15, v157
	v_or3_b32 v154, v15, v154, v155
	v_dual_lshrrev_b32 v15, 4, v122 :: v_dual_ashrrev_i32 v122, v144, v156
	s_delay_alu instid0(VALU_DEP_1) | instskip(NEXT) | instid1(VALU_DEP_2)
	v_and_b32_e32 v15, 0xf0f0f0f, v15
	v_lshlrev_b32_e32 v123, 4, v122
	s_delay_alu instid0(VALU_DEP_1) | instskip(SKIP_1) | instid1(VALU_DEP_2)
	v_dual_lshlrev_b32 v155, 11, v122 :: v_dual_bitop2_b32 v123, 16, v123 bitop3:0x40
	v_dual_lshlrev_b32 v156, 18, v122 :: v_dual_lshlrev_b32 v122, 25, v122
	v_and_b32_e32 v155, 0x1000, v155
	s_delay_alu instid0(VALU_DEP_2) | instskip(NEXT) | instid1(VALU_DEP_3)
	v_and_b32_e32 v156, 0x100000, v156
	v_and_b32_e32 v122, 0x10000000, v122
	s_delay_alu instid0(VALU_DEP_1) | instskip(NEXT) | instid1(VALU_DEP_1)
	v_or3_b32 v122, v156, v122, v123
	v_or3_b32 v155, v122, v155, v15
	v_dot4_i32_iu8 v15, v121, v16, 0 neg_lo:[1,1,0]
	v_dot4_i32_iu8 v122, v125, v17, 0 neg_lo:[1,1,0]
	s_delay_alu instid0(VALU_DEP_1) | instskip(NEXT) | instid1(VALU_DEP_3)
	v_cvt_f32_i32_e32 v123, v122
	v_cvt_f32_i32_e32 v122, v15
	s_delay_alu instid0(VALU_DEP_1) | instskip(NEXT) | instid1(VALU_DEP_1)
	v_pk_fma_f32 v[122:123], v[0:1], v[122:123], v[38:39] neg_lo:[0,0,1] neg_hi:[0,0,1]
	v_pk_mul_f32 v[122:123], v[122:123], v[120:121] op_sel_hi:[1,0]
	s_delay_alu instid0(VALU_DEP_1) | instskip(SKIP_1) | instid1(VALU_DEP_2)
	v_add_f32_e32 v15, 0, v122
	v_dot4_i32_iu8 v122, v150, v18, 0 neg_lo:[1,1,0]
	v_add_f32_e32 v15, v15, v123
	v_dot4_i32_iu8 v123, v151, v19, 0 neg_lo:[1,1,0]
	s_delay_alu instid0(VALU_DEP_3) | instskip(NEXT) | instid1(VALU_DEP_2)
	v_cvt_f32_i32_e32 v122, v122
	v_cvt_f32_i32_e32 v123, v123
	s_delay_alu instid0(VALU_DEP_1) | instskip(NEXT) | instid1(VALU_DEP_1)
	v_pk_fma_f32 v[122:123], v[0:1], v[122:123], v[38:39] neg_lo:[0,0,1] neg_hi:[0,0,1]
	v_pk_mul_f32 v[122:123], v[122:123], v[120:121] op_sel_hi:[1,0]
	s_delay_alu instid0(VALU_DEP_1) | instskip(SKIP_1) | instid1(VALU_DEP_2)
	v_add_f32_e32 v15, v122, v15
	v_dot4_i32_iu8 v122, v152, v20, 0 neg_lo:[1,1,0]
	v_add_f32_e32 v15, v15, v123
	v_dot4_i32_iu8 v123, v153, v21, 0 neg_lo:[1,1,0]
	s_delay_alu instid0(VALU_DEP_3) | instskip(NEXT) | instid1(VALU_DEP_2)
	;; [unrolled: 11-line block ×3, first 2 shown]
	v_cvt_f32_i32_e32 v122, v122
	v_cvt_f32_i32_e32 v123, v123
	s_delay_alu instid0(VALU_DEP_1) | instskip(NEXT) | instid1(VALU_DEP_1)
	v_pk_fma_f32 v[122:123], v[2:3], v[122:123], v[36:37] neg_lo:[0,0,1] neg_hi:[0,0,1]
	v_pk_mul_f32 v[122:123], v[122:123], v[124:125] op_sel_hi:[1,0]
	s_delay_alu instid0(VALU_DEP_1) | instskip(NEXT) | instid1(VALU_DEP_1)
	v_add_f32_e32 v15, v122, v15
	v_add_f32_e32 v15, v15, v123
	ds_bpermute_b32 v122, v134, v15
	s_wait_dscnt 0x0
	v_add_f32_e32 v15, v15, v122
	v_add_nc_u64_e32 v[122:123], s[14:15], v[48:49]
	s_cbranch_vccz .LBB9_29
; %bb.28:                               ;   in Loop: Header=BB9_27 Depth=1
	global_load_u16 v156, v[122:123], off offset:-2
	s_wait_loadcnt 0x0
	v_fma_mix_f32 v15, v132, v156, v15 op_sel_hi:[0,1,0]
.LBB9_29:                               ;   in Loop: Header=BB9_27 Depth=1
	v_dot4_i32_iu8 v125, v125, v25, 0 neg_lo:[1,1,0]
	v_dot4_i32_iu8 v121, v121, v24, 0 neg_lo:[1,1,0]
	;; [unrolled: 1-line block ×3, first 2 shown]
	s_and_not1_b32 vcc_lo, exec_lo, s8
	s_delay_alu instid0(VALU_DEP_3) | instskip(NEXT) | instid1(VALU_DEP_3)
	v_cvt_f32_i32_e32 v157, v125
	v_cvt_f32_i32_e32 v156, v121
	v_mov_b32_e32 v121, v120
	v_dot4_i32_iu8 v125, v151, v27, 0 neg_lo:[1,1,0]
	s_delay_alu instid0(VALU_DEP_3) | instskip(SKIP_1) | instid1(VALU_DEP_3)
	v_pk_fma_f32 v[150:151], v[4:5], v[156:157], v[34:35] neg_lo:[0,0,1] neg_hi:[0,0,1]
	v_cvt_f32_i32_e32 v156, v158
	v_cvt_f32_i32_e32 v157, v125
	v_dot4_i32_iu8 v125, v153, v29, 0 neg_lo:[1,1,0]
	v_dot4_i32_iu8 v158, v152, v28, 0 neg_lo:[1,1,0]
	v_pk_mul_f32 v[150:151], v[150:151], v[120:121]
	s_delay_alu instid0(VALU_DEP_4) | instskip(NEXT) | instid1(VALU_DEP_4)
	v_pk_fma_f32 v[152:153], v[4:5], v[156:157], v[34:35] neg_lo:[0,0,1] neg_hi:[0,0,1]
	v_cvt_f32_i32_e32 v157, v125
	s_delay_alu instid0(VALU_DEP_4) | instskip(NEXT) | instid1(VALU_DEP_4)
	v_cvt_f32_i32_e32 v156, v158
	v_dual_add_f32 v150, 0, v150 :: v_dual_mov_b32 v125, v124
	s_delay_alu instid0(VALU_DEP_4) | instskip(SKIP_1) | instid1(VALU_DEP_3)
	v_pk_mul_f32 v[120:121], v[152:153], v[120:121]
	v_dot4_i32_iu8 v153, v155, v31, 0 neg_lo:[1,1,0]
	v_add_f32_e32 v152, v150, v151
	v_pk_fma_f32 v[150:151], v[6:7], v[156:157], v[32:33] neg_lo:[0,0,1] neg_hi:[0,0,1]
	s_delay_alu instid0(VALU_DEP_3) | instskip(NEXT) | instid1(VALU_DEP_2)
	v_cvt_f32_i32_e32 v153, v153
	v_pk_mul_f32 v[150:151], v[150:151], v[124:125]
	s_delay_alu instid0(VALU_DEP_4) | instskip(SKIP_1) | instid1(VALU_DEP_2)
	v_add_f32_e32 v120, v120, v152
	v_dot4_i32_iu8 v152, v154, v30, 0 neg_lo:[1,1,0]
	v_add_f32_e32 v120, v120, v121
	s_delay_alu instid0(VALU_DEP_2) | instskip(NEXT) | instid1(VALU_DEP_2)
	v_cvt_f32_i32_e32 v152, v152
	v_add_f32_e32 v150, v120, v150
	s_delay_alu instid0(VALU_DEP_2) | instskip(NEXT) | instid1(VALU_DEP_2)
	v_pk_fma_f32 v[120:121], v[6:7], v[152:153], v[32:33] neg_lo:[0,0,1] neg_hi:[0,0,1]
	v_add_f32_e32 v150, v150, v151
	s_delay_alu instid0(VALU_DEP_2) | instskip(NEXT) | instid1(VALU_DEP_1)
	v_pk_mul_f32 v[120:121], v[120:121], v[124:125]
	v_add_f32_e32 v120, v120, v150
	s_delay_alu instid0(VALU_DEP_1)
	v_add_f32_e32 v120, v120, v121
	ds_bpermute_b32 v121, v134, v120
	s_wait_dscnt 0x0
	v_add_f32_e32 v150, v120, v121
	s_cbranch_vccnz .LBB9_31
; %bb.30:                               ;   in Loop: Header=BB9_27 Depth=1
	v_add_nc_u64_e32 v[120:121], s[14:15], v[44:45]
	global_load_u16 v120, v[120:121], off
	s_wait_loadcnt 0x0
	v_fma_mix_f32 v150, v132, v120, v150 op_sel_hi:[0,1,0]
.LBB9_31:                               ;   in Loop: Header=BB9_27 Depth=1
	v_add_nc_u64_e32 v[120:121], s[20:21], v[42:43]
	v_add_nc_u64_e32 v[124:125], s[20:21], v[40:41]
	s_and_not1_b32 vcc_lo, exec_lo, s27
	global_load_b32 v151, v[120:121], off offset:2
	global_load_b32 v152, v[124:125], off offset:6
	global_load_u16 v153, v[120:121], off
	global_load_b32 v154, v[124:125], off offset:14
	global_load_b32 v155, v[120:121], off offset:24
	s_clause 0x1
	global_load_b32 v156, v[124:125], off offset:28
	global_load_b32 v157, v[124:125], off offset:36
	global_load_u16 v162, v[120:121], off offset:22
	s_wait_loadcnt 0x7
	s_wait_xcnt 0x0
	v_ashrrev_i32_e32 v121, v14, v151
	v_dual_ashrrev_i32 v125, v142, v151 :: v_dual_ashrrev_i32 v158, v143, v151
	s_wait_loadcnt 0x6
	v_and_b32_e32 v124, 0xf0f0f0f, v152
	s_delay_alu instid0(VALU_DEP_3)
	v_dual_lshrrev_b32 v152, 4, v152 :: v_dual_lshlrev_b32 v165, 4, v121
	v_dual_lshlrev_b32 v166, 11, v121 :: v_dual_lshlrev_b32 v167, 18, v121
	v_lshlrev_b32_e32 v121, 25, v121
	v_dual_lshlrev_b32 v168, 4, v125 :: v_dual_lshlrev_b32 v169, 11, v125
	v_dual_lshlrev_b32 v170, 18, v125 :: v_dual_lshlrev_b32 v125, 25, v125
	s_wait_loadcnt 0x5
	v_cvt_f32_f16_e64 v120, v153
	s_wait_loadcnt 0x4
	v_and_b32_e32 v153, 0xf0f0f0f, v154
	v_dual_lshrrev_b32 v154, 4, v154 :: v_dual_ashrrev_i32 v151, v144, v151
	v_and_b32_e32 v167, 0x100000, v167
	v_and_b32_e32 v121, 0x10000000, v121
	v_and_b32_e32 v168, 16, v168
	v_and_b32_e32 v170, 0x100000, v170
	v_and_b32_e32 v125, 0x10000000, v125
	s_wait_loadcnt 0x3
	v_ashrrev_i32_e32 v159, v14, v155
	v_dual_ashrrev_i32 v161, v142, v155 :: v_dual_ashrrev_i32 v164, v143, v155
	s_wait_loadcnt 0x1
	v_and_b32_e32 v163, 0xf0f0f0f, v157
	v_dual_lshrrev_b32 v157, 4, v157 :: v_dual_ashrrev_i32 v155, v144, v155
	v_dual_lshlrev_b32 v171, 4, v158 :: v_dual_lshlrev_b32 v172, 11, v158
	v_dual_lshlrev_b32 v173, 18, v158 :: v_dual_lshlrev_b32 v158, 25, v158
	;; [unrolled: 1-line block ×4, first 2 shown]
	v_and_b32_e32 v165, 16, v165
	v_and_b32_e32 v166, 0x1000, v166
	;; [unrolled: 1-line block ×3, first 2 shown]
	v_or3_b32 v125, v170, v125, v168
	v_or3_b32 v121, v121, v124, v167
	v_and_b32_e32 v152, 0xf0f0f0f, v152
	v_lshlrev_b32_e32 v186, 4, v155
	v_and_b32_e32 v187, 0xf0f0f0f, v157
	v_dual_lshlrev_b32 v157, 11, v155 :: v_dual_lshlrev_b32 v188, 18, v155
	v_lshlrev_b32_e32 v155, 25, v155
	v_and_b32_e32 v173, 0x100000, v173
	v_and_b32_e32 v158, 0x10000000, v158
	;; [unrolled: 1-line block ×5, first 2 shown]
	v_or3_b32 v151, v125, v169, v153
	v_or3_b32 v121, v121, v165, v166
	v_and_b32_e32 v160, 0xf0f0f0f, v156
	v_lshrrev_b32_e32 v156, 4, v156
	v_and_b32_e32 v154, 0xf0f0f0f, v154
	v_dual_lshlrev_b32 v177, 4, v159 :: v_dual_lshlrev_b32 v178, 11, v159
	v_dual_lshlrev_b32 v179, 18, v159 :: v_dual_lshlrev_b32 v159, 25, v159
	;; [unrolled: 1-line block ×6, first 2 shown]
	v_and_b32_e32 v171, 16, v171
	v_and_b32_e32 v172, 0x1000, v172
	;; [unrolled: 1-line block ×5, first 2 shown]
	v_or3_b32 v125, v158, v152, v173
	v_or3_b32 v152, v176, v189, v174
	v_dot4_i32_iu8 v155, v151, v17, 0 neg_lo:[1,1,0]
	v_dot4_i32_iu8 v157, v121, v16, 0 neg_lo:[1,1,0]
	v_and_b32_e32 v156, 0xf0f0f0f, v156
	v_and_b32_e32 v179, 0x100000, v179
	;; [unrolled: 1-line block ×8, first 2 shown]
	v_or3_b32 v125, v125, v171, v172
	v_or3_b32 v152, v152, v175, v154
	v_cvt_f32_i32_e32 v155, v155
	v_cvt_f32_i32_e32 v154, v157
	v_and_b32_e32 v177, 16, v177
	v_and_b32_e32 v178, 0x1000, v178
	;; [unrolled: 1-line block ×3, first 2 shown]
	v_or3_b32 v158, v159, v160, v179
	v_or3_b32 v159, v182, v161, v180
	;; [unrolled: 1-line block ×3, first 2 shown]
	v_dot4_i32_iu8 v160, v152, v19, 0 neg_lo:[1,1,0]
	v_dot4_i32_iu8 v161, v125, v18, 0 neg_lo:[1,1,0]
	v_pk_fma_f32 v[156:157], v[0:1], v[154:155], v[38:39] neg_lo:[0,0,1] neg_hi:[0,0,1]
	v_and_b32_e32 v124, 16, v186
	v_and_b32_e32 v168, 0x100000, v188
	v_or3_b32 v154, v158, v177, v178
	v_or3_b32 v155, v159, v181, v163
	v_cvt_f32_i32_e32 v159, v160
	v_cvt_f32_i32_e32 v158, v161
	v_pk_mul_f32 v[156:157], v[156:157], v[120:121] op_sel_hi:[1,0]
	v_or3_b32 v124, v168, v153, v124
	v_dot4_i32_iu8 v153, v155, v21, 0 neg_lo:[1,1,0]
	v_dot4_i32_iu8 v160, v154, v20, 0 neg_lo:[1,1,0]
	v_pk_fma_f32 v[158:159], v[0:1], v[158:159], v[38:39] neg_lo:[0,0,1] neg_hi:[0,0,1]
	v_add_f32_e32 v163, 0, v156
	v_or3_b32 v156, v124, v167, v187
	v_cvt_f32_i32_e32 v161, v153
	v_cvt_f32_i32_e32 v160, v160
	v_pk_mul_f32 v[158:159], v[158:159], v[120:121] op_sel_hi:[1,0]
	v_add_f32_e32 v153, v163, v157
	s_wait_loadcnt 0x0
	v_cvt_f32_f16_e64 v124, v162
	v_and_b32_e32 v184, 0x1000, v184
	v_pk_fma_f32 v[160:161], v[2:3], v[160:161], v[36:37] neg_lo:[0,0,1] neg_hi:[0,0,1]
	v_dot4_i32_iu8 v162, v156, v23, 0 neg_lo:[1,1,0]
	v_add_f32_e32 v153, v158, v153
	s_delay_alu instid0(VALU_DEP_3) | instskip(NEXT) | instid1(VALU_DEP_3)
	v_pk_mul_f32 v[160:161], v[160:161], v[124:125] op_sel_hi:[1,0]
	v_cvt_f32_i32_e32 v163, v162
	s_delay_alu instid0(VALU_DEP_3) | instskip(NEXT) | instid1(VALU_DEP_1)
	v_add_f32_e32 v153, v153, v159
	v_add_f32_e32 v153, v153, v160
	s_delay_alu instid0(VALU_DEP_1) | instskip(NEXT) | instid1(VALU_DEP_1)
	v_dual_add_f32 v153, v153, v161 :: v_dual_bitop2_b32 v183, 16, v183 bitop3:0x40
	v_or3_b32 v157, v164, v183, v184
	s_delay_alu instid0(VALU_DEP_1) | instskip(NEXT) | instid1(VALU_DEP_1)
	v_dot4_i32_iu8 v158, v157, v22, 0 neg_lo:[1,1,0]
	v_cvt_f32_i32_e32 v162, v158
	s_delay_alu instid0(VALU_DEP_1) | instskip(NEXT) | instid1(VALU_DEP_1)
	v_pk_fma_f32 v[158:159], v[2:3], v[162:163], v[36:37] neg_lo:[0,0,1] neg_hi:[0,0,1]
	v_pk_mul_f32 v[158:159], v[158:159], v[124:125] op_sel_hi:[1,0]
	s_delay_alu instid0(VALU_DEP_1) | instskip(NEXT) | instid1(VALU_DEP_1)
	v_add_f32_e32 v153, v158, v153
	v_add_f32_e32 v153, v153, v159
	ds_bpermute_b32 v158, v134, v153
	s_wait_dscnt 0x0
	v_add_f32_e32 v153, v153, v158
	s_cbranch_vccnz .LBB9_33
; %bb.32:                               ;   in Loop: Header=BB9_27 Depth=1
	global_load_u16 v122, v[122:123], off
	s_wait_loadcnt 0x0
	v_fma_mix_f32 v153, v132, v122, v153 op_sel_hi:[0,1,0]
.LBB9_33:                               ;   in Loop: Header=BB9_27 Depth=1
	v_dot4_i32_iu8 v122, v151, v25, 0 neg_lo:[1,1,0]
	v_dot4_i32_iu8 v121, v121, v24, 0 neg_lo:[1,1,0]
	;; [unrolled: 1-line block ×5, first 2 shown]
	v_cvt_f32_i32_e32 v123, v122
	v_cvt_f32_i32_e32 v122, v121
	v_mov_b32_e32 v121, v120
	v_cvt_f32_i32_e32 v159, v151
	v_cvt_f32_i32_e32 v158, v125
	v_dot4_i32_iu8 v125, v155, v29, 0 neg_lo:[1,1,0]
	v_pk_fma_f32 v[122:123], v[4:5], v[122:123], v[34:35] neg_lo:[0,0,1] neg_hi:[0,0,1]
	v_dot4_i32_iu8 v151, v154, v28, 0 neg_lo:[1,1,0]
	s_and_not1_b32 vcc_lo, exec_lo, s8
	v_pk_fma_f32 v[154:155], v[4:5], v[158:159], v[34:35] neg_lo:[0,0,1] neg_hi:[0,0,1]
	v_cvt_f32_i32_e32 v159, v125
	v_pk_mul_f32 v[122:123], v[122:123], v[120:121]
	v_cvt_f32_i32_e32 v158, v151
	s_delay_alu instid0(VALU_DEP_2) | instskip(SKIP_2) | instid1(VALU_DEP_3)
	v_dual_mov_b32 v125, v124 :: v_dual_add_f32 v122, 0, v122
	v_pk_mul_f32 v[120:121], v[154:155], v[120:121]
	v_cvt_f32_i32_e32 v155, v152
	v_add_f32_e32 v151, v122, v123
	v_pk_fma_f32 v[122:123], v[6:7], v[158:159], v[32:33] neg_lo:[0,0,1] neg_hi:[0,0,1]
	s_delay_alu instid0(VALU_DEP_2) | instskip(SKIP_1) | instid1(VALU_DEP_3)
	v_add_f32_e32 v120, v120, v151
	v_dot4_i32_iu8 v151, v157, v30, 0 neg_lo:[1,1,0]
	v_pk_mul_f32 v[122:123], v[122:123], v[124:125]
	s_delay_alu instid0(VALU_DEP_3) | instskip(NEXT) | instid1(VALU_DEP_3)
	v_add_f32_e32 v120, v120, v121
	v_cvt_f32_i32_e32 v154, v151
	s_delay_alu instid0(VALU_DEP_2) | instskip(NEXT) | instid1(VALU_DEP_2)
	v_add_f32_e32 v122, v120, v122
	v_pk_fma_f32 v[120:121], v[6:7], v[154:155], v[32:33] neg_lo:[0,0,1] neg_hi:[0,0,1]
	s_delay_alu instid0(VALU_DEP_2) | instskip(NEXT) | instid1(VALU_DEP_2)
	v_add_f32_e32 v122, v122, v123
	v_pk_mul_f32 v[120:121], v[120:121], v[124:125]
	s_delay_alu instid0(VALU_DEP_1) | instskip(NEXT) | instid1(VALU_DEP_1)
	v_add_f32_e32 v120, v120, v122
	v_add_f32_e32 v120, v120, v121
	ds_bpermute_b32 v121, v134, v120
	s_wait_dscnt 0x0
	v_add_f32_e32 v120, v120, v121
	s_cbranch_vccnz .LBB9_35
; %bb.34:                               ;   in Loop: Header=BB9_27 Depth=1
	v_add_nc_u64_e32 v[122:123], s[14:15], v[50:51]
	global_load_u16 v121, v[122:123], off
	s_wait_loadcnt 0x0
	v_fma_mix_f32 v120, v132, v121, v120 op_sel_hi:[0,1,0]
.LBB9_35:                               ;   in Loop: Header=BB9_27 Depth=1
	s_delay_alu instid0(VALU_DEP_1)
	v_dual_cndmask_b32 v118, v118, v15, s1 :: v_dual_cndmask_b32 v124, v120, v150, s1
	v_dual_add_f32 v15, 0x40051340, v15 :: v_dual_add_f32 v122, 0x40051340, v120
	v_add_f32_e32 v121, 0x40051340, v153
	v_add_nc_u64_e32 v[40:41], s[34:35], v[40:41]
	v_add_nc_u64_e32 v[42:43], s[34:35], v[42:43]
	;; [unrolled: 1-line block ×4, first 2 shown]
	v_max3_num_f32 v15, v149, v15, v121
	v_add_nc_u64_e32 v[48:49], s[6:7], v[48:49]
	v_add_nc_u64_e32 v[50:51], s[6:7], v[50:51]
	v_add_nc_u64_e32 v[52:53], s[34:35], v[52:53]
	s_add_co_i32 s49, s49, s30
	ds_bpermute_b32 v120, v135, v15
	s_cmp_ge_i32 s49, s29
	s_wait_dscnt 0x0
	v_dual_max_num_f32 v120, v120, v120 :: v_dual_cndmask_b32 v118, v153, v118, s1
	s_delay_alu instid0(VALU_DEP_1) | instskip(SKIP_3) | instid1(VALU_DEP_1)
	v_max_num_f32_e32 v15, v15, v120
	ds_bpermute_b32 v120, v136, v15
	s_wait_dscnt 0x0
	v_dual_add_f32 v121, 0x40051340, v150 :: v_dual_max_num_f32 v120, v120, v120
	v_max3_num_f32 v121, v119, v121, v122
	s_delay_alu instid0(VALU_DEP_2) | instskip(SKIP_3) | instid1(VALU_DEP_1)
	v_max_num_f32_e32 v15, v15, v120
	ds_bpermute_b32 v120, v137, v15
	s_wait_dscnt 0x0
	v_max_num_f32_e32 v120, v120, v120
	v_max_num_f32_e32 v15, v15, v120
	ds_bpermute_b32 v120, v138, v15
	s_wait_dscnt 0x0
	v_max_num_f32_e32 v120, v120, v120
	s_delay_alu instid0(VALU_DEP_1) | instskip(NEXT) | instid1(VALU_DEP_1)
	v_max_num_f32_e32 v120, v15, v120
	v_sub_f32_e32 v15, v149, v120
	s_delay_alu instid0(VALU_DEP_1) | instskip(NEXT) | instid1(VALU_DEP_1)
	v_mul_f32_e32 v122, 0x3fb8aa3b, v15
	v_fma_f32 v123, 0x3fb8aa3b, v15, -v122
	v_rndne_f32_e32 v125, v122
	s_delay_alu instid0(VALU_DEP_1) | instskip(SKIP_1) | instid1(VALU_DEP_2)
	v_dual_sub_f32 v122, v122, v125 :: v_dual_fmac_f32 v123, 0x32a5705f, v15
	v_cmp_ngt_f32_e32 vcc_lo, 0xc2ce8ed0, v15
	v_add_f32_e32 v122, v122, v123
	v_cvt_i32_f32_e32 v123, v125
	s_delay_alu instid0(VALU_DEP_2) | instskip(SKIP_1) | instid1(TRANS32_DEP_1)
	v_exp_f32_e32 v122, v122
	v_nop
	v_ldexp_f32 v122, v122, v123
	s_delay_alu instid0(VALU_DEP_1) | instskip(SKIP_2) | instid1(VALU_DEP_1)
	v_cndmask_b32_e32 v122, 0, v122, vcc_lo
	v_cmp_nlt_f32_e32 vcc_lo, 0x42b17218, v15
	v_sub_f32_e32 v15, v118, v120
	v_mul_f32_e32 v118, 0x3fb8aa3b, v15
	s_delay_alu instid0(VALU_DEP_1) | instskip(SKIP_1) | instid1(VALU_DEP_1)
	v_fma_f32 v123, 0x3fb8aa3b, v15, -v118
	v_rndne_f32_e32 v125, v118
	v_dual_fmac_f32 v123, 0x32a5705f, v15 :: v_dual_sub_f32 v118, v118, v125
	v_cndmask_b32_e32 v122, 0x7f800000, v122, vcc_lo
	v_cmp_ngt_f32_e32 vcc_lo, 0xc2ce8ed0, v15
	s_delay_alu instid0(VALU_DEP_3) | instskip(SKIP_1) | instid1(VALU_DEP_2)
	v_add_f32_e32 v118, v118, v123
	v_cvt_i32_f32_e32 v123, v125
	v_exp_f32_e32 v118, v118
	v_nop
	s_delay_alu instid0(TRANS32_DEP_1) | instskip(NEXT) | instid1(VALU_DEP_1)
	v_ldexp_f32 v118, v118, v123
	v_cndmask_b32_e32 v118, 0, v118, vcc_lo
	v_cmp_nlt_f32_e32 vcc_lo, 0x42b17218, v15
	s_delay_alu instid0(VALU_DEP_2) | instskip(NEXT) | instid1(VALU_DEP_1)
	v_cndmask_b32_e32 v118, 0x7f800000, v118, vcc_lo
	v_cvt_f16_f32_e32 v15, v118
	ds_store_b16 v130, v15
	v_cvt_f16_f32_e32 v15, v122
	s_delay_alu instid0(VALU_DEP_1) | instskip(NEXT) | instid1(VALU_DEP_1)
	v_and_b32_e32 v15, 0xffff, v15
	v_mul_u32_u24_e32 v15, 0x10001, v15
	s_delay_alu instid0(VALU_DEP_1) | instskip(SKIP_4) | instid1(VALU_DEP_1)
	v_pk_mul_f16 v125, v8, v15
	ds_bpermute_b32 v8, v135, v121
	v_pk_mul_f16 v15, v9, v15
	s_wait_dscnt 0x0
	v_max_num_f32_e32 v8, v8, v8
	v_max_num_f32_e32 v8, v121, v8
	ds_bpermute_b32 v9, v136, v8
	s_wait_dscnt 0x0
	v_max_num_f32_e32 v9, v9, v9
	s_delay_alu instid0(VALU_DEP_1) | instskip(SKIP_3) | instid1(VALU_DEP_1)
	v_max_num_f32_e32 v8, v8, v9
	ds_bpermute_b32 v9, v137, v8
	s_wait_dscnt 0x0
	v_max_num_f32_e32 v9, v9, v9
	v_max_num_f32_e32 v8, v8, v9
	ds_bpermute_b32 v9, v138, v8
	s_wait_dscnt 0x0
	v_max_num_f32_e32 v9, v9, v9
	s_delay_alu instid0(VALU_DEP_1) | instskip(NEXT) | instid1(VALU_DEP_1)
	v_max_num_f32_e32 v121, v8, v9
	v_sub_f32_e32 v8, v119, v121
	s_delay_alu instid0(VALU_DEP_1) | instskip(SKIP_1) | instid1(VALU_DEP_2)
	v_mul_f32_e32 v9, 0x3fb8aa3b, v8
	v_cmp_ngt_f32_e32 vcc_lo, 0xc2ce8ed0, v8
	v_fma_f32 v119, 0x3fb8aa3b, v8, -v9
	v_rndne_f32_e32 v123, v9
	s_delay_alu instid0(VALU_DEP_2) | instskip(NEXT) | instid1(VALU_DEP_2)
	v_fmac_f32_e32 v119, 0x32a5705f, v8
	v_sub_f32_e32 v9, v9, v123
	s_delay_alu instid0(VALU_DEP_1) | instskip(SKIP_1) | instid1(VALU_DEP_2)
	v_add_f32_e32 v9, v9, v119
	v_cvt_i32_f32_e32 v119, v123
	v_exp_f32_e32 v9, v9
	v_nop
	s_delay_alu instid0(TRANS32_DEP_1) | instskip(NEXT) | instid1(VALU_DEP_1)
	v_ldexp_f32 v9, v9, v119
	v_cndmask_b32_e32 v9, 0, v9, vcc_lo
	v_cmp_nlt_f32_e32 vcc_lo, 0x42b17218, v8
	v_sub_f32_e32 v8, v124, v121
	s_delay_alu instid0(VALU_DEP_3) | instskip(NEXT) | instid1(VALU_DEP_2)
	v_cndmask_b32_e32 v123, 0x7f800000, v9, vcc_lo
	v_mul_f32_e32 v9, 0x3fb8aa3b, v8
	v_cmp_ngt_f32_e32 vcc_lo, 0xc2ce8ed0, v8
	s_delay_alu instid0(VALU_DEP_2) | instskip(SKIP_1) | instid1(VALU_DEP_2)
	v_fma_f32 v119, 0x3fb8aa3b, v8, -v9
	v_rndne_f32_e32 v124, v9
	v_fmac_f32_e32 v119, 0x32a5705f, v8
	s_delay_alu instid0(VALU_DEP_2) | instskip(NEXT) | instid1(VALU_DEP_1)
	v_sub_f32_e32 v9, v9, v124
	v_add_f32_e32 v9, v9, v119
	v_cvt_i32_f32_e32 v119, v124
	s_delay_alu instid0(VALU_DEP_2) | instskip(SKIP_1) | instid1(TRANS32_DEP_1)
	v_exp_f32_e32 v9, v9
	v_nop
	v_ldexp_f32 v9, v9, v119
	s_delay_alu instid0(VALU_DEP_1) | instskip(SKIP_1) | instid1(VALU_DEP_2)
	v_cndmask_b32_e32 v9, 0, v9, vcc_lo
	v_cmp_nlt_f32_e32 vcc_lo, 0x42b17218, v8
	v_cndmask_b32_e32 v119, 0x7f800000, v9, vcc_lo
	s_delay_alu instid0(VALU_DEP_1) | instskip(SKIP_3) | instid1(VALU_DEP_1)
	v_cvt_f16_f32_e32 v8, v119
	v_pk_fma_f32 v[12:13], v[12:13], v[122:123], v[118:119]
	ds_store_b16 v130, v8 offset:256
	v_cvt_f16_f32_e32 v8, v123
	v_and_b32_e32 v8, 0xffff, v8
	s_delay_alu instid0(VALU_DEP_1) | instskip(NEXT) | instid1(VALU_DEP_1)
	v_mul_u32_u24_e32 v8, 0x10001, v8
	v_pk_mul_f16 v119, v10, v8
	v_pk_mul_f16 v122, v11, v8
	ds_load_u16 v8, v139
	ds_load_u16 v123, v139 offset:16
	ds_load_u16 v124, v139 offset:32
	;; [unrolled: 1-line block ×3, first 2 shown]
	v_add_nc_u64_e32 v[10:11], s[4:5], v[114:115]
	v_add_nc_u64_e32 v[114:115], s[22:23], v[114:115]
	global_load_b32 v10, v[10:11], off
	s_wait_dscnt 0x3
	v_mul_u32_u24_e32 v150, 0x10001, v8
	ds_load_u16 v8, v139 offset:256
	s_wait_dscnt 0x3
	v_mul_u32_u24_e32 v123, 0x10001, v123
	s_wait_dscnt 0x0
	v_mul_u32_u24_e32 v151, 0x10001, v8
	v_add_nc_u64_e32 v[8:9], s[4:5], v[116:117]
	v_add_nc_u64_e32 v[116:117], s[22:23], v[116:117]
	s_clause 0x1
	global_load_b32 v11, v[8:9], off offset:2
	global_load_u16 v8, v[8:9], off
	s_wait_loadcnt 0x2
	v_ashrrev_i32_e32 v10, v145, v10
	s_delay_alu instid0(VALU_DEP_1) | instskip(SKIP_4) | instid1(VALU_DEP_2)
	v_and_b32_e32 v10, 0xf0f0f0f, v10
	s_wait_loadcnt 0x1
	v_dual_lshrrev_b32 v152, v141, v11 :: v_dual_lshrrev_b32 v153, v146, v11
	s_wait_loadcnt 0x0
	v_mul_u32_u24_e32 v8, 0x10001, v8
	v_dual_lshlrev_b32 v152, 4, v152 :: v_dual_lshlrev_b32 v153, 12, v153
	s_delay_alu instid0(VALU_DEP_1) | instskip(NEXT) | instid1(VALU_DEP_2)
	v_and_b32_e32 v152, 16, v152
	v_and_b32_e32 v153, 0x1000, v153
	s_delay_alu instid0(VALU_DEP_1) | instskip(SKIP_1) | instid1(VALU_DEP_1)
	v_or3_b32 v152, v152, v10, v153
	v_dual_lshrrev_b32 v153, v147, v11 :: v_dual_lshrrev_b32 v11, v148, v11
	v_dual_lshlrev_b32 v153, 20, v153 :: v_dual_lshlrev_b32 v11, 28, v11
	s_delay_alu instid0(VALU_DEP_1) | instskip(NEXT) | instid1(VALU_DEP_2)
	v_and_b32_e32 v153, 0x100000, v153
	v_and_b32_e32 v11, 0x10000000, v11
	s_delay_alu instid0(VALU_DEP_1) | instskip(SKIP_1) | instid1(VALU_DEP_2)
	v_or3_b32 v10, v10, v153, v11
	v_lshlrev_b16 v11, 8, v152
	v_lshrrev_b32_e32 v10, 16, v10
	s_delay_alu instid0(VALU_DEP_2) | instskip(NEXT) | instid1(VALU_DEP_1)
	v_add_nc_u16 v11, 0xf000, v11
	v_lshrrev_b16 v11, 8, v11
	s_delay_alu instid0(VALU_DEP_1) | instskip(NEXT) | instid1(VALU_DEP_4)
	v_bitop3_b16 v11, v152, v11, 0x1f00 bitop3:0xec
	v_lshlrev_b16 v152, 8, v10
	v_and_b32_e32 v10, 0x1f00, v10
	s_delay_alu instid0(VALU_DEP_3) | instskip(NEXT) | instid1(VALU_DEP_3)
	v_add_nc_u16 v11, 0xf000, v11
	v_add_nc_u16 v152, 0xf000, v152
	s_delay_alu instid0(VALU_DEP_3) | instskip(NEXT) | instid1(VALU_DEP_3)
	v_add_nc_u16 v10, 0xf000, v10
	v_lshrrev_b32_e32 v9, 8, v11
	v_bfe_i32 v11, v11, 0, 8
	s_delay_alu instid0(VALU_DEP_3) | instskip(NEXT) | instid1(VALU_DEP_3)
	v_lshrrev_b32_e32 v10, 8, v10
	v_bfe_i32 v9, v9, 0, 8
	s_delay_alu instid0(VALU_DEP_3) | instskip(NEXT) | instid1(VALU_DEP_3)
	v_cvt_f16_i16_e32 v11, v11
	v_bfe_i32 v10, v10, 0, 8
	s_delay_alu instid0(VALU_DEP_3) | instskip(NEXT) | instid1(VALU_DEP_2)
	v_cvt_f16_i16_e32 v9, v9
	v_cvt_f16_i16_e32 v10, v10
	s_delay_alu instid0(VALU_DEP_2) | instskip(SKIP_1) | instid1(VALU_DEP_2)
	v_pack_b32_f16 v9, v11, v9
	v_ashrrev_i16 v11, 8, v152
	v_pk_mul_f16 v9, v9, v8
	s_delay_alu instid0(VALU_DEP_2) | instskip(NEXT) | instid1(VALU_DEP_2)
	v_cvt_f16_i16_e32 v11, v11
	v_pk_fma_f16 v125, v9, v150, v125
	s_delay_alu instid0(VALU_DEP_2) | instskip(SKIP_1) | instid1(VALU_DEP_2)
	v_pack_b32_f16 v10, v11, v10
	v_pk_fma_f16 v119, v9, v151, v119
	v_pk_mul_f16 v8, v10, v8
	v_add_nc_u64_e32 v[10:11], s[4:5], v[110:111]
	v_add_nc_u64_e32 v[110:111], s[22:23], v[110:111]
	s_delay_alu instid0(VALU_DEP_3)
	v_pk_fma_f16 v15, v8, v150, v15
	v_pk_fma_f16 v122, v8, v151, v122
	ds_load_u16 v8, v140 offset:4
	ds_load_u16 v150, v140 offset:8
	;; [unrolled: 1-line block ×12, first 2 shown]
	global_load_b32 v10, v[10:11], off
	s_wait_dscnt 0xb
	v_mul_u32_u24_e32 v161, 0x10001, v8
	ds_load_u16 v8, v140 offset:260
	s_wait_dscnt 0xb
	v_mul_u32_u24_e32 v150, 0x10001, v150
	s_wait_dscnt 0x0
	v_mul_u32_u24_e32 v162, 0x10001, v8
	v_add_nc_u64_e32 v[8:9], s[4:5], v[112:113]
	v_add_nc_u64_e32 v[112:113], s[22:23], v[112:113]
	s_clause 0x1
	global_load_b32 v11, v[8:9], off offset:2
	global_load_u16 v8, v[8:9], off
	s_wait_loadcnt 0x2
	v_ashrrev_i32_e32 v10, v145, v10
	s_delay_alu instid0(VALU_DEP_1) | instskip(SKIP_4) | instid1(VALU_DEP_2)
	v_and_b32_e32 v10, 0xf0f0f0f, v10
	s_wait_loadcnt 0x1
	v_dual_lshrrev_b32 v163, v141, v11 :: v_dual_lshrrev_b32 v164, v146, v11
	s_wait_loadcnt 0x0
	v_mul_u32_u24_e32 v8, 0x10001, v8
	v_dual_lshlrev_b32 v163, 4, v163 :: v_dual_lshlrev_b32 v164, 12, v164
	s_delay_alu instid0(VALU_DEP_1) | instskip(NEXT) | instid1(VALU_DEP_2)
	v_and_b32_e32 v163, 16, v163
	v_and_b32_e32 v164, 0x1000, v164
	s_delay_alu instid0(VALU_DEP_1) | instskip(SKIP_1) | instid1(VALU_DEP_1)
	v_or3_b32 v163, v163, v10, v164
	v_dual_lshrrev_b32 v164, v147, v11 :: v_dual_lshrrev_b32 v11, v148, v11
	v_dual_lshlrev_b32 v11, 28, v11 :: v_dual_lshlrev_b32 v164, 20, v164
	s_delay_alu instid0(VALU_DEP_1) | instskip(NEXT) | instid1(VALU_DEP_2)
	v_and_b32_e32 v11, 0x10000000, v11
	v_and_b32_e32 v164, 0x100000, v164
	s_delay_alu instid0(VALU_DEP_1) | instskip(SKIP_1) | instid1(VALU_DEP_1)
	v_or3_b32 v10, v10, v164, v11
	v_lshlrev_b16 v11, 8, v163
	v_add_nc_u16 v11, 0xf000, v11
	s_delay_alu instid0(VALU_DEP_1) | instskip(NEXT) | instid1(VALU_DEP_1)
	v_lshrrev_b16 v11, 8, v11
	v_bitop3_b16 v11, v163, v11, 0x1f00 bitop3:0xec
	s_delay_alu instid0(VALU_DEP_1) | instskip(NEXT) | instid1(VALU_DEP_1)
	v_add_nc_u16 v11, 0xf000, v11
	v_dual_lshrrev_b32 v10, 16, v10 :: v_dual_lshrrev_b32 v9, 8, v11
	s_delay_alu instid0(VALU_DEP_1) | instskip(SKIP_2) | instid1(VALU_DEP_4)
	v_lshlrev_b16 v163, 8, v10
	v_and_b32_e32 v10, 0x1f00, v10
	v_bfe_i32 v11, v11, 0, 8
	v_bfe_i32 v9, v9, 0, 8
	s_delay_alu instid0(VALU_DEP_4) | instskip(NEXT) | instid1(VALU_DEP_4)
	v_add_nc_u16 v163, 0xf000, v163
	v_add_nc_u16 v10, 0xf000, v10
	s_delay_alu instid0(VALU_DEP_4) | instskip(NEXT) | instid1(VALU_DEP_4)
	v_cvt_f16_i16_e32 v11, v11
	v_cvt_f16_i16_e32 v9, v9
	s_delay_alu instid0(VALU_DEP_3) | instskip(NEXT) | instid1(VALU_DEP_2)
	v_lshrrev_b32_e32 v10, 8, v10
	v_pack_b32_f16 v9, v11, v9
	v_ashrrev_i16 v11, 8, v163
	s_delay_alu instid0(VALU_DEP_3) | instskip(NEXT) | instid1(VALU_DEP_3)
	v_bfe_i32 v10, v10, 0, 8
	v_pk_mul_f16 v9, v9, v8
	s_delay_alu instid0(VALU_DEP_3) | instskip(NEXT) | instid1(VALU_DEP_3)
	v_cvt_f16_i16_e32 v11, v11
	v_cvt_f16_i16_e32 v10, v10
	s_delay_alu instid0(VALU_DEP_3) | instskip(SKIP_1) | instid1(VALU_DEP_3)
	v_pk_fma_f16 v125, v9, v161, v125
	v_pk_fma_f16 v119, v9, v162, v119
	v_pack_b32_f16 v10, v11, v10
	s_delay_alu instid0(VALU_DEP_1) | instskip(SKIP_2) | instid1(VALU_DEP_3)
	v_pk_mul_f16 v8, v10, v8
	v_add_nc_u64_e32 v[10:11], s[4:5], v[106:107]
	v_add_nc_u64_e32 v[106:107], s[22:23], v[106:107]
	v_pk_fma_f16 v15, v8, v161, v15
	v_pk_fma_f16 v122, v8, v162, v122
	ds_load_u16 v8, v140 offset:264
	global_load_b32 v10, v[10:11], off
	s_wait_dscnt 0x0
	v_mul_u32_u24_e32 v161, 0x10001, v8
	v_add_nc_u64_e32 v[8:9], s[4:5], v[108:109]
	v_add_nc_u64_e32 v[108:109], s[22:23], v[108:109]
	s_clause 0x1
	global_load_b32 v11, v[8:9], off offset:2
	global_load_u16 v8, v[8:9], off
	s_wait_loadcnt 0x1
	v_dual_ashrrev_i32 v10, v145, v10 :: v_dual_lshrrev_b32 v163, v146, v11
	v_lshrrev_b32_e32 v162, v141, v11
	s_delay_alu instid0(VALU_DEP_2) | instskip(SKIP_2) | instid1(VALU_DEP_3)
	v_and_b32_e32 v10, 0xf0f0f0f, v10
	s_wait_loadcnt 0x0
	v_mul_u32_u24_e32 v8, 0x10001, v8
	v_dual_lshlrev_b32 v163, 12, v163 :: v_dual_lshlrev_b32 v162, 4, v162
	s_delay_alu instid0(VALU_DEP_1) | instskip(NEXT) | instid1(VALU_DEP_2)
	v_and_b32_e32 v163, 0x1000, v163
	v_and_b32_e32 v162, 16, v162
	s_delay_alu instid0(VALU_DEP_1) | instskip(SKIP_1) | instid1(VALU_DEP_1)
	v_or3_b32 v162, v162, v10, v163
	v_dual_lshrrev_b32 v163, v147, v11 :: v_dual_lshrrev_b32 v11, v148, v11
	v_lshlrev_b32_e32 v163, 20, v163
	s_delay_alu instid0(VALU_DEP_2) | instskip(NEXT) | instid1(VALU_DEP_2)
	v_lshlrev_b32_e32 v11, 28, v11
	v_and_b32_e32 v163, 0x100000, v163
	s_delay_alu instid0(VALU_DEP_2) | instskip(NEXT) | instid1(VALU_DEP_1)
	v_and_b32_e32 v11, 0x10000000, v11
	v_or3_b32 v10, v10, v163, v11
	v_lshlrev_b16 v11, 8, v162
	s_delay_alu instid0(VALU_DEP_2) | instskip(NEXT) | instid1(VALU_DEP_2)
	v_lshrrev_b32_e32 v10, 16, v10
	v_add_nc_u16 v11, 0xf000, v11
	s_delay_alu instid0(VALU_DEP_1) | instskip(NEXT) | instid1(VALU_DEP_1)
	v_lshrrev_b16 v11, 8, v11
	v_bitop3_b16 v11, v162, v11, 0x1f00 bitop3:0xec
	s_delay_alu instid0(VALU_DEP_4) | instskip(SKIP_1) | instid1(VALU_DEP_3)
	v_lshlrev_b16 v162, 8, v10
	v_and_b32_e32 v10, 0x1f00, v10
	v_add_nc_u16 v11, 0xf000, v11
	s_delay_alu instid0(VALU_DEP_3) | instskip(NEXT) | instid1(VALU_DEP_3)
	v_add_nc_u16 v162, 0xf000, v162
	v_add_nc_u16 v10, 0xf000, v10
	s_delay_alu instid0(VALU_DEP_3) | instskip(SKIP_1) | instid1(VALU_DEP_3)
	v_lshrrev_b32_e32 v9, 8, v11
	v_bfe_i32 v11, v11, 0, 8
	v_lshrrev_b32_e32 v10, 8, v10
	s_delay_alu instid0(VALU_DEP_3) | instskip(NEXT) | instid1(VALU_DEP_3)
	v_bfe_i32 v9, v9, 0, 8
	v_cvt_f16_i16_e32 v11, v11
	s_delay_alu instid0(VALU_DEP_3) | instskip(NEXT) | instid1(VALU_DEP_3)
	v_bfe_i32 v10, v10, 0, 8
	v_cvt_f16_i16_e32 v9, v9
	s_delay_alu instid0(VALU_DEP_2) | instskip(NEXT) | instid1(VALU_DEP_2)
	v_cvt_f16_i16_e32 v10, v10
	v_pack_b32_f16 v9, v11, v9
	v_ashrrev_i16 v11, 8, v162
	s_delay_alu instid0(VALU_DEP_2) | instskip(NEXT) | instid1(VALU_DEP_2)
	v_pk_mul_f16 v9, v9, v8
	v_cvt_f16_i16_e32 v11, v11
	s_delay_alu instid0(VALU_DEP_2) | instskip(NEXT) | instid1(VALU_DEP_2)
	v_pk_fma_f16 v125, v9, v150, v125
	v_pack_b32_f16 v10, v11, v10
	v_pk_fma_f16 v119, v9, v161, v119
	s_delay_alu instid0(VALU_DEP_2) | instskip(SKIP_2) | instid1(VALU_DEP_3)
	v_pk_mul_f16 v8, v10, v8
	v_add_nc_u64_e32 v[10:11], s[4:5], v[102:103]
	v_add_nc_u64_e32 v[102:103], s[22:23], v[102:103]
	v_pk_fma_f16 v15, v8, v150, v15
	v_pk_fma_f16 v122, v8, v161, v122
	ds_load_u16 v8, v140 offset:268
	v_mul_u32_u24_e32 v150, 0x10001, v151
	global_load_b32 v10, v[10:11], off
	s_wait_dscnt 0x0
	v_mul_u32_u24_e32 v151, 0x10001, v8
	v_add_nc_u64_e32 v[8:9], s[4:5], v[104:105]
	v_add_nc_u64_e32 v[104:105], s[22:23], v[104:105]
	s_clause 0x1
	global_load_b32 v11, v[8:9], off offset:2
	global_load_u16 v8, v[8:9], off
	s_wait_loadcnt 0x2
	v_ashrrev_i32_e32 v10, v145, v10
	s_delay_alu instid0(VALU_DEP_1) | instskip(SKIP_4) | instid1(VALU_DEP_2)
	v_and_b32_e32 v10, 0xf0f0f0f, v10
	s_wait_loadcnt 0x1
	v_dual_lshrrev_b32 v161, v141, v11 :: v_dual_lshrrev_b32 v162, v146, v11
	s_wait_loadcnt 0x0
	v_mul_u32_u24_e32 v8, 0x10001, v8
	v_dual_lshlrev_b32 v161, 4, v161 :: v_dual_lshlrev_b32 v162, 12, v162
	s_delay_alu instid0(VALU_DEP_1) | instskip(NEXT) | instid1(VALU_DEP_2)
	v_and_b32_e32 v161, 16, v161
	v_and_b32_e32 v162, 0x1000, v162
	s_delay_alu instid0(VALU_DEP_1) | instskip(SKIP_1) | instid1(VALU_DEP_1)
	v_or3_b32 v161, v161, v10, v162
	v_dual_lshrrev_b32 v162, v147, v11 :: v_dual_lshrrev_b32 v11, v148, v11
	v_dual_lshlrev_b32 v162, 20, v162 :: v_dual_lshlrev_b32 v11, 28, v11
	s_delay_alu instid0(VALU_DEP_1) | instskip(NEXT) | instid1(VALU_DEP_2)
	v_and_b32_e32 v162, 0x100000, v162
	v_and_b32_e32 v11, 0x10000000, v11
	s_delay_alu instid0(VALU_DEP_1) | instskip(SKIP_1) | instid1(VALU_DEP_1)
	v_or3_b32 v10, v10, v162, v11
	v_lshlrev_b16 v11, 8, v161
	v_add_nc_u16 v11, 0xf000, v11
	s_delay_alu instid0(VALU_DEP_1) | instskip(NEXT) | instid1(VALU_DEP_1)
	v_lshrrev_b16 v11, 8, v11
	v_bitop3_b16 v11, v161, v11, 0x1f00 bitop3:0xec
	s_delay_alu instid0(VALU_DEP_1) | instskip(NEXT) | instid1(VALU_DEP_1)
	v_add_nc_u16 v11, 0xf000, v11
	v_dual_lshrrev_b32 v10, 16, v10 :: v_dual_lshrrev_b32 v9, 8, v11
	s_delay_alu instid0(VALU_DEP_1) | instskip(SKIP_2) | instid1(VALU_DEP_4)
	v_lshlrev_b16 v161, 8, v10
	v_and_b32_e32 v10, 0x1f00, v10
	v_bfe_i32 v11, v11, 0, 8
	v_bfe_i32 v9, v9, 0, 8
	s_delay_alu instid0(VALU_DEP_4) | instskip(NEXT) | instid1(VALU_DEP_4)
	v_add_nc_u16 v161, 0xf000, v161
	v_add_nc_u16 v10, 0xf000, v10
	s_delay_alu instid0(VALU_DEP_4) | instskip(NEXT) | instid1(VALU_DEP_4)
	v_cvt_f16_i16_e32 v11, v11
	v_cvt_f16_i16_e32 v9, v9
	s_delay_alu instid0(VALU_DEP_3) | instskip(NEXT) | instid1(VALU_DEP_2)
	v_lshrrev_b32_e32 v10, 8, v10
	v_pack_b32_f16 v9, v11, v9
	v_ashrrev_i16 v11, 8, v161
	s_delay_alu instid0(VALU_DEP_3) | instskip(NEXT) | instid1(VALU_DEP_3)
	v_bfe_i32 v10, v10, 0, 8
	v_pk_mul_f16 v9, v9, v8
	s_delay_alu instid0(VALU_DEP_3) | instskip(NEXT) | instid1(VALU_DEP_3)
	v_cvt_f16_i16_e32 v11, v11
	v_cvt_f16_i16_e32 v10, v10
	s_delay_alu instid0(VALU_DEP_3) | instskip(SKIP_1) | instid1(VALU_DEP_3)
	v_pk_fma_f16 v125, v9, v150, v125
	v_pk_fma_f16 v119, v9, v151, v119
	v_pack_b32_f16 v10, v11, v10
	s_delay_alu instid0(VALU_DEP_1) | instskip(SKIP_2) | instid1(VALU_DEP_3)
	v_pk_mul_f16 v8, v10, v8
	v_add_nc_u64_e32 v[10:11], s[4:5], v[98:99]
	v_add_nc_u64_e32 v[98:99], s[22:23], v[98:99]
	v_pk_fma_f16 v15, v8, v150, v15
	v_pk_fma_f16 v122, v8, v151, v122
	ds_load_u16 v8, v139 offset:272
	global_load_b32 v10, v[10:11], off
	s_wait_dscnt 0x0
	v_mul_u32_u24_e32 v150, 0x10001, v8
	v_add_nc_u64_e32 v[8:9], s[4:5], v[100:101]
	v_add_nc_u64_e32 v[100:101], s[22:23], v[100:101]
	s_clause 0x1
	global_load_b32 v11, v[8:9], off offset:2
	global_load_u16 v8, v[8:9], off
	s_wait_loadcnt 0x1
	v_lshrrev_b32_e32 v151, v141, v11
	v_dual_ashrrev_i32 v10, v145, v10 :: v_dual_lshrrev_b32 v161, v146, v11
	s_wait_loadcnt 0x0
	v_mul_u32_u24_e32 v8, 0x10001, v8
	s_delay_alu instid0(VALU_DEP_3) | instskip(NEXT) | instid1(VALU_DEP_3)
	v_lshlrev_b32_e32 v151, 4, v151
	v_and_b32_e32 v10, 0xf0f0f0f, v10
	s_delay_alu instid0(VALU_DEP_2) | instskip(NEXT) | instid1(VALU_DEP_1)
	v_dual_lshlrev_b32 v161, 12, v161 :: v_dual_bitop2_b32 v151, 16, v151 bitop3:0x40
	v_and_b32_e32 v161, 0x1000, v161
	s_delay_alu instid0(VALU_DEP_1) | instskip(SKIP_1) | instid1(VALU_DEP_1)
	v_or3_b32 v151, v151, v10, v161
	v_dual_lshrrev_b32 v161, v147, v11 :: v_dual_lshrrev_b32 v11, v148, v11
	v_dual_lshlrev_b32 v11, 28, v11 :: v_dual_lshlrev_b32 v161, 20, v161
	s_delay_alu instid0(VALU_DEP_1) | instskip(NEXT) | instid1(VALU_DEP_2)
	v_and_b32_e32 v11, 0x10000000, v11
	v_and_b32_e32 v161, 0x100000, v161
	s_delay_alu instid0(VALU_DEP_1) | instskip(SKIP_1) | instid1(VALU_DEP_2)
	v_or3_b32 v10, v10, v161, v11
	v_lshlrev_b16 v11, 8, v151
	v_lshrrev_b32_e32 v10, 16, v10
	s_delay_alu instid0(VALU_DEP_2) | instskip(NEXT) | instid1(VALU_DEP_1)
	v_add_nc_u16 v11, 0xf000, v11
	v_lshrrev_b16 v11, 8, v11
	s_delay_alu instid0(VALU_DEP_1) | instskip(NEXT) | instid1(VALU_DEP_4)
	v_bitop3_b16 v11, v151, v11, 0x1f00 bitop3:0xec
	v_lshlrev_b16 v151, 8, v10
	v_and_b32_e32 v10, 0x1f00, v10
	s_delay_alu instid0(VALU_DEP_3) | instskip(NEXT) | instid1(VALU_DEP_3)
	v_add_nc_u16 v11, 0xf000, v11
	v_add_nc_u16 v151, 0xf000, v151
	s_delay_alu instid0(VALU_DEP_3) | instskip(NEXT) | instid1(VALU_DEP_3)
	v_add_nc_u16 v10, 0xf000, v10
	v_lshrrev_b32_e32 v9, 8, v11
	v_bfe_i32 v11, v11, 0, 8
	s_delay_alu instid0(VALU_DEP_3) | instskip(NEXT) | instid1(VALU_DEP_3)
	v_lshrrev_b32_e32 v10, 8, v10
	v_bfe_i32 v9, v9, 0, 8
	s_delay_alu instid0(VALU_DEP_3) | instskip(NEXT) | instid1(VALU_DEP_3)
	v_cvt_f16_i16_e32 v11, v11
	v_bfe_i32 v10, v10, 0, 8
	s_delay_alu instid0(VALU_DEP_3) | instskip(NEXT) | instid1(VALU_DEP_2)
	v_cvt_f16_i16_e32 v9, v9
	v_cvt_f16_i16_e32 v10, v10
	s_delay_alu instid0(VALU_DEP_2) | instskip(SKIP_1) | instid1(VALU_DEP_2)
	v_pack_b32_f16 v9, v11, v9
	v_ashrrev_i16 v11, 8, v151
	v_pk_mul_f16 v9, v9, v8
	s_delay_alu instid0(VALU_DEP_2) | instskip(NEXT) | instid1(VALU_DEP_2)
	v_cvt_f16_i16_e32 v11, v11
	v_pk_fma_f16 v125, v9, v123, v125
	s_delay_alu instid0(VALU_DEP_2) | instskip(SKIP_1) | instid1(VALU_DEP_2)
	v_pack_b32_f16 v10, v11, v10
	v_pk_fma_f16 v119, v9, v150, v119
	v_pk_mul_f16 v8, v10, v8
	v_add_nc_u64_e32 v[10:11], s[4:5], v[94:95]
	v_add_nc_u64_e32 v[94:95], s[22:23], v[94:95]
	s_delay_alu instid0(VALU_DEP_3)
	v_pk_fma_f16 v15, v8, v123, v15
	v_pk_fma_f16 v122, v8, v150, v122
	ds_load_u16 v8, v140 offset:276
	global_load_b32 v10, v[10:11], off
	v_mul_u32_u24_e32 v123, 0x10001, v152
	s_wait_dscnt 0x0
	v_mul_u32_u24_e32 v150, 0x10001, v8
	v_add_nc_u64_e32 v[8:9], s[4:5], v[96:97]
	v_add_nc_u64_e32 v[96:97], s[22:23], v[96:97]
	s_clause 0x1
	global_load_b32 v11, v[8:9], off offset:2
	global_load_u16 v8, v[8:9], off
	s_wait_loadcnt 0x1
	v_dual_lshrrev_b32 v151, v141, v11 :: v_dual_lshrrev_b32 v152, v146, v11
	v_ashrrev_i32_e32 v10, v145, v10
	s_wait_loadcnt 0x0
	v_mul_u32_u24_e32 v8, 0x10001, v8
	s_delay_alu instid0(VALU_DEP_3) | instskip(NEXT) | instid1(VALU_DEP_3)
	v_dual_lshlrev_b32 v151, 4, v151 :: v_dual_lshlrev_b32 v152, 12, v152
	v_and_b32_e32 v10, 0xf0f0f0f, v10
	s_delay_alu instid0(VALU_DEP_2) | instskip(NEXT) | instid1(VALU_DEP_3)
	v_and_b32_e32 v151, 16, v151
	v_and_b32_e32 v152, 0x1000, v152
	s_delay_alu instid0(VALU_DEP_1) | instskip(SKIP_1) | instid1(VALU_DEP_1)
	v_or3_b32 v151, v151, v10, v152
	v_dual_lshrrev_b32 v152, v147, v11 :: v_dual_lshrrev_b32 v11, v148, v11
	v_dual_lshlrev_b32 v152, 20, v152 :: v_dual_lshlrev_b32 v11, 28, v11
	s_delay_alu instid0(VALU_DEP_1) | instskip(NEXT) | instid1(VALU_DEP_2)
	v_and_b32_e32 v152, 0x100000, v152
	v_and_b32_e32 v11, 0x10000000, v11
	s_delay_alu instid0(VALU_DEP_1) | instskip(SKIP_1) | instid1(VALU_DEP_1)
	v_or3_b32 v10, v10, v152, v11
	v_lshlrev_b16 v11, 8, v151
	v_add_nc_u16 v11, 0xf000, v11
	s_delay_alu instid0(VALU_DEP_1) | instskip(NEXT) | instid1(VALU_DEP_1)
	v_lshrrev_b16 v11, 8, v11
	v_bitop3_b16 v11, v151, v11, 0x1f00 bitop3:0xec
	s_delay_alu instid0(VALU_DEP_1) | instskip(NEXT) | instid1(VALU_DEP_1)
	v_add_nc_u16 v11, 0xf000, v11
	v_dual_lshrrev_b32 v10, 16, v10 :: v_dual_lshrrev_b32 v9, 8, v11
	s_delay_alu instid0(VALU_DEP_1) | instskip(SKIP_2) | instid1(VALU_DEP_4)
	v_lshlrev_b16 v151, 8, v10
	v_and_b32_e32 v10, 0x1f00, v10
	v_bfe_i32 v11, v11, 0, 8
	v_bfe_i32 v9, v9, 0, 8
	s_delay_alu instid0(VALU_DEP_4) | instskip(NEXT) | instid1(VALU_DEP_4)
	v_add_nc_u16 v151, 0xf000, v151
	v_add_nc_u16 v10, 0xf000, v10
	s_delay_alu instid0(VALU_DEP_4) | instskip(NEXT) | instid1(VALU_DEP_4)
	v_cvt_f16_i16_e32 v11, v11
	v_cvt_f16_i16_e32 v9, v9
	s_delay_alu instid0(VALU_DEP_3) | instskip(NEXT) | instid1(VALU_DEP_2)
	v_lshrrev_b32_e32 v10, 8, v10
	v_pack_b32_f16 v9, v11, v9
	v_ashrrev_i16 v11, 8, v151
	s_delay_alu instid0(VALU_DEP_3) | instskip(NEXT) | instid1(VALU_DEP_3)
	v_bfe_i32 v10, v10, 0, 8
	v_pk_mul_f16 v9, v9, v8
	s_delay_alu instid0(VALU_DEP_3) | instskip(NEXT) | instid1(VALU_DEP_3)
	v_cvt_f16_i16_e32 v11, v11
	v_cvt_f16_i16_e32 v10, v10
	s_delay_alu instid0(VALU_DEP_3) | instskip(SKIP_1) | instid1(VALU_DEP_3)
	v_pk_fma_f16 v125, v9, v123, v125
	v_pk_fma_f16 v119, v9, v150, v119
	v_pack_b32_f16 v10, v11, v10
	s_delay_alu instid0(VALU_DEP_1) | instskip(SKIP_2) | instid1(VALU_DEP_3)
	v_pk_mul_f16 v8, v10, v8
	v_add_nc_u64_e32 v[10:11], s[4:5], v[90:91]
	v_add_nc_u64_e32 v[90:91], s[22:23], v[90:91]
	v_pk_fma_f16 v15, v8, v123, v15
	v_pk_fma_f16 v122, v8, v150, v122
	ds_load_u16 v8, v140 offset:280
	global_load_b32 v10, v[10:11], off
	v_mul_u32_u24_e32 v123, 0x10001, v153
	s_wait_dscnt 0x0
	v_mul_u32_u24_e32 v150, 0x10001, v8
	v_add_nc_u64_e32 v[8:9], s[4:5], v[92:93]
	v_add_nc_u64_e32 v[92:93], s[22:23], v[92:93]
	s_clause 0x1
	global_load_b32 v11, v[8:9], off offset:2
	global_load_u16 v8, v[8:9], off
	s_wait_loadcnt 0x1
	v_lshrrev_b32_e32 v151, v141, v11
	v_dual_ashrrev_i32 v10, v145, v10 :: v_dual_lshrrev_b32 v152, v146, v11
	s_wait_loadcnt 0x0
	v_mul_u32_u24_e32 v8, 0x10001, v8
	s_delay_alu instid0(VALU_DEP_3) | instskip(NEXT) | instid1(VALU_DEP_3)
	v_lshlrev_b32_e32 v151, 4, v151
	v_and_b32_e32 v10, 0xf0f0f0f, v10
	s_delay_alu instid0(VALU_DEP_2) | instskip(NEXT) | instid1(VALU_DEP_1)
	v_dual_lshlrev_b32 v152, 12, v152 :: v_dual_bitop2_b32 v151, 16, v151 bitop3:0x40
	v_and_b32_e32 v152, 0x1000, v152
	s_delay_alu instid0(VALU_DEP_1) | instskip(SKIP_1) | instid1(VALU_DEP_1)
	v_or3_b32 v151, v151, v10, v152
	v_dual_lshrrev_b32 v152, v147, v11 :: v_dual_lshrrev_b32 v11, v148, v11
	v_dual_lshlrev_b32 v11, 28, v11 :: v_dual_lshlrev_b32 v152, 20, v152
	s_delay_alu instid0(VALU_DEP_1) | instskip(NEXT) | instid1(VALU_DEP_2)
	v_and_b32_e32 v11, 0x10000000, v11
	v_and_b32_e32 v152, 0x100000, v152
	s_delay_alu instid0(VALU_DEP_1) | instskip(SKIP_1) | instid1(VALU_DEP_2)
	v_or3_b32 v10, v10, v152, v11
	v_lshlrev_b16 v11, 8, v151
	v_lshrrev_b32_e32 v10, 16, v10
	s_delay_alu instid0(VALU_DEP_2) | instskip(NEXT) | instid1(VALU_DEP_1)
	v_add_nc_u16 v11, 0xf000, v11
	v_lshrrev_b16 v11, 8, v11
	s_delay_alu instid0(VALU_DEP_1) | instskip(NEXT) | instid1(VALU_DEP_4)
	v_bitop3_b16 v11, v151, v11, 0x1f00 bitop3:0xec
	v_lshlrev_b16 v151, 8, v10
	v_and_b32_e32 v10, 0x1f00, v10
	s_delay_alu instid0(VALU_DEP_3) | instskip(NEXT) | instid1(VALU_DEP_3)
	v_add_nc_u16 v11, 0xf000, v11
	v_add_nc_u16 v151, 0xf000, v151
	s_delay_alu instid0(VALU_DEP_3) | instskip(NEXT) | instid1(VALU_DEP_3)
	v_add_nc_u16 v10, 0xf000, v10
	v_lshrrev_b32_e32 v9, 8, v11
	v_bfe_i32 v11, v11, 0, 8
	s_delay_alu instid0(VALU_DEP_3) | instskip(NEXT) | instid1(VALU_DEP_3)
	v_lshrrev_b32_e32 v10, 8, v10
	v_bfe_i32 v9, v9, 0, 8
	s_delay_alu instid0(VALU_DEP_3) | instskip(NEXT) | instid1(VALU_DEP_3)
	v_cvt_f16_i16_e32 v11, v11
	v_bfe_i32 v10, v10, 0, 8
	s_delay_alu instid0(VALU_DEP_3) | instskip(NEXT) | instid1(VALU_DEP_2)
	v_cvt_f16_i16_e32 v9, v9
	v_cvt_f16_i16_e32 v10, v10
	s_delay_alu instid0(VALU_DEP_2) | instskip(SKIP_1) | instid1(VALU_DEP_2)
	v_pack_b32_f16 v9, v11, v9
	v_ashrrev_i16 v11, 8, v151
	v_pk_mul_f16 v9, v9, v8
	s_delay_alu instid0(VALU_DEP_2) | instskip(NEXT) | instid1(VALU_DEP_2)
	v_cvt_f16_i16_e32 v11, v11
	v_pk_fma_f16 v125, v9, v123, v125
	s_delay_alu instid0(VALU_DEP_2) | instskip(SKIP_1) | instid1(VALU_DEP_2)
	v_pack_b32_f16 v10, v11, v10
	v_pk_fma_f16 v119, v9, v150, v119
	v_pk_mul_f16 v8, v10, v8
	v_add_nc_u64_e32 v[10:11], s[4:5], v[86:87]
	v_add_nc_u64_e32 v[86:87], s[22:23], v[86:87]
	s_delay_alu instid0(VALU_DEP_3)
	v_pk_fma_f16 v15, v8, v123, v15
	v_pk_fma_f16 v122, v8, v150, v122
	ds_load_u16 v8, v140 offset:284
	global_load_b32 v10, v[10:11], off
	v_mul_u32_u24_e32 v123, 0x10001, v154
	s_wait_dscnt 0x0
	v_mul_u32_u24_e32 v150, 0x10001, v8
	v_add_nc_u64_e32 v[8:9], s[4:5], v[88:89]
	v_add_nc_u64_e32 v[88:89], s[22:23], v[88:89]
	s_clause 0x1
	global_load_b32 v11, v[8:9], off offset:2
	global_load_u16 v8, v[8:9], off
	s_wait_loadcnt 0x1
	v_dual_lshrrev_b32 v151, v141, v11 :: v_dual_lshrrev_b32 v152, v146, v11
	v_ashrrev_i32_e32 v10, v145, v10
	s_wait_loadcnt 0x0
	v_mul_u32_u24_e32 v8, 0x10001, v8
	s_delay_alu instid0(VALU_DEP_3) | instskip(NEXT) | instid1(VALU_DEP_3)
	v_dual_lshlrev_b32 v151, 4, v151 :: v_dual_lshlrev_b32 v152, 12, v152
	v_and_b32_e32 v10, 0xf0f0f0f, v10
	s_delay_alu instid0(VALU_DEP_2) | instskip(NEXT) | instid1(VALU_DEP_3)
	v_and_b32_e32 v151, 16, v151
	v_and_b32_e32 v152, 0x1000, v152
	s_delay_alu instid0(VALU_DEP_1) | instskip(SKIP_1) | instid1(VALU_DEP_1)
	v_or3_b32 v151, v151, v10, v152
	v_dual_lshrrev_b32 v152, v147, v11 :: v_dual_lshrrev_b32 v11, v148, v11
	v_dual_lshlrev_b32 v152, 20, v152 :: v_dual_lshlrev_b32 v11, 28, v11
	s_delay_alu instid0(VALU_DEP_1) | instskip(NEXT) | instid1(VALU_DEP_2)
	v_and_b32_e32 v152, 0x100000, v152
	v_and_b32_e32 v11, 0x10000000, v11
	s_delay_alu instid0(VALU_DEP_1) | instskip(SKIP_1) | instid1(VALU_DEP_1)
	v_or3_b32 v10, v10, v152, v11
	v_lshlrev_b16 v11, 8, v151
	v_add_nc_u16 v11, 0xf000, v11
	s_delay_alu instid0(VALU_DEP_1) | instskip(NEXT) | instid1(VALU_DEP_1)
	v_lshrrev_b16 v11, 8, v11
	v_bitop3_b16 v11, v151, v11, 0x1f00 bitop3:0xec
	s_delay_alu instid0(VALU_DEP_1) | instskip(NEXT) | instid1(VALU_DEP_1)
	v_add_nc_u16 v11, 0xf000, v11
	v_dual_lshrrev_b32 v10, 16, v10 :: v_dual_lshrrev_b32 v9, 8, v11
	s_delay_alu instid0(VALU_DEP_1) | instskip(SKIP_2) | instid1(VALU_DEP_4)
	v_lshlrev_b16 v151, 8, v10
	v_and_b32_e32 v10, 0x1f00, v10
	v_bfe_i32 v11, v11, 0, 8
	v_bfe_i32 v9, v9, 0, 8
	s_delay_alu instid0(VALU_DEP_4) | instskip(NEXT) | instid1(VALU_DEP_4)
	v_add_nc_u16 v151, 0xf000, v151
	v_add_nc_u16 v10, 0xf000, v10
	s_delay_alu instid0(VALU_DEP_4) | instskip(NEXT) | instid1(VALU_DEP_4)
	v_cvt_f16_i16_e32 v11, v11
	v_cvt_f16_i16_e32 v9, v9
	s_delay_alu instid0(VALU_DEP_3) | instskip(NEXT) | instid1(VALU_DEP_2)
	v_lshrrev_b32_e32 v10, 8, v10
	v_pack_b32_f16 v9, v11, v9
	v_ashrrev_i16 v11, 8, v151
	s_delay_alu instid0(VALU_DEP_3) | instskip(NEXT) | instid1(VALU_DEP_3)
	v_bfe_i32 v10, v10, 0, 8
	v_pk_mul_f16 v9, v9, v8
	s_delay_alu instid0(VALU_DEP_3) | instskip(NEXT) | instid1(VALU_DEP_3)
	v_cvt_f16_i16_e32 v11, v11
	v_cvt_f16_i16_e32 v10, v10
	s_delay_alu instid0(VALU_DEP_3) | instskip(SKIP_1) | instid1(VALU_DEP_3)
	v_pk_fma_f16 v125, v9, v123, v125
	v_pk_fma_f16 v119, v9, v150, v119
	v_pack_b32_f16 v10, v11, v10
	s_delay_alu instid0(VALU_DEP_1) | instskip(SKIP_2) | instid1(VALU_DEP_3)
	v_pk_mul_f16 v8, v10, v8
	v_add_nc_u64_e32 v[10:11], s[4:5], v[82:83]
	v_add_nc_u64_e32 v[82:83], s[22:23], v[82:83]
	v_pk_fma_f16 v15, v8, v123, v15
	v_pk_fma_f16 v122, v8, v150, v122
	ds_load_u16 v8, v139 offset:288
	v_mul_u32_u24_e32 v123, 0x10001, v124
	global_load_b32 v10, v[10:11], off
	s_wait_dscnt 0x0
	v_mul_u32_u24_e32 v124, 0x10001, v8
	v_add_nc_u64_e32 v[8:9], s[4:5], v[84:85]
	v_add_nc_u64_e32 v[84:85], s[22:23], v[84:85]
	s_clause 0x1
	global_load_b32 v11, v[8:9], off offset:2
	global_load_u16 v8, v[8:9], off
	s_wait_loadcnt 0x1
	v_dual_ashrrev_i32 v10, v145, v10 :: v_dual_lshrrev_b32 v151, v146, v11
	v_lshrrev_b32_e32 v150, v141, v11
	s_delay_alu instid0(VALU_DEP_2) | instskip(SKIP_2) | instid1(VALU_DEP_3)
	v_and_b32_e32 v10, 0xf0f0f0f, v10
	s_wait_loadcnt 0x0
	v_mul_u32_u24_e32 v8, 0x10001, v8
	v_dual_lshlrev_b32 v151, 12, v151 :: v_dual_lshlrev_b32 v150, 4, v150
	s_delay_alu instid0(VALU_DEP_1) | instskip(NEXT) | instid1(VALU_DEP_2)
	v_and_b32_e32 v151, 0x1000, v151
	v_and_b32_e32 v150, 16, v150
	s_delay_alu instid0(VALU_DEP_1) | instskip(SKIP_1) | instid1(VALU_DEP_1)
	v_or3_b32 v150, v150, v10, v151
	v_dual_lshrrev_b32 v151, v147, v11 :: v_dual_lshrrev_b32 v11, v148, v11
	v_lshlrev_b32_e32 v151, 20, v151
	s_delay_alu instid0(VALU_DEP_2) | instskip(NEXT) | instid1(VALU_DEP_2)
	v_lshlrev_b32_e32 v11, 28, v11
	v_and_b32_e32 v151, 0x100000, v151
	s_delay_alu instid0(VALU_DEP_2) | instskip(NEXT) | instid1(VALU_DEP_1)
	v_and_b32_e32 v11, 0x10000000, v11
	v_or3_b32 v10, v10, v151, v11
	v_lshlrev_b16 v11, 8, v150
	s_delay_alu instid0(VALU_DEP_2) | instskip(NEXT) | instid1(VALU_DEP_2)
	v_lshrrev_b32_e32 v10, 16, v10
	v_add_nc_u16 v11, 0xf000, v11
	s_delay_alu instid0(VALU_DEP_1) | instskip(NEXT) | instid1(VALU_DEP_1)
	v_lshrrev_b16 v11, 8, v11
	v_bitop3_b16 v11, v150, v11, 0x1f00 bitop3:0xec
	s_delay_alu instid0(VALU_DEP_4) | instskip(SKIP_1) | instid1(VALU_DEP_3)
	v_lshlrev_b16 v150, 8, v10
	v_and_b32_e32 v10, 0x1f00, v10
	v_add_nc_u16 v11, 0xf000, v11
	s_delay_alu instid0(VALU_DEP_3) | instskip(NEXT) | instid1(VALU_DEP_3)
	v_add_nc_u16 v150, 0xf000, v150
	v_add_nc_u16 v10, 0xf000, v10
	s_delay_alu instid0(VALU_DEP_3) | instskip(SKIP_1) | instid1(VALU_DEP_3)
	v_lshrrev_b32_e32 v9, 8, v11
	v_bfe_i32 v11, v11, 0, 8
	v_lshrrev_b32_e32 v10, 8, v10
	s_delay_alu instid0(VALU_DEP_3) | instskip(NEXT) | instid1(VALU_DEP_3)
	v_bfe_i32 v9, v9, 0, 8
	v_cvt_f16_i16_e32 v11, v11
	s_delay_alu instid0(VALU_DEP_3) | instskip(NEXT) | instid1(VALU_DEP_3)
	v_bfe_i32 v10, v10, 0, 8
	v_cvt_f16_i16_e32 v9, v9
	s_delay_alu instid0(VALU_DEP_2) | instskip(NEXT) | instid1(VALU_DEP_2)
	v_cvt_f16_i16_e32 v10, v10
	v_pack_b32_f16 v9, v11, v9
	v_ashrrev_i16 v11, 8, v150
	s_delay_alu instid0(VALU_DEP_2) | instskip(NEXT) | instid1(VALU_DEP_2)
	v_pk_mul_f16 v9, v9, v8
	v_cvt_f16_i16_e32 v11, v11
	s_delay_alu instid0(VALU_DEP_2) | instskip(NEXT) | instid1(VALU_DEP_2)
	v_pk_fma_f16 v125, v9, v123, v125
	v_pack_b32_f16 v10, v11, v10
	v_pk_fma_f16 v119, v9, v124, v119
	s_delay_alu instid0(VALU_DEP_2) | instskip(SKIP_2) | instid1(VALU_DEP_3)
	v_pk_mul_f16 v8, v10, v8
	v_add_nc_u64_e32 v[10:11], s[4:5], v[78:79]
	v_add_nc_u64_e32 v[78:79], s[22:23], v[78:79]
	v_pk_fma_f16 v15, v8, v123, v15
	v_pk_fma_f16 v122, v8, v124, v122
	ds_load_u16 v8, v140 offset:292
	global_load_b32 v10, v[10:11], off
	v_mul_u32_u24_e32 v123, 0x10001, v155
	s_wait_dscnt 0x0
	v_mul_u32_u24_e32 v124, 0x10001, v8
	v_add_nc_u64_e32 v[8:9], s[4:5], v[80:81]
	v_add_nc_u64_e32 v[80:81], s[22:23], v[80:81]
	s_clause 0x1
	global_load_b32 v11, v[8:9], off offset:2
	global_load_u16 v8, v[8:9], off
	s_wait_loadcnt 0x2
	v_ashrrev_i32_e32 v10, v145, v10
	s_delay_alu instid0(VALU_DEP_1) | instskip(SKIP_4) | instid1(VALU_DEP_2)
	v_and_b32_e32 v10, 0xf0f0f0f, v10
	s_wait_loadcnt 0x1
	v_dual_lshrrev_b32 v150, v141, v11 :: v_dual_lshrrev_b32 v151, v146, v11
	s_wait_loadcnt 0x0
	v_mul_u32_u24_e32 v8, 0x10001, v8
	v_dual_lshlrev_b32 v150, 4, v150 :: v_dual_lshlrev_b32 v151, 12, v151
	s_delay_alu instid0(VALU_DEP_1) | instskip(NEXT) | instid1(VALU_DEP_2)
	v_and_b32_e32 v150, 16, v150
	v_and_b32_e32 v151, 0x1000, v151
	s_delay_alu instid0(VALU_DEP_1) | instskip(SKIP_1) | instid1(VALU_DEP_1)
	v_or3_b32 v150, v150, v10, v151
	v_dual_lshrrev_b32 v151, v147, v11 :: v_dual_lshrrev_b32 v11, v148, v11
	v_lshlrev_b32_e32 v151, 20, v151
	s_delay_alu instid0(VALU_DEP_2) | instskip(NEXT) | instid1(VALU_DEP_2)
	v_lshlrev_b32_e32 v11, 28, v11
	v_and_b32_e32 v151, 0x100000, v151
	s_delay_alu instid0(VALU_DEP_2) | instskip(NEXT) | instid1(VALU_DEP_1)
	v_and_b32_e32 v11, 0x10000000, v11
	v_or3_b32 v10, v10, v151, v11
	v_lshlrev_b16 v11, 8, v150
	s_delay_alu instid0(VALU_DEP_2) | instskip(NEXT) | instid1(VALU_DEP_2)
	v_lshrrev_b32_e32 v10, 16, v10
	v_add_nc_u16 v11, 0xf000, v11
	s_delay_alu instid0(VALU_DEP_1) | instskip(NEXT) | instid1(VALU_DEP_1)
	v_lshrrev_b16 v11, 8, v11
	v_bitop3_b16 v11, v150, v11, 0x1f00 bitop3:0xec
	s_delay_alu instid0(VALU_DEP_4) | instskip(SKIP_1) | instid1(VALU_DEP_3)
	v_lshlrev_b16 v150, 8, v10
	v_and_b32_e32 v10, 0x1f00, v10
	v_add_nc_u16 v11, 0xf000, v11
	s_delay_alu instid0(VALU_DEP_3) | instskip(NEXT) | instid1(VALU_DEP_3)
	v_add_nc_u16 v150, 0xf000, v150
	v_add_nc_u16 v10, 0xf000, v10
	s_delay_alu instid0(VALU_DEP_3) | instskip(SKIP_1) | instid1(VALU_DEP_3)
	v_lshrrev_b32_e32 v9, 8, v11
	v_bfe_i32 v11, v11, 0, 8
	v_lshrrev_b32_e32 v10, 8, v10
	s_delay_alu instid0(VALU_DEP_3) | instskip(NEXT) | instid1(VALU_DEP_3)
	v_bfe_i32 v9, v9, 0, 8
	v_cvt_f16_i16_e32 v11, v11
	s_delay_alu instid0(VALU_DEP_3) | instskip(NEXT) | instid1(VALU_DEP_3)
	v_bfe_i32 v10, v10, 0, 8
	v_cvt_f16_i16_e32 v9, v9
	s_delay_alu instid0(VALU_DEP_2) | instskip(NEXT) | instid1(VALU_DEP_2)
	v_cvt_f16_i16_e32 v10, v10
	v_pack_b32_f16 v9, v11, v9
	v_ashrrev_i16 v11, 8, v150
	s_delay_alu instid0(VALU_DEP_2) | instskip(NEXT) | instid1(VALU_DEP_2)
	v_pk_mul_f16 v9, v9, v8
	v_cvt_f16_i16_e32 v11, v11
	s_delay_alu instid0(VALU_DEP_2) | instskip(NEXT) | instid1(VALU_DEP_2)
	v_pk_fma_f16 v125, v9, v123, v125
	v_pack_b32_f16 v10, v11, v10
	v_pk_fma_f16 v119, v9, v124, v119
	s_delay_alu instid0(VALU_DEP_2) | instskip(SKIP_2) | instid1(VALU_DEP_3)
	v_pk_mul_f16 v8, v10, v8
	v_add_nc_u64_e32 v[10:11], s[4:5], v[74:75]
	v_add_nc_u64_e32 v[74:75], s[22:23], v[74:75]
	v_pk_fma_f16 v15, v8, v123, v15
	v_pk_fma_f16 v122, v8, v124, v122
	ds_load_u16 v8, v140 offset:296
	global_load_b32 v10, v[10:11], off
	v_mul_u32_u24_e32 v123, 0x10001, v156
	s_wait_dscnt 0x0
	v_mul_u32_u24_e32 v124, 0x10001, v8
	v_add_nc_u64_e32 v[8:9], s[4:5], v[76:77]
	v_add_nc_u64_e32 v[76:77], s[22:23], v[76:77]
	s_clause 0x1
	global_load_b32 v11, v[8:9], off offset:2
	global_load_u16 v8, v[8:9], off
	s_wait_loadcnt 0x2
	v_ashrrev_i32_e32 v10, v145, v10
	s_delay_alu instid0(VALU_DEP_1) | instskip(SKIP_4) | instid1(VALU_DEP_2)
	v_and_b32_e32 v10, 0xf0f0f0f, v10
	s_wait_loadcnt 0x1
	v_dual_lshrrev_b32 v150, v141, v11 :: v_dual_lshrrev_b32 v151, v146, v11
	s_wait_loadcnt 0x0
	v_mul_u32_u24_e32 v8, 0x10001, v8
	v_dual_lshlrev_b32 v150, 4, v150 :: v_dual_lshlrev_b32 v151, 12, v151
	s_delay_alu instid0(VALU_DEP_1) | instskip(NEXT) | instid1(VALU_DEP_2)
	v_and_b32_e32 v150, 16, v150
	v_and_b32_e32 v151, 0x1000, v151
	s_delay_alu instid0(VALU_DEP_1) | instskip(SKIP_1) | instid1(VALU_DEP_1)
	v_or3_b32 v150, v150, v10, v151
	v_dual_lshrrev_b32 v151, v147, v11 :: v_dual_lshrrev_b32 v11, v148, v11
	v_lshlrev_b32_e32 v151, 20, v151
	s_delay_alu instid0(VALU_DEP_2) | instskip(NEXT) | instid1(VALU_DEP_2)
	v_lshlrev_b32_e32 v11, 28, v11
	v_and_b32_e32 v151, 0x100000, v151
	s_delay_alu instid0(VALU_DEP_2) | instskip(NEXT) | instid1(VALU_DEP_1)
	v_and_b32_e32 v11, 0x10000000, v11
	v_or3_b32 v10, v10, v151, v11
	v_lshlrev_b16 v11, 8, v150
	s_delay_alu instid0(VALU_DEP_2) | instskip(NEXT) | instid1(VALU_DEP_2)
	v_lshrrev_b32_e32 v10, 16, v10
	v_add_nc_u16 v11, 0xf000, v11
	s_delay_alu instid0(VALU_DEP_1) | instskip(NEXT) | instid1(VALU_DEP_1)
	v_lshrrev_b16 v11, 8, v11
	v_bitop3_b16 v11, v150, v11, 0x1f00 bitop3:0xec
	s_delay_alu instid0(VALU_DEP_4) | instskip(SKIP_1) | instid1(VALU_DEP_3)
	v_lshlrev_b16 v150, 8, v10
	v_and_b32_e32 v10, 0x1f00, v10
	v_add_nc_u16 v11, 0xf000, v11
	s_delay_alu instid0(VALU_DEP_3) | instskip(NEXT) | instid1(VALU_DEP_3)
	v_add_nc_u16 v150, 0xf000, v150
	v_add_nc_u16 v10, 0xf000, v10
	s_delay_alu instid0(VALU_DEP_3) | instskip(SKIP_1) | instid1(VALU_DEP_3)
	v_lshrrev_b32_e32 v9, 8, v11
	v_bfe_i32 v11, v11, 0, 8
	v_lshrrev_b32_e32 v10, 8, v10
	s_delay_alu instid0(VALU_DEP_3) | instskip(NEXT) | instid1(VALU_DEP_3)
	v_bfe_i32 v9, v9, 0, 8
	v_cvt_f16_i16_e32 v11, v11
	s_delay_alu instid0(VALU_DEP_3) | instskip(NEXT) | instid1(VALU_DEP_3)
	v_bfe_i32 v10, v10, 0, 8
	v_cvt_f16_i16_e32 v9, v9
	s_delay_alu instid0(VALU_DEP_2) | instskip(NEXT) | instid1(VALU_DEP_2)
	v_cvt_f16_i16_e32 v10, v10
	v_pack_b32_f16 v9, v11, v9
	v_ashrrev_i16 v11, 8, v150
	s_delay_alu instid0(VALU_DEP_2) | instskip(NEXT) | instid1(VALU_DEP_2)
	v_pk_mul_f16 v9, v9, v8
	v_cvt_f16_i16_e32 v11, v11
	s_delay_alu instid0(VALU_DEP_2) | instskip(NEXT) | instid1(VALU_DEP_2)
	v_pk_fma_f16 v125, v9, v123, v125
	v_pack_b32_f16 v10, v11, v10
	v_pk_fma_f16 v119, v9, v124, v119
	s_delay_alu instid0(VALU_DEP_2) | instskip(SKIP_2) | instid1(VALU_DEP_3)
	v_pk_mul_f16 v8, v10, v8
	v_add_nc_u64_e32 v[10:11], s[4:5], v[70:71]
	v_add_nc_u64_e32 v[70:71], s[22:23], v[70:71]
	v_pk_fma_f16 v15, v8, v123, v15
	v_pk_fma_f16 v122, v8, v124, v122
	ds_load_u16 v8, v140 offset:300
	global_load_b32 v10, v[10:11], off
	v_mul_u32_u24_e32 v123, 0x10001, v157
	s_wait_dscnt 0x0
	v_mul_u32_u24_e32 v124, 0x10001, v8
	v_add_nc_u64_e32 v[8:9], s[4:5], v[72:73]
	v_add_nc_u64_e32 v[72:73], s[22:23], v[72:73]
	s_clause 0x1
	global_load_b32 v11, v[8:9], off offset:2
	global_load_u16 v8, v[8:9], off
	s_wait_loadcnt 0x2
	v_ashrrev_i32_e32 v10, v145, v10
	s_delay_alu instid0(VALU_DEP_1) | instskip(SKIP_4) | instid1(VALU_DEP_2)
	v_and_b32_e32 v10, 0xf0f0f0f, v10
	s_wait_loadcnt 0x1
	v_dual_lshrrev_b32 v150, v141, v11 :: v_dual_lshrrev_b32 v151, v146, v11
	s_wait_loadcnt 0x0
	v_mul_u32_u24_e32 v8, 0x10001, v8
	v_dual_lshlrev_b32 v150, 4, v150 :: v_dual_lshlrev_b32 v151, 12, v151
	s_delay_alu instid0(VALU_DEP_1) | instskip(NEXT) | instid1(VALU_DEP_2)
	v_and_b32_e32 v150, 16, v150
	v_and_b32_e32 v151, 0x1000, v151
	s_delay_alu instid0(VALU_DEP_1) | instskip(SKIP_1) | instid1(VALU_DEP_1)
	v_or3_b32 v150, v150, v10, v151
	v_dual_lshrrev_b32 v151, v147, v11 :: v_dual_lshrrev_b32 v11, v148, v11
	v_lshlrev_b32_e32 v151, 20, v151
	s_delay_alu instid0(VALU_DEP_2) | instskip(NEXT) | instid1(VALU_DEP_2)
	v_lshlrev_b32_e32 v11, 28, v11
	v_and_b32_e32 v151, 0x100000, v151
	s_delay_alu instid0(VALU_DEP_2) | instskip(NEXT) | instid1(VALU_DEP_1)
	v_and_b32_e32 v11, 0x10000000, v11
	v_or3_b32 v10, v10, v151, v11
	v_lshlrev_b16 v11, 8, v150
	s_delay_alu instid0(VALU_DEP_2) | instskip(NEXT) | instid1(VALU_DEP_2)
	v_lshrrev_b32_e32 v10, 16, v10
	v_add_nc_u16 v11, 0xf000, v11
	s_delay_alu instid0(VALU_DEP_1) | instskip(NEXT) | instid1(VALU_DEP_1)
	v_lshrrev_b16 v11, 8, v11
	v_bitop3_b16 v11, v150, v11, 0x1f00 bitop3:0xec
	s_delay_alu instid0(VALU_DEP_4) | instskip(SKIP_1) | instid1(VALU_DEP_3)
	v_lshlrev_b16 v150, 8, v10
	v_and_b32_e32 v10, 0x1f00, v10
	v_add_nc_u16 v11, 0xf000, v11
	s_delay_alu instid0(VALU_DEP_3) | instskip(NEXT) | instid1(VALU_DEP_3)
	v_add_nc_u16 v150, 0xf000, v150
	v_add_nc_u16 v10, 0xf000, v10
	s_delay_alu instid0(VALU_DEP_3) | instskip(SKIP_1) | instid1(VALU_DEP_3)
	v_lshrrev_b32_e32 v9, 8, v11
	v_bfe_i32 v11, v11, 0, 8
	v_lshrrev_b32_e32 v10, 8, v10
	s_delay_alu instid0(VALU_DEP_3) | instskip(NEXT) | instid1(VALU_DEP_3)
	v_bfe_i32 v9, v9, 0, 8
	v_cvt_f16_i16_e32 v11, v11
	s_delay_alu instid0(VALU_DEP_3) | instskip(NEXT) | instid1(VALU_DEP_3)
	v_bfe_i32 v10, v10, 0, 8
	v_cvt_f16_i16_e32 v9, v9
	s_delay_alu instid0(VALU_DEP_2) | instskip(NEXT) | instid1(VALU_DEP_2)
	v_cvt_f16_i16_e32 v10, v10
	v_pack_b32_f16 v9, v11, v9
	v_ashrrev_i16 v11, 8, v150
	s_delay_alu instid0(VALU_DEP_2) | instskip(NEXT) | instid1(VALU_DEP_2)
	v_pk_mul_f16 v9, v9, v8
	v_cvt_f16_i16_e32 v11, v11
	s_delay_alu instid0(VALU_DEP_2) | instskip(NEXT) | instid1(VALU_DEP_2)
	v_pk_fma_f16 v125, v9, v123, v125
	v_pack_b32_f16 v10, v11, v10
	v_pk_fma_f16 v119, v9, v124, v119
	s_delay_alu instid0(VALU_DEP_2) | instskip(SKIP_2) | instid1(VALU_DEP_3)
	v_pk_mul_f16 v8, v10, v8
	v_add_nc_u64_e32 v[10:11], s[4:5], v[66:67]
	v_add_nc_u64_e32 v[66:67], s[22:23], v[66:67]
	v_pk_fma_f16 v15, v8, v123, v15
	v_pk_fma_f16 v122, v8, v124, v122
	ds_load_u16 v8, v139 offset:304
	global_load_b32 v10, v[10:11], off
	v_mul_u32_u24_e32 v123, 0x10001, v149
	s_wait_dscnt 0x0
	v_mul_u32_u24_e32 v124, 0x10001, v8
	v_add_nc_u64_e32 v[8:9], s[4:5], v[68:69]
	v_add_nc_u64_e32 v[68:69], s[22:23], v[68:69]
	s_clause 0x1
	global_load_b32 v11, v[8:9], off offset:2
	global_load_u16 v8, v[8:9], off
	s_wait_loadcnt 0x2
	v_ashrrev_i32_e32 v10, v145, v10
	s_delay_alu instid0(VALU_DEP_1) | instskip(SKIP_4) | instid1(VALU_DEP_2)
	v_and_b32_e32 v10, 0xf0f0f0f, v10
	s_wait_loadcnt 0x1
	v_dual_lshrrev_b32 v149, v141, v11 :: v_dual_lshrrev_b32 v150, v146, v11
	s_wait_loadcnt 0x0
	v_mul_u32_u24_e32 v8, 0x10001, v8
	v_dual_lshlrev_b32 v149, 4, v149 :: v_dual_lshlrev_b32 v150, 12, v150
	s_delay_alu instid0(VALU_DEP_1) | instskip(NEXT) | instid1(VALU_DEP_2)
	v_and_b32_e32 v149, 16, v149
	v_and_b32_e32 v150, 0x1000, v150
	s_delay_alu instid0(VALU_DEP_1) | instskip(SKIP_1) | instid1(VALU_DEP_1)
	v_or3_b32 v149, v149, v10, v150
	v_dual_lshrrev_b32 v150, v147, v11 :: v_dual_lshrrev_b32 v11, v148, v11
	v_dual_lshlrev_b32 v150, 20, v150 :: v_dual_lshlrev_b32 v11, 28, v11
	s_delay_alu instid0(VALU_DEP_1) | instskip(NEXT) | instid1(VALU_DEP_2)
	v_and_b32_e32 v150, 0x100000, v150
	v_and_b32_e32 v11, 0x10000000, v11
	s_delay_alu instid0(VALU_DEP_1) | instskip(SKIP_1) | instid1(VALU_DEP_2)
	v_or3_b32 v10, v10, v150, v11
	v_lshlrev_b16 v11, 8, v149
	v_lshrrev_b32_e32 v10, 16, v10
	s_delay_alu instid0(VALU_DEP_2) | instskip(NEXT) | instid1(VALU_DEP_1)
	v_add_nc_u16 v11, 0xf000, v11
	v_lshrrev_b16 v11, 8, v11
	s_delay_alu instid0(VALU_DEP_1) | instskip(NEXT) | instid1(VALU_DEP_4)
	v_bitop3_b16 v11, v149, v11, 0x1f00 bitop3:0xec
	v_lshlrev_b16 v149, 8, v10
	v_and_b32_e32 v10, 0x1f00, v10
	s_delay_alu instid0(VALU_DEP_3) | instskip(NEXT) | instid1(VALU_DEP_3)
	v_add_nc_u16 v11, 0xf000, v11
	v_add_nc_u16 v149, 0xf000, v149
	s_delay_alu instid0(VALU_DEP_3) | instskip(NEXT) | instid1(VALU_DEP_3)
	v_add_nc_u16 v10, 0xf000, v10
	v_lshrrev_b32_e32 v9, 8, v11
	v_bfe_i32 v11, v11, 0, 8
	s_delay_alu instid0(VALU_DEP_3) | instskip(NEXT) | instid1(VALU_DEP_3)
	v_lshrrev_b32_e32 v10, 8, v10
	v_bfe_i32 v9, v9, 0, 8
	s_delay_alu instid0(VALU_DEP_3) | instskip(NEXT) | instid1(VALU_DEP_3)
	v_cvt_f16_i16_e32 v11, v11
	v_bfe_i32 v10, v10, 0, 8
	s_delay_alu instid0(VALU_DEP_3) | instskip(NEXT) | instid1(VALU_DEP_2)
	v_cvt_f16_i16_e32 v9, v9
	v_cvt_f16_i16_e32 v10, v10
	s_delay_alu instid0(VALU_DEP_2) | instskip(SKIP_1) | instid1(VALU_DEP_2)
	v_pack_b32_f16 v9, v11, v9
	v_ashrrev_i16 v11, 8, v149
	v_pk_mul_f16 v9, v9, v8
	s_delay_alu instid0(VALU_DEP_2) | instskip(NEXT) | instid1(VALU_DEP_2)
	v_cvt_f16_i16_e32 v11, v11
	v_pk_fma_f16 v125, v9, v123, v125
	s_delay_alu instid0(VALU_DEP_2) | instskip(SKIP_1) | instid1(VALU_DEP_2)
	v_pack_b32_f16 v10, v11, v10
	v_pk_fma_f16 v119, v9, v124, v119
	v_pk_mul_f16 v8, v10, v8
	v_add_nc_u64_e32 v[10:11], s[4:5], v[62:63]
	v_add_nc_u64_e32 v[62:63], s[22:23], v[62:63]
	s_delay_alu instid0(VALU_DEP_3)
	v_pk_fma_f16 v15, v8, v123, v15
	v_pk_fma_f16 v122, v8, v124, v122
	ds_load_u16 v8, v140 offset:308
	global_load_b32 v10, v[10:11], off
	v_mul_u32_u24_e32 v123, 0x10001, v158
	s_wait_dscnt 0x0
	v_mul_u32_u24_e32 v124, 0x10001, v8
	v_add_nc_u64_e32 v[8:9], s[4:5], v[64:65]
	v_add_nc_u64_e32 v[64:65], s[22:23], v[64:65]
	s_clause 0x1
	global_load_b32 v11, v[8:9], off offset:2
	global_load_u16 v8, v[8:9], off
	s_wait_loadcnt 0x1
	v_dual_lshrrev_b32 v149, v141, v11 :: v_dual_lshrrev_b32 v150, v146, v11
	v_ashrrev_i32_e32 v10, v145, v10
	s_wait_loadcnt 0x0
	v_mul_u32_u24_e32 v8, 0x10001, v8
	s_delay_alu instid0(VALU_DEP_3) | instskip(NEXT) | instid1(VALU_DEP_3)
	v_dual_lshlrev_b32 v149, 4, v149 :: v_dual_lshlrev_b32 v150, 12, v150
	v_and_b32_e32 v10, 0xf0f0f0f, v10
	s_delay_alu instid0(VALU_DEP_2) | instskip(NEXT) | instid1(VALU_DEP_3)
	v_and_b32_e32 v149, 16, v149
	v_and_b32_e32 v150, 0x1000, v150
	s_delay_alu instid0(VALU_DEP_1) | instskip(SKIP_1) | instid1(VALU_DEP_1)
	v_or3_b32 v149, v149, v10, v150
	v_dual_lshrrev_b32 v150, v147, v11 :: v_dual_lshrrev_b32 v11, v148, v11
	v_dual_lshlrev_b32 v150, 20, v150 :: v_dual_lshlrev_b32 v11, 28, v11
	s_delay_alu instid0(VALU_DEP_1) | instskip(NEXT) | instid1(VALU_DEP_2)
	v_and_b32_e32 v150, 0x100000, v150
	v_and_b32_e32 v11, 0x10000000, v11
	s_delay_alu instid0(VALU_DEP_1) | instskip(SKIP_1) | instid1(VALU_DEP_1)
	v_or3_b32 v10, v10, v150, v11
	v_lshlrev_b16 v11, 8, v149
	v_add_nc_u16 v11, 0xf000, v11
	s_delay_alu instid0(VALU_DEP_1) | instskip(NEXT) | instid1(VALU_DEP_1)
	v_lshrrev_b16 v11, 8, v11
	v_bitop3_b16 v11, v149, v11, 0x1f00 bitop3:0xec
	s_delay_alu instid0(VALU_DEP_1) | instskip(NEXT) | instid1(VALU_DEP_1)
	v_add_nc_u16 v11, 0xf000, v11
	v_dual_lshrrev_b32 v10, 16, v10 :: v_dual_lshrrev_b32 v9, 8, v11
	s_delay_alu instid0(VALU_DEP_1) | instskip(SKIP_2) | instid1(VALU_DEP_4)
	v_lshlrev_b16 v149, 8, v10
	v_and_b32_e32 v10, 0x1f00, v10
	v_bfe_i32 v11, v11, 0, 8
	v_bfe_i32 v9, v9, 0, 8
	s_delay_alu instid0(VALU_DEP_4) | instskip(NEXT) | instid1(VALU_DEP_4)
	v_add_nc_u16 v149, 0xf000, v149
	v_add_nc_u16 v10, 0xf000, v10
	s_delay_alu instid0(VALU_DEP_4) | instskip(NEXT) | instid1(VALU_DEP_4)
	v_cvt_f16_i16_e32 v11, v11
	v_cvt_f16_i16_e32 v9, v9
	s_delay_alu instid0(VALU_DEP_3) | instskip(NEXT) | instid1(VALU_DEP_2)
	v_lshrrev_b32_e32 v10, 8, v10
	v_pack_b32_f16 v9, v11, v9
	v_ashrrev_i16 v11, 8, v149
	s_delay_alu instid0(VALU_DEP_3) | instskip(NEXT) | instid1(VALU_DEP_3)
	v_bfe_i32 v10, v10, 0, 8
	v_pk_mul_f16 v9, v9, v8
	s_delay_alu instid0(VALU_DEP_3) | instskip(NEXT) | instid1(VALU_DEP_3)
	v_cvt_f16_i16_e32 v11, v11
	v_cvt_f16_i16_e32 v10, v10
	s_delay_alu instid0(VALU_DEP_3) | instskip(SKIP_1) | instid1(VALU_DEP_3)
	v_pk_fma_f16 v125, v9, v123, v125
	v_pk_fma_f16 v119, v9, v124, v119
	v_pack_b32_f16 v10, v11, v10
	s_delay_alu instid0(VALU_DEP_1) | instskip(SKIP_2) | instid1(VALU_DEP_3)
	v_pk_mul_f16 v8, v10, v8
	v_add_nc_u64_e32 v[10:11], s[4:5], v[58:59]
	v_add_nc_u64_e32 v[58:59], s[22:23], v[58:59]
	v_pk_fma_f16 v15, v8, v123, v15
	v_pk_fma_f16 v122, v8, v124, v122
	ds_load_u16 v8, v140 offset:312
	global_load_b32 v10, v[10:11], off
	v_mul_u32_u24_e32 v123, 0x10001, v159
	s_wait_dscnt 0x0
	v_mul_u32_u24_e32 v124, 0x10001, v8
	v_add_nc_u64_e32 v[8:9], s[4:5], v[60:61]
	v_add_nc_u64_e32 v[60:61], s[22:23], v[60:61]
	s_clause 0x1
	global_load_b32 v11, v[8:9], off offset:2
	global_load_u16 v8, v[8:9], off
	s_wait_loadcnt 0x1
	v_lshrrev_b32_e32 v149, v141, v11
	v_dual_ashrrev_i32 v10, v145, v10 :: v_dual_lshrrev_b32 v150, v146, v11
	s_wait_loadcnt 0x0
	v_mul_u32_u24_e32 v8, 0x10001, v8
	s_delay_alu instid0(VALU_DEP_3) | instskip(NEXT) | instid1(VALU_DEP_3)
	v_lshlrev_b32_e32 v149, 4, v149
	v_and_b32_e32 v10, 0xf0f0f0f, v10
	s_delay_alu instid0(VALU_DEP_2) | instskip(NEXT) | instid1(VALU_DEP_1)
	v_dual_lshlrev_b32 v150, 12, v150 :: v_dual_bitop2_b32 v149, 16, v149 bitop3:0x40
	v_and_b32_e32 v150, 0x1000, v150
	s_delay_alu instid0(VALU_DEP_1) | instskip(SKIP_1) | instid1(VALU_DEP_1)
	v_or3_b32 v149, v149, v10, v150
	v_dual_lshrrev_b32 v150, v147, v11 :: v_dual_lshrrev_b32 v11, v148, v11
	v_dual_lshlrev_b32 v11, 28, v11 :: v_dual_lshlrev_b32 v150, 20, v150
	s_delay_alu instid0(VALU_DEP_1) | instskip(NEXT) | instid1(VALU_DEP_2)
	v_and_b32_e32 v11, 0x10000000, v11
	v_and_b32_e32 v150, 0x100000, v150
	s_delay_alu instid0(VALU_DEP_1) | instskip(SKIP_1) | instid1(VALU_DEP_2)
	v_or3_b32 v10, v10, v150, v11
	v_lshlrev_b16 v11, 8, v149
	v_lshrrev_b32_e32 v10, 16, v10
	s_delay_alu instid0(VALU_DEP_2) | instskip(NEXT) | instid1(VALU_DEP_1)
	v_add_nc_u16 v11, 0xf000, v11
	v_lshrrev_b16 v11, 8, v11
	s_delay_alu instid0(VALU_DEP_1) | instskip(NEXT) | instid1(VALU_DEP_4)
	v_bitop3_b16 v11, v149, v11, 0x1f00 bitop3:0xec
	v_lshlrev_b16 v149, 8, v10
	v_and_b32_e32 v10, 0x1f00, v10
	s_delay_alu instid0(VALU_DEP_3) | instskip(NEXT) | instid1(VALU_DEP_3)
	v_add_nc_u16 v11, 0xf000, v11
	v_add_nc_u16 v149, 0xf000, v149
	s_delay_alu instid0(VALU_DEP_3) | instskip(NEXT) | instid1(VALU_DEP_3)
	v_add_nc_u16 v10, 0xf000, v10
	v_lshrrev_b32_e32 v9, 8, v11
	v_bfe_i32 v11, v11, 0, 8
	s_delay_alu instid0(VALU_DEP_3) | instskip(NEXT) | instid1(VALU_DEP_3)
	v_lshrrev_b32_e32 v10, 8, v10
	v_bfe_i32 v9, v9, 0, 8
	s_delay_alu instid0(VALU_DEP_3) | instskip(NEXT) | instid1(VALU_DEP_3)
	v_cvt_f16_i16_e32 v11, v11
	v_bfe_i32 v10, v10, 0, 8
	s_delay_alu instid0(VALU_DEP_3) | instskip(NEXT) | instid1(VALU_DEP_2)
	v_cvt_f16_i16_e32 v9, v9
	v_cvt_f16_i16_e32 v10, v10
	s_delay_alu instid0(VALU_DEP_2) | instskip(SKIP_1) | instid1(VALU_DEP_2)
	v_pack_b32_f16 v9, v11, v9
	v_ashrrev_i16 v11, 8, v149
	v_pk_mul_f16 v9, v9, v8
	s_delay_alu instid0(VALU_DEP_2) | instskip(NEXT) | instid1(VALU_DEP_2)
	v_cvt_f16_i16_e32 v11, v11
	v_pk_fma_f16 v125, v9, v123, v125
	s_delay_alu instid0(VALU_DEP_2) | instskip(SKIP_1) | instid1(VALU_DEP_2)
	v_pack_b32_f16 v10, v11, v10
	v_pk_fma_f16 v119, v9, v124, v119
	v_pk_mul_f16 v8, v10, v8
	v_add_nc_u64_e32 v[10:11], s[4:5], v[54:55]
	v_add_nc_u64_e32 v[54:55], s[22:23], v[54:55]
	s_delay_alu instid0(VALU_DEP_3)
	v_pk_fma_f16 v15, v8, v123, v15
	v_pk_fma_f16 v122, v8, v124, v122
	ds_load_u16 v8, v140 offset:316
	global_load_b32 v10, v[10:11], off
	v_mul_u32_u24_e32 v123, 0x10001, v160
	s_wait_dscnt 0x0
	v_mul_u32_u24_e32 v124, 0x10001, v8
	v_add_nc_u64_e32 v[8:9], s[4:5], v[56:57]
	v_add_nc_u64_e32 v[56:57], s[22:23], v[56:57]
	s_clause 0x1
	global_load_b32 v11, v[8:9], off offset:2
	global_load_u16 v8, v[8:9], off
	s_wait_loadcnt 0x1
	v_dual_lshrrev_b32 v149, v141, v11 :: v_dual_lshrrev_b32 v150, v146, v11
	s_wait_loadcnt 0x0
	v_mul_u32_u24_e32 v8, 0x10001, v8
	s_delay_alu instid0(VALU_DEP_2) | instskip(NEXT) | instid1(VALU_DEP_1)
	v_dual_lshlrev_b32 v149, 4, v149 :: v_dual_ashrrev_i32 v10, v145, v10
	v_dual_lshlrev_b32 v150, 12, v150 :: v_dual_bitop2_b32 v149, 16, v149 bitop3:0x40
	s_delay_alu instid0(VALU_DEP_2) | instskip(NEXT) | instid1(VALU_DEP_2)
	v_and_b32_e32 v10, 0xf0f0f0f, v10
	v_and_b32_e32 v150, 0x1000, v150
	s_delay_alu instid0(VALU_DEP_1) | instskip(SKIP_1) | instid1(VALU_DEP_1)
	v_or3_b32 v149, v149, v10, v150
	v_dual_lshrrev_b32 v150, v147, v11 :: v_dual_lshrrev_b32 v11, v148, v11
	v_dual_lshlrev_b32 v150, 20, v150 :: v_dual_lshlrev_b32 v11, 28, v11
	s_delay_alu instid0(VALU_DEP_1) | instskip(NEXT) | instid1(VALU_DEP_2)
	v_and_b32_e32 v150, 0x100000, v150
	v_and_b32_e32 v11, 0x10000000, v11
	s_delay_alu instid0(VALU_DEP_1) | instskip(SKIP_1) | instid1(VALU_DEP_2)
	v_or3_b32 v10, v10, v150, v11
	v_lshlrev_b16 v11, 8, v149
	v_lshrrev_b32_e32 v10, 16, v10
	s_delay_alu instid0(VALU_DEP_2) | instskip(NEXT) | instid1(VALU_DEP_1)
	v_add_nc_u16 v11, 0xf000, v11
	v_lshrrev_b16 v11, 8, v11
	s_delay_alu instid0(VALU_DEP_1) | instskip(NEXT) | instid1(VALU_DEP_4)
	v_bitop3_b16 v11, v149, v11, 0x1f00 bitop3:0xec
	v_lshlrev_b16 v149, 8, v10
	v_and_b32_e32 v10, 0x1f00, v10
	s_delay_alu instid0(VALU_DEP_3) | instskip(NEXT) | instid1(VALU_DEP_3)
	v_add_nc_u16 v11, 0xf000, v11
	v_add_nc_u16 v149, 0xf000, v149
	s_delay_alu instid0(VALU_DEP_3) | instskip(NEXT) | instid1(VALU_DEP_3)
	v_add_nc_u16 v10, 0xf000, v10
	v_lshrrev_b32_e32 v9, 8, v11
	v_bfe_i32 v11, v11, 0, 8
	s_delay_alu instid0(VALU_DEP_3) | instskip(NEXT) | instid1(VALU_DEP_3)
	v_lshrrev_b32_e32 v10, 8, v10
	v_bfe_i32 v9, v9, 0, 8
	s_delay_alu instid0(VALU_DEP_3) | instskip(NEXT) | instid1(VALU_DEP_3)
	v_cvt_f16_i16_e32 v11, v11
	v_bfe_i32 v10, v10, 0, 8
	s_delay_alu instid0(VALU_DEP_3) | instskip(NEXT) | instid1(VALU_DEP_2)
	v_cvt_f16_i16_e32 v9, v9
	v_cvt_f16_i16_e32 v10, v10
	s_delay_alu instid0(VALU_DEP_2) | instskip(SKIP_1) | instid1(VALU_DEP_2)
	v_pack_b32_f16 v9, v11, v9
	v_ashrrev_i16 v11, 8, v149
	v_pk_mul_f16 v9, v9, v8
	s_delay_alu instid0(VALU_DEP_2) | instskip(NEXT) | instid1(VALU_DEP_1)
	v_cvt_f16_i16_e32 v11, v11
	v_pack_b32_f16 v10, v11, v10
	s_delay_alu instid0(VALU_DEP_1) | instskip(NEXT) | instid1(VALU_DEP_4)
	v_pk_mul_f16 v11, v10, v8
	v_pk_fma_f16 v8, v9, v123, v125
	v_pk_fma_f16 v10, v9, v124, v119
	s_delay_alu instid0(VALU_DEP_3)
	v_pk_fma_f16 v9, v11, v123, v15
	v_pk_fma_f16 v11, v11, v124, v122
	s_cbranch_scc1 .LBB9_38
; %bb.36:                               ;   in Loop: Header=BB9_27 Depth=1
	v_dual_mov_b32 v149, v120 :: v_dual_mov_b32 v119, v121
	s_branch .LBB9_27
.LBB9_37:
	v_mov_b64_e32 v[120:121], 0xfefffffffeffffff
	v_mov_b32_e32 v12, 0
	s_branch .LBB9_39
.LBB9_38:
	ds_store_b128 v131, v[8:11]
.LBB9_39:
	s_cmp_eq_u64 s[12:13], 0
	s_cselect_b32 s1, -1, 0
	s_cmp_lg_u32 s48, 0
	s_cselect_b32 s4, -1, 0
	s_delay_alu instid0(SALU_CYCLE_1) | instskip(NEXT) | instid1(SALU_CYCLE_1)
	s_or_b32 s1, s4, s1
	s_nor_b32 s0, s1, s0
	s_delay_alu instid0(SALU_CYCLE_1)
	s_and_saveexec_b32 s1, s0
	s_cbranch_execz .LBB9_41
; %bb.40:
	s_ashr_i32 s29, s28, 31
	v_cmp_eq_u32_e32 vcc_lo, 1, v127
	s_lshl_b64 s[4:5], s[28:29], 2
	s_delay_alu instid0(SALU_CYCLE_1) | instskip(SKIP_2) | instid1(VALU_DEP_1)
	s_add_nc_u64 s[4:5], s[12:13], s[4:5]
	s_load_b32 s0, s[4:5], 0x0
	v_cndmask_b32_e32 v0, v120, v121, vcc_lo
	v_max_num_f32_e32 v1, v0, v0
	s_wait_kmcnt 0x0
	v_max_num_f32_e64 v2, s0, s0
	s_delay_alu instid0(VALU_DEP_1) | instskip(NEXT) | instid1(VALU_DEP_1)
	v_max_num_f32_e32 v2, v2, v1
	v_sub_f32_e32 v4, s0, v2
	s_delay_alu instid0(VALU_DEP_1) | instskip(SKIP_1) | instid1(VALU_DEP_2)
	v_mul_f32_e32 v1, 0x3fb8aa3b, v4
	v_dual_sub_f32 v3, v0, v2 :: v_dual_cndmask_b32 v121, v121, v2, vcc_lo
	v_rndne_f32_e32 v8, v1
	s_delay_alu instid0(VALU_DEP_2) | instskip(SKIP_2) | instid1(VALU_DEP_4)
	v_mul_f32_e32 v0, 0x3fb8aa3b, v3
	v_fma_f32 v7, 0x3fb8aa3b, v4, -v1
	v_cmp_ngt_f32_e64 s0, 0xc2ce8ed0, v3
	v_sub_f32_e32 v1, v1, v8
	s_delay_alu instid0(VALU_DEP_4) | instskip(SKIP_1) | instid1(VALU_DEP_1)
	v_fma_f32 v5, 0x3fb8aa3b, v3, -v0
	v_rndne_f32_e32 v6, v0
	v_dual_fmac_f32 v5, 0x32a5705f, v3 :: v_dual_sub_f32 v0, v0, v6
	s_delay_alu instid0(VALU_DEP_1) | instskip(SKIP_2) | instid1(VALU_DEP_3)
	v_dual_fmac_f32 v7, 0x32a5705f, v4 :: v_dual_add_f32 v0, v0, v5
	v_cvt_i32_f32_e32 v5, v6
	v_cvt_i32_f32_e32 v6, v8
	v_exp_f32_e32 v0, v0
	v_nop
	s_delay_alu instid0(TRANS32_DEP_1) | instskip(SKIP_2) | instid1(VALU_DEP_3)
	v_ldexp_f32 v0, v0, v5
	v_add_f32_e32 v1, v1, v7
	v_lshl_add_u32 v5, v127, 3, v131
	v_cndmask_b32_e64 v7, 0, v0, s0
	s_delay_alu instid0(VALU_DEP_3) | instskip(SKIP_1) | instid1(TRANS32_DEP_1)
	v_exp_f32_e32 v1, v1
	v_cmp_ngt_f32_e64 s0, 0xc2ce8ed0, v4
	v_ldexp_f32 v6, v1, v6
	ds_load_b64 v[0:1], v5
	v_cndmask_b32_e64 v6, 0, v6, s0
	v_cmp_nlt_f32_e64 s0, 0x42b17218, v3
	s_delay_alu instid0(VALU_DEP_1) | instskip(SKIP_2) | instid1(VALU_DEP_2)
	v_cndmask_b32_e64 v3, 0x7f800000, v7, s0
	v_cmp_nlt_f32_e64 s0, 0x42b17218, v4
	v_cndmask_b32_e32 v7, v12, v13, vcc_lo
	v_cndmask_b32_e64 v4, 0x7f800000, v6, s0
	s_delay_alu instid0(VALU_DEP_4) | instskip(SKIP_1) | instid1(VALU_DEP_2)
	v_cvt_f16_f32_e32 v6, v3
	v_cmp_eq_u32_e64 s0, 0, v126
	v_and_b32_e32 v6, 0xffff, v6
	s_delay_alu instid0(VALU_DEP_2) | instskip(SKIP_1) | instid1(VALU_DEP_1)
	v_cndmask_b32_e64 v4, 0, v4, s0
	v_cmp_eq_u32_e64 s0, 0, v127
	v_dual_fmac_f32 v4, v7, v3 :: v_dual_cndmask_b32 v120, v120, v2, s0
	s_delay_alu instid0(VALU_DEP_4) | instskip(NEXT) | instid1(VALU_DEP_2)
	v_mul_u32_u24_e32 v3, 0x10001, v6
	v_dual_cndmask_b32 v13, v13, v4, vcc_lo :: v_dual_cndmask_b32 v12, v12, v4, s0
	s_wait_dscnt 0x0
	s_delay_alu instid0(VALU_DEP_2)
	v_pk_mul_f16 v0, v0, v3
	v_pk_mul_f16 v1, v1, v3
	ds_store_b64 v5, v[0:1]
.LBB9_41:
	s_or_b32 exec_lo, exec_lo, s1
	v_add_nc_u32_e32 v2, 0x500, v129
	v_add_nc_u32_e32 v8, 0x400, v129
	s_mov_b32 s0, exec_lo
	v_cmpx_eq_u32_e32 0, v127
	s_cbranch_execz .LBB9_43
; %bb.42:
	v_dual_mov_b32 v0, 0xfeffffff :: v_dual_mov_b32 v1, 0
	ds_store_2addr_b32 v8, v0, v0 offset1:32
	ds_store_2addr_b32 v2, v1, v1 offset1:32
.LBB9_43:
	s_or_b32 exec_lo, exec_lo, s0
	v_cmp_eq_u32_e64 s0, 0, v126
	s_wait_dscnt 0x0
	s_barrier_signal -1
	s_barrier_wait -1
	s_and_saveexec_b32 s1, s0
; %bb.44:
	v_lshlrev_b32_e32 v0, 2, v127
	s_delay_alu instid0(VALU_DEP_1)
	v_add_nc_u32_e32 v0, 0x400, v0
	ds_store_2addr_b32 v0, v120, v121 offset1:32
; %bb.45:
	s_or_b32 exec_lo, exec_lo, s1
	s_cmp_lt_i32 s33, s24
	s_add_nc_u64 s[4:5], s[2:3], 0xd0
	s_wait_dscnt 0x0
	s_barrier_signal -1
	s_barrier_wait -1
	s_cbranch_scc1 .LBB9_48
; %bb.46:
	s_add_nc_u64 s[2:3], s[2:3], 0xd0
	s_cbranch_execz .LBB9_49
; %bb.47:
	s_mov_b64 s[4:5], s[2:3]
	s_branch .LBB9_61
.LBB9_48:
                                        ; implicit-def: $sgpr2_sgpr3
.LBB9_49:
	ds_load_b32 v0, v8
	v_xor_b32_e32 v7, 1, v133
	v_xor_b32_e32 v4, 4, v133
	;; [unrolled: 1-line block ×4, first 2 shown]
	v_dual_lshlrev_b32 v17, 3, v126 :: v_dual_bitop2_b32 v5, 2, v133 bitop3:0x14
	s_delay_alu instid0(VALU_DEP_2) | instskip(SKIP_2) | instid1(VALU_DEP_2)
	v_cmp_gt_i32_e32 vcc_lo, 32, v1
	v_cndmask_b32_e32 v1, v133, v1, vcc_lo
	v_cmp_gt_i32_e32 vcc_lo, 32, v3
	v_dual_cndmask_b32 v3, v133, v3 :: v_dual_lshlrev_b32 v6, 2, v1
	v_cmp_gt_i32_e32 vcc_lo, 32, v4
	s_wait_dscnt 0x0
	ds_bpermute_b32 v1, v6, v0
	v_max_num_f32_e32 v0, v0, v0
	v_cndmask_b32_e32 v4, v133, v4, vcc_lo
	v_cmp_gt_i32_e32 vcc_lo, 32, v5
	s_delay_alu instid0(VALU_DEP_2) | instskip(SKIP_1) | instid1(VALU_DEP_2)
	v_dual_cndmask_b32 v5, v133, v5 :: v_dual_lshlrev_b32 v4, 2, v4
	v_cmp_gt_i32_e32 vcc_lo, 32, v7
	v_dual_lshlrev_b32 v5, 2, v5 :: v_dual_cndmask_b32 v7, v133, v7, vcc_lo
	s_wait_dscnt 0x0
	s_delay_alu instid0(VALU_DEP_1) | instskip(NEXT) | instid1(VALU_DEP_1)
	v_dual_lshlrev_b32 v7, 2, v7 :: v_dual_max_num_f32 v1, v1, v1
	v_dual_max_num_f32 v0, v0, v1 :: v_dual_lshlrev_b32 v3, 2, v3
	ds_bpermute_b32 v1, v3, v0
	s_wait_dscnt 0x0
	v_max_num_f32_e32 v1, v1, v1
	s_delay_alu instid0(VALU_DEP_1) | instskip(SKIP_3) | instid1(VALU_DEP_1)
	v_max_num_f32_e32 v0, v0, v1
	ds_bpermute_b32 v1, v4, v0
	s_wait_dscnt 0x0
	v_max_num_f32_e32 v1, v1, v1
	v_max_num_f32_e32 v0, v0, v1
	ds_bpermute_b32 v1, v5, v0
	s_wait_dscnt 0x0
	v_max_num_f32_e32 v1, v1, v1
	s_delay_alu instid0(VALU_DEP_1) | instskip(SKIP_3) | instid1(VALU_DEP_1)
	v_max_num_f32_e32 v0, v0, v1
	ds_bpermute_b32 v1, v7, v0
	s_wait_dscnt 0x0
	v_max_num_f32_e32 v1, v1, v1
	v_max_num_f32_e32 v0, v0, v1
	s_delay_alu instid0(VALU_DEP_1) | instskip(NEXT) | instid1(VALU_DEP_1)
	v_sub_f32_e32 v1, v120, v0
	v_mul_f32_e32 v9, 0x3fb8aa3b, v1
	v_cmp_ngt_f32_e32 vcc_lo, 0xc2ce8ed0, v1
	s_delay_alu instid0(VALU_DEP_2) | instskip(SKIP_1) | instid1(VALU_DEP_2)
	v_fma_f32 v10, 0x3fb8aa3b, v1, -v9
	v_rndne_f32_e32 v11, v9
	v_fmamk_f32 v10, v1, 0x32a5705f, v10
	s_delay_alu instid0(VALU_DEP_2) | instskip(NEXT) | instid1(VALU_DEP_1)
	v_sub_f32_e32 v9, v9, v11
	v_add_f32_e32 v9, v9, v10
	v_cvt_i32_f32_e32 v10, v11
	s_delay_alu instid0(VALU_DEP_2) | instskip(SKIP_1) | instid1(TRANS32_DEP_1)
	v_exp_f32_e32 v9, v9
	v_nop
	v_ldexp_f32 v9, v9, v10
	s_delay_alu instid0(VALU_DEP_1) | instskip(SKIP_1) | instid1(VALU_DEP_2)
	v_cndmask_b32_e32 v9, 0, v9, vcc_lo
	v_cmp_nlt_f32_e32 vcc_lo, 0x42b17218, v1
	v_cndmask_b32_e32 v1, 0x7f800000, v9, vcc_lo
	s_delay_alu instid0(VALU_DEP_1)
	v_mul_f32_e32 v9, v12, v1
	ds_bpermute_b32 v9, v6, v9
	s_wait_dscnt 0x0
	v_fmac_f32_e32 v9, v12, v1
	ds_bpermute_b32 v10, v3, v9
	s_wait_dscnt 0x0
	v_add_f32_e32 v9, v9, v10
	ds_bpermute_b32 v10, v4, v9
	s_wait_dscnt 0x0
	v_add_f32_e32 v9, v9, v10
	;; [unrolled: 3-line block ×3, first 2 shown]
	ds_load_b64 v[10:11], v131
	v_cvt_f16_f32_e32 v1, v1
	v_and_b32_e32 v9, 0x380, v17
	ds_bpermute_b32 v16, v7, v12
	v_and_b32_e32 v1, 0xffff, v1
	v_lshl_add_u32 v18, v127, 8, v9
	v_lshl_add_u32 v9, v127, 2, 0x500
	s_delay_alu instid0(VALU_DEP_3) | instskip(SKIP_1) | instid1(VALU_DEP_1)
	v_mul_u32_u24_e32 v1, 0x10001, v1
	s_wait_dscnt 0x1
	v_pk_mul_f16 v14, v10, v1
	v_pk_mul_f16 v15, v11, v1
	v_and_or_b32 v10, 0x78, v17, v18
	ds_store_b64 v131, v[14:15]
	ds_store_b64 v10, v[14:15]
	s_wait_dscnt 0x2
	v_add_f32_e32 v12, v12, v16
	s_and_saveexec_b32 s1, s0
; %bb.50:
	ds_store_b32 v9, v12
; %bb.51:
	s_or_b32 exec_lo, exec_lo, s1
	v_cmp_gt_u32_e64 s1, 64, v128
	s_mul_i32 s2, s26, s24
	s_wait_dscnt 0x0
	s_add_co_i32 s2, s33, s2
	s_barrier_signal -1
	s_barrier_wait -1
	s_and_saveexec_b32 s3, s1
	s_cbranch_execz .LBB9_53
; %bb.52:
	ds_load_b32 v15, v2
	ds_load_u16 v1, v130
	ds_load_u16 v11, v130 offset:128
	ds_load_u16 v12, v130 offset:256
	;; [unrolled: 1-line block ×7, first 2 shown]
	s_load_b32 s6, s[4:5], 0x4
	s_mul_i32 s7, s2, s25
	s_delay_alu instid0(SALU_CYCLE_1)
	s_add_co_i32 s7, s7, s28
	s_wait_dscnt 0x8
	ds_bpermute_b32 v17, v6, v15
	s_wait_dscnt 0x8
	v_cvt_f32_f16_e32 v1, v1
	s_wait_dscnt 0x7
	v_cvt_f32_f16_e32 v11, v11
	;; [unrolled: 2-line block ×4, first 2 shown]
	v_add_f32_e32 v1, 0, v1
	s_wait_kmcnt 0x0
	s_mul_i32 s7, s6, s7
	s_delay_alu instid0(SALU_CYCLE_1) | instskip(NEXT) | instid1(VALU_DEP_1)
	s_add_co_i32 s7, s7, s48
	v_add_f32_e32 v1, v1, v11
	s_cmp_eq_u32 s6, 1
	s_delay_alu instid0(VALU_DEP_1) | instskip(SKIP_1) | instid1(VALU_DEP_1)
	v_add_f32_e32 v14, v1, v12
	s_wait_dscnt 0x0
	v_pk_add_f32 v[14:15], v[14:15], v[16:17]
	v_cvt_f32_f16_e32 v16, v18
	ds_bpermute_b32 v17, v3, v15
	s_wait_dscnt 0x0
	v_pk_add_f32 v[14:15], v[14:15], v[16:17]
	v_cvt_f32_f16_e32 v16, v19
	ds_bpermute_b32 v17, v4, v15
	;; [unrolled: 4-line block ×4, first 2 shown]
	s_wait_dscnt 0x0
	v_pk_add_f32 v[14:15], v[14:15], v[16:17]
	s_delay_alu instid0(VALU_DEP_1) | instskip(NEXT) | instid1(VALU_DEP_1)
	v_div_scale_f32 v1, null, v15, v15, v14
	v_rcp_f32_e32 v11, v1
	v_nop
	s_delay_alu instid0(TRANS32_DEP_1) | instskip(NEXT) | instid1(VALU_DEP_1)
	v_fma_f32 v12, -v1, v11, 1.0
	v_fmac_f32_e32 v11, v12, v11
	v_div_scale_f32 v12, vcc_lo, v14, v15, v14
	s_delay_alu instid0(VALU_DEP_1) | instskip(NEXT) | instid1(VALU_DEP_1)
	v_mul_f32_e32 v16, v12, v11
	v_fma_f32 v17, -v1, v16, v12
	s_delay_alu instid0(VALU_DEP_1) | instskip(NEXT) | instid1(VALU_DEP_1)
	v_fmac_f32_e32 v16, v17, v11
	v_dual_fma_f32 v1, -v1, v16, v12 :: v_dual_mov_b32 v12, v15
	s_delay_alu instid0(VALU_DEP_1) | instskip(SKIP_2) | instid1(VALU_DEP_2)
	v_div_fmas_f32 v1, v1, v11, v16
	s_cselect_b32 vcc_lo, -1, 0
	v_lshl_or_b32 v11, s7, 6, v128
	v_div_fixup_f32 v1, v1, v15, v14
	s_delay_alu instid0(VALU_DEP_1)
	v_cndmask_b32_e32 v1, v14, v1, vcc_lo
	global_store_b32 v11, v1, s[16:17] scale_offset
.LBB9_53:
	s_wait_xcnt 0x0
	s_or_b32 exec_lo, exec_lo, s3
	s_or_b32 s3, s33, 1
	s_wait_storecnt 0x0
	s_cmp_ge_i32 s3, s24
	s_barrier_signal -1
	s_barrier_wait -1
	s_cbranch_scc1 .LBB9_59
; %bb.54:
	ds_load_b32 v1, v8 offset:128
	s_wait_dscnt 0x0
	ds_bpermute_b32 v8, v6, v1
	s_wait_dscnt 0x0
	v_dual_max_num_f32 v1, v1, v1 :: v_dual_max_num_f32 v8, v8, v8
	s_delay_alu instid0(VALU_DEP_1) | instskip(SKIP_3) | instid1(VALU_DEP_1)
	v_max_num_f32_e32 v1, v1, v8
	ds_bpermute_b32 v8, v3, v1
	s_wait_dscnt 0x0
	v_max_num_f32_e32 v8, v8, v8
	v_max_num_f32_e32 v1, v1, v8
	ds_bpermute_b32 v8, v4, v1
	s_wait_dscnt 0x0
	v_max_num_f32_e32 v8, v8, v8
	s_delay_alu instid0(VALU_DEP_1) | instskip(SKIP_3) | instid1(VALU_DEP_1)
	v_max_num_f32_e32 v1, v1, v8
	ds_bpermute_b32 v8, v5, v1
	s_wait_dscnt 0x0
	v_max_num_f32_e32 v8, v8, v8
	v_max_num_f32_e32 v1, v1, v8
	ds_bpermute_b32 v8, v7, v1
	s_wait_dscnt 0x0
	v_max_num_f32_e32 v8, v8, v8
	s_delay_alu instid0(VALU_DEP_1) | instskip(NEXT) | instid1(VALU_DEP_1)
	v_max_num_f32_e32 v1, v1, v8
	v_sub_f32_e32 v8, v121, v1
	s_delay_alu instid0(VALU_DEP_1) | instskip(NEXT) | instid1(VALU_DEP_1)
	v_mul_f32_e32 v11, 0x3fb8aa3b, v8
	v_fma_f32 v14, 0x3fb8aa3b, v8, -v11
	v_rndne_f32_e32 v15, v11
	s_delay_alu instid0(VALU_DEP_1) | instskip(SKIP_1) | instid1(VALU_DEP_2)
	v_dual_sub_f32 v11, v11, v15 :: v_dual_fmamk_f32 v14, v8, 0x32a5705f, v14
	v_cmp_ngt_f32_e32 vcc_lo, 0xc2ce8ed0, v8
	v_add_f32_e32 v11, v11, v14
	v_cvt_i32_f32_e32 v14, v15
	s_delay_alu instid0(VALU_DEP_2) | instskip(SKIP_1) | instid1(TRANS32_DEP_1)
	v_exp_f32_e32 v11, v11
	v_nop
	v_ldexp_f32 v11, v11, v14
	ds_load_b64 v[14:15], v131 offset:8
	v_cndmask_b32_e32 v11, 0, v11, vcc_lo
	v_cmp_nlt_f32_e32 vcc_lo, 0x42b17218, v8
	s_delay_alu instid0(VALU_DEP_2) | instskip(NEXT) | instid1(VALU_DEP_1)
	v_cndmask_b32_e32 v8, 0x7f800000, v11, vcc_lo
	v_mul_f32_e32 v11, v13, v8
	ds_bpermute_b32 v11, v6, v11
	s_wait_dscnt 0x0
	v_fmac_f32_e32 v11, v13, v8
	ds_bpermute_b32 v13, v3, v11
	s_wait_dscnt 0x0
	v_add_f32_e32 v11, v11, v13
	v_cvt_f16_f32_e32 v8, v8
	ds_bpermute_b32 v13, v4, v11
	v_and_b32_e32 v8, 0xffff, v8
	s_delay_alu instid0(VALU_DEP_1) | instskip(NEXT) | instid1(VALU_DEP_1)
	v_mul_u32_u24_e32 v8, 0x10001, v8
	v_pk_mul_f16 v14, v14, v8
	v_pk_mul_f16 v15, v15, v8
	ds_store_b64 v131, v[14:15] offset:8
	ds_store_b64 v10, v[14:15]
	s_wait_dscnt 0x2
	v_add_f32_e32 v11, v11, v13
	ds_bpermute_b32 v13, v5, v11
	s_wait_dscnt 0x0
	v_add_f32_e32 v11, v11, v13
	ds_bpermute_b32 v13, v7, v11
	s_wait_dscnt 0x0
	v_add_f32_e32 v13, v11, v13
	s_and_saveexec_b32 s3, s0
; %bb.55:
	ds_store_b32 v9, v13 offset:128
; %bb.56:
	s_or_b32 exec_lo, exec_lo, s3
	s_wait_dscnt 0x0
	s_barrier_signal -1
	s_barrier_wait -1
	s_and_saveexec_b32 s0, s1
	s_cbranch_execz .LBB9_58
; %bb.57:
	ds_load_b32 v9, v2 offset:128
	ds_load_u16 v2, v130
	ds_load_u16 v8, v130 offset:128
	ds_load_u16 v10, v130 offset:256
	ds_load_u16 v13, v130 offset:384
	ds_load_u16 v14, v130 offset:512
	ds_load_u16 v15, v130 offset:640
	ds_load_u16 v16, v130 offset:768
	ds_load_u16 v17, v130 offset:896
	s_load_b32 s1, s[4:5], 0x4
	s_add_co_i32 s2, s2, 1
	s_delay_alu instid0(SALU_CYCLE_1) | instskip(NEXT) | instid1(SALU_CYCLE_1)
	s_mul_i32 s2, s2, s25
	s_add_co_i32 s2, s2, s28
	s_wait_dscnt 0x8
	ds_bpermute_b32 v11, v6, v9
	s_wait_dscnt 0x8
	v_cvt_f32_f16_e32 v2, v2
	s_wait_dscnt 0x7
	v_cvt_f32_f16_e32 v6, v8
	;; [unrolled: 2-line block ×4, first 2 shown]
	v_add_f32_e32 v2, 0, v2
	s_wait_kmcnt 0x0
	s_mul_i32 s2, s1, s2
	s_delay_alu instid0(SALU_CYCLE_1) | instskip(NEXT) | instid1(VALU_DEP_1)
	s_add_co_i32 s2, s2, s48
	v_add_f32_e32 v2, v2, v6
	s_cmp_eq_u32 s1, 1
	s_delay_alu instid0(VALU_DEP_1) | instskip(SKIP_3) | instid1(VALU_DEP_2)
	v_add_f32_e32 v8, v2, v8
	s_wait_dscnt 0x4
	v_cvt_f32_f16_e32 v2, v14
	s_wait_dscnt 0x0
	v_pk_add_f32 v[8:9], v[8:9], v[10:11]
	ds_bpermute_b32 v3, v3, v9
	s_wait_dscnt 0x0
	v_pk_add_f32 v[2:3], v[8:9], v[2:3]
	v_cvt_f32_f16_e32 v8, v15
	ds_bpermute_b32 v9, v4, v3
	v_cvt_f32_f16_e32 v4, v16
	s_wait_dscnt 0x0
	v_pk_add_f32 v[2:3], v[2:3], v[8:9]
	ds_bpermute_b32 v5, v5, v3
	s_wait_dscnt 0x0
	v_pk_add_f32 v[2:3], v[2:3], v[4:5]
	v_cvt_f32_f16_e32 v4, v17
	ds_bpermute_b32 v5, v7, v3
	s_wait_dscnt 0x0
	v_pk_add_f32 v[2:3], v[2:3], v[4:5]
	s_delay_alu instid0(VALU_DEP_1) | instskip(SKIP_1) | instid1(VALU_DEP_2)
	v_div_scale_f32 v4, null, v3, v3, v2
	v_mov_b32_e32 v13, v3
	v_rcp_f32_e32 v5, v4
	v_nop
	s_delay_alu instid0(TRANS32_DEP_1) | instskip(NEXT) | instid1(VALU_DEP_1)
	v_fma_f32 v6, -v4, v5, 1.0
	v_fmac_f32_e32 v5, v6, v5
	v_div_scale_f32 v6, vcc_lo, v2, v3, v2
	s_delay_alu instid0(VALU_DEP_1) | instskip(NEXT) | instid1(VALU_DEP_1)
	v_mul_f32_e32 v7, v6, v5
	v_fma_f32 v8, -v4, v7, v6
	s_delay_alu instid0(VALU_DEP_1) | instskip(NEXT) | instid1(VALU_DEP_1)
	v_fmac_f32_e32 v7, v8, v5
	v_fma_f32 v4, -v4, v7, v6
	s_delay_alu instid0(VALU_DEP_1) | instskip(SKIP_2) | instid1(VALU_DEP_2)
	v_div_fmas_f32 v4, v4, v5, v7
	s_cselect_b32 vcc_lo, -1, 0
	v_lshl_or_b32 v5, s2, 6, v128
	v_div_fixup_f32 v4, v4, v3, v2
	s_delay_alu instid0(VALU_DEP_1)
	v_cndmask_b32_e32 v2, v2, v4, vcc_lo
	global_store_b32 v5, v2, s[16:17] scale_offset
.LBB9_58:
	s_wait_xcnt 0x0
	s_or_b32 exec_lo, exec_lo, s0
	s_branch .LBB9_60
.LBB9_59:
	v_mov_b32_e32 v1, v121
.LBB9_60:
	s_delay_alu instid0(VALU_DEP_1)
	v_mov_b64_e32 v[120:121], v[0:1]
.LBB9_61:
	s_load_b32 s1, s[4:5], 0x4
	v_or_b32_e32 v0, s33, v126
	v_cmp_gt_u32_e32 vcc_lo, 2, v128
	s_delay_alu instid0(VALU_DEP_2) | instskip(SKIP_3) | instid1(SALU_CYCLE_1)
	v_cmp_gt_i32_e64 s0, s24, v0
	s_wait_kmcnt 0x0
	s_cmp_lg_u32 s1, 1
	s_cselect_b32 s2, -1, 0
	s_and_b32 s2, s2, vcc_lo
	s_delay_alu instid0(SALU_CYCLE_1) | instskip(NEXT) | instid1(SALU_CYCLE_1)
	s_and_b32 s0, s2, s0
	s_and_saveexec_b32 s2, s0
	s_cbranch_execz .LBB9_63
; %bb.62:
	v_mad_u32 v0, s26, s24, v0
	v_cmp_eq_u32_e32 vcc_lo, 1, v128
	v_cndmask_b32_e32 v1, v12, v13, vcc_lo
	s_delay_alu instid0(VALU_DEP_3) | instskip(NEXT) | instid1(VALU_DEP_1)
	v_mad_u32 v0, v0, s25, s28
	v_mad_u32 v2, s1, v0, s48
	v_cndmask_b32_e32 v0, v120, v121, vcc_lo
	global_store_b64 v2, v[0:1], s[18:19] scale_offset
.LBB9_63:
	s_sendmsg sendmsg(MSG_DEALLOC_VGPRS)
	s_endpgm
	.section	.rodata,"a",@progbits
	.p2align	6, 0x0
	.amdhsa_kernel _ZL18flash_attn_ext_vecILi64ELi2EL9ggml_type6ELS0_6ELb0EEvPKcS2_S2_S2_S2_PKiPfP15HIP_vector_typeIfLj2EEffffjfiS6_IjLj3EEiiiiiiiiiiiliiliiiiil
		.amdhsa_group_segment_fixed_size 3584
		.amdhsa_private_segment_fixed_size 0
		.amdhsa_kernarg_size 464
		.amdhsa_user_sgpr_count 4
		.amdhsa_user_sgpr_dispatch_ptr 1
		.amdhsa_user_sgpr_queue_ptr 0
		.amdhsa_user_sgpr_kernarg_segment_ptr 1
		.amdhsa_user_sgpr_dispatch_id 0
		.amdhsa_user_sgpr_kernarg_preload_length 0
		.amdhsa_user_sgpr_kernarg_preload_offset 0
		.amdhsa_user_sgpr_private_segment_size 0
		.amdhsa_wavefront_size32 1
		.amdhsa_uses_dynamic_stack 0
		.amdhsa_enable_private_segment 0
		.amdhsa_system_sgpr_workgroup_id_x 1
		.amdhsa_system_sgpr_workgroup_id_y 1
		.amdhsa_system_sgpr_workgroup_id_z 1
		.amdhsa_system_sgpr_workgroup_info 0
		.amdhsa_system_vgpr_workitem_id 2
		.amdhsa_next_free_vgpr 190
		.amdhsa_next_free_sgpr 56
		.amdhsa_named_barrier_count 0
		.amdhsa_reserve_vcc 1
		.amdhsa_float_round_mode_32 0
		.amdhsa_float_round_mode_16_64 0
		.amdhsa_float_denorm_mode_32 3
		.amdhsa_float_denorm_mode_16_64 3
		.amdhsa_fp16_overflow 0
		.amdhsa_memory_ordered 1
		.amdhsa_forward_progress 1
		.amdhsa_inst_pref_size 153
		.amdhsa_round_robin_scheduling 0
		.amdhsa_exception_fp_ieee_invalid_op 0
		.amdhsa_exception_fp_denorm_src 0
		.amdhsa_exception_fp_ieee_div_zero 0
		.amdhsa_exception_fp_ieee_overflow 0
		.amdhsa_exception_fp_ieee_underflow 0
		.amdhsa_exception_fp_ieee_inexact 0
		.amdhsa_exception_int_div_zero 0
	.end_amdhsa_kernel
	.section	.text._ZL18flash_attn_ext_vecILi64ELi2EL9ggml_type6ELS0_6ELb0EEvPKcS2_S2_S2_S2_PKiPfP15HIP_vector_typeIfLj2EEffffjfiS6_IjLj3EEiiiiiiiiiiiliiliiiiil,"axG",@progbits,_ZL18flash_attn_ext_vecILi64ELi2EL9ggml_type6ELS0_6ELb0EEvPKcS2_S2_S2_S2_PKiPfP15HIP_vector_typeIfLj2EEffffjfiS6_IjLj3EEiiiiiiiiiiiliiliiiiil,comdat
.Lfunc_end9:
	.size	_ZL18flash_attn_ext_vecILi64ELi2EL9ggml_type6ELS0_6ELb0EEvPKcS2_S2_S2_S2_PKiPfP15HIP_vector_typeIfLj2EEffffjfiS6_IjLj3EEiiiiiiiiiiiliiliiiiil, .Lfunc_end9-_ZL18flash_attn_ext_vecILi64ELi2EL9ggml_type6ELS0_6ELb0EEvPKcS2_S2_S2_S2_PKiPfP15HIP_vector_typeIfLj2EEffffjfiS6_IjLj3EEiiiiiiiiiiiliiliiiiil
                                        ; -- End function
	.set _ZL18flash_attn_ext_vecILi64ELi2EL9ggml_type6ELS0_6ELb0EEvPKcS2_S2_S2_S2_PKiPfP15HIP_vector_typeIfLj2EEffffjfiS6_IjLj3EEiiiiiiiiiiiliiliiiiil.num_vgpr, 190
	.set _ZL18flash_attn_ext_vecILi64ELi2EL9ggml_type6ELS0_6ELb0EEvPKcS2_S2_S2_S2_PKiPfP15HIP_vector_typeIfLj2EEffffjfiS6_IjLj3EEiiiiiiiiiiiliiliiiiil.num_agpr, 0
	.set _ZL18flash_attn_ext_vecILi64ELi2EL9ggml_type6ELS0_6ELb0EEvPKcS2_S2_S2_S2_PKiPfP15HIP_vector_typeIfLj2EEffffjfiS6_IjLj3EEiiiiiiiiiiiliiliiiiil.numbered_sgpr, 56
	.set _ZL18flash_attn_ext_vecILi64ELi2EL9ggml_type6ELS0_6ELb0EEvPKcS2_S2_S2_S2_PKiPfP15HIP_vector_typeIfLj2EEffffjfiS6_IjLj3EEiiiiiiiiiiiliiliiiiil.num_named_barrier, 0
	.set _ZL18flash_attn_ext_vecILi64ELi2EL9ggml_type6ELS0_6ELb0EEvPKcS2_S2_S2_S2_PKiPfP15HIP_vector_typeIfLj2EEffffjfiS6_IjLj3EEiiiiiiiiiiiliiliiiiil.private_seg_size, 0
	.set _ZL18flash_attn_ext_vecILi64ELi2EL9ggml_type6ELS0_6ELb0EEvPKcS2_S2_S2_S2_PKiPfP15HIP_vector_typeIfLj2EEffffjfiS6_IjLj3EEiiiiiiiiiiiliiliiiiil.uses_vcc, 1
	.set _ZL18flash_attn_ext_vecILi64ELi2EL9ggml_type6ELS0_6ELb0EEvPKcS2_S2_S2_S2_PKiPfP15HIP_vector_typeIfLj2EEffffjfiS6_IjLj3EEiiiiiiiiiiiliiliiiiil.uses_flat_scratch, 0
	.set _ZL18flash_attn_ext_vecILi64ELi2EL9ggml_type6ELS0_6ELb0EEvPKcS2_S2_S2_S2_PKiPfP15HIP_vector_typeIfLj2EEffffjfiS6_IjLj3EEiiiiiiiiiiiliiliiiiil.has_dyn_sized_stack, 0
	.set _ZL18flash_attn_ext_vecILi64ELi2EL9ggml_type6ELS0_6ELb0EEvPKcS2_S2_S2_S2_PKiPfP15HIP_vector_typeIfLj2EEffffjfiS6_IjLj3EEiiiiiiiiiiiliiliiiiil.has_recursion, 0
	.set _ZL18flash_attn_ext_vecILi64ELi2EL9ggml_type6ELS0_6ELb0EEvPKcS2_S2_S2_S2_PKiPfP15HIP_vector_typeIfLj2EEffffjfiS6_IjLj3EEiiiiiiiiiiiliiliiiiil.has_indirect_call, 0
	.section	.AMDGPU.csdata,"",@progbits
; Kernel info:
; codeLenInByte = 19496
; TotalNumSgprs: 58
; NumVgprs: 190
; ScratchSize: 0
; MemoryBound: 0
; FloatMode: 240
; IeeeMode: 1
; LDSByteSize: 3584 bytes/workgroup (compile time only)
; SGPRBlocks: 0
; VGPRBlocks: 11
; NumSGPRsForWavesPerEU: 58
; NumVGPRsForWavesPerEU: 190
; NamedBarCnt: 0
; Occupancy: 5
; WaveLimiterHint : 0
; COMPUTE_PGM_RSRC2:SCRATCH_EN: 0
; COMPUTE_PGM_RSRC2:USER_SGPR: 4
; COMPUTE_PGM_RSRC2:TRAP_HANDLER: 0
; COMPUTE_PGM_RSRC2:TGID_X_EN: 1
; COMPUTE_PGM_RSRC2:TGID_Y_EN: 1
; COMPUTE_PGM_RSRC2:TGID_Z_EN: 1
; COMPUTE_PGM_RSRC2:TIDIG_COMP_CNT: 2
	.section	.text._ZL25flash_attn_mask_to_KV_maxILi2EEvPK7__half2Piiii,"axG",@progbits,_ZL25flash_attn_mask_to_KV_maxILi2EEvPK7__half2Piiii,comdat
	.globl	_ZL25flash_attn_mask_to_KV_maxILi2EEvPK7__half2Piiii ; -- Begin function _ZL25flash_attn_mask_to_KV_maxILi2EEvPK7__half2Piiii
	.p2align	8
	.type	_ZL25flash_attn_mask_to_KV_maxILi2EEvPK7__half2Piiii,@function
_ZL25flash_attn_mask_to_KV_maxILi2EEvPK7__half2Piiii: ; @_ZL25flash_attn_mask_to_KV_maxILi2EEvPK7__half2Piiii
; %bb.0:
	s_load_b128 s[4:7], s[0:1], 0x0
	s_mov_b32 s2, exec_lo
	v_cmpx_gt_u32_e32 32, v0
; %bb.1:
	v_dual_mov_b32 v2, 1 :: v_dual_lshlrev_b32 v1, 2, v0
	ds_store_b32 v1, v2
; %bb.2:
	s_or_b32 exec_lo, exec_lo, s2
	s_clause 0x1
	s_load_b96 s[8:10], s[0:1], 0x10
	s_load_b32 s11, s[0:1], 0x20
	s_wait_xcnt 0x0
	s_bfe_u32 s1, ttmp6, 0x4000c
	s_bfe_u32 s2, ttmp6, 0x40010
	s_add_co_i32 s1, s1, 1
	s_add_co_i32 s2, s2, 1
	s_and_b32 s0, ttmp6, 15
	s_bfe_u32 s3, ttmp6, 0x40004
	s_mul_i32 s1, ttmp9, s1
	s_mul_i32 s2, ttmp7, s2
	s_getreg_b32 s12, hwreg(HW_REG_IB_STS2, 6, 4)
	s_add_co_i32 s0, s0, s1
	s_add_co_i32 s3, s3, s2
	s_cmp_eq_u32 s12, 0
	v_dual_lshrrev_b32 v1, 3, v0 :: v_dual_bitop2_b32 v2, 31, v0 bitop3:0x40
	s_cselect_b32 s1, ttmp9, s0
	s_cselect_b32 s12, ttmp7, s3
	s_wait_dscnt 0x0
	s_barrier_signal -1
	s_wait_kmcnt 0x0
	s_mul_i32 s0, s1, s9
	s_mul_i32 s2, s10, s12
	s_lshl_b32 s0, s0, 1
	s_barrier_wait -1
	s_add_co_i32 s2, s2, s0
	v_cmp_eq_u32_e64 s0, 0, v2
	s_ashr_i32 s3, s2, 31
	v_lshlrev_b32_e32 v2, 2, v2
	s_lshl_b64 s[2:3], s[2:3], 2
	s_delay_alu instid0(SALU_CYCLE_1)
	s_add_nc_u64 s[2:3], s[4:5], s[2:3]
	s_lshl_b32 s5, s8, 8
	s_branch .LBB10_4
.LBB10_3:                               ;   in Loop: Header=BB10_4 Depth=1
	s_or_b32 exec_lo, exec_lo, s8
	s_wait_dscnt 0x0
	s_barrier_signal -1
	s_barrier_wait -1
	ds_load_b32 v3, v2
	s_wait_dscnt 0x0
	s_barrier_signal -1
	s_barrier_wait -1
	v_cmp_ne_u32_e32 vcc_lo, 0, v3
	s_cmp_lg_u32 vcc_lo, exec_lo
	s_cselect_b32 s8, -1, 0
	s_delay_alu instid0(SALU_CYCLE_1)
	s_and_b32 vcc_lo, exec_lo, s8
	s_cbranch_vccnz .LBB10_12
.LBB10_4:                               ; =>This Inner Loop Header: Depth=1
	s_mov_b32 s4, s5
	s_addk_co_i32 s5, 0xff00
	s_delay_alu instid0(SALU_CYCLE_1)
	s_cmp_lt_i32 s5, 0
	s_cbranch_scc1 .LBB10_11
; %bb.5:                                ;   in Loop: Header=BB10_4 Depth=1
	s_lshr_b32 s8, s5, 1
	s_delay_alu instid0(SALU_CYCLE_1) | instskip(SKIP_4) | instid1(VALU_DEP_2)
	v_add_nc_u32_e32 v3, s8, v0
	global_load_b32 v4, v3, s[2:3] scale_offset
	s_wait_loadcnt 0x0
	v_lshrrev_b32_e32 v5, 16, v4
	v_cmp_class_f16_e64 s8, v4, 0x204
	v_cmp_class_f16_e64 s10, v5, 0x204
	s_and_b32 s13, s8, s10
	s_mov_b32 s10, 0
	s_and_saveexec_b32 s8, s13
	s_cbranch_execz .LBB10_9
; %bb.6:                                ;   in Loop: Header=BB10_4 Depth=1
	v_add_nc_u32_e32 v3, s9, v3
	global_load_b32 v3, v3, s[2:3] scale_offset
	s_wait_loadcnt 0x0
	v_cmp_class_f16_e64 s14, v3, 0x204
	s_and_saveexec_b32 s13, s14
; %bb.7:                                ;   in Loop: Header=BB10_4 Depth=1
	v_lshrrev_b32_e32 v3, 16, v3
	s_delay_alu instid0(VALU_DEP_1)
	v_cmp_class_f16_e64 s10, v3, 0x204
	s_and_b32 s10, s10, exec_lo
; %bb.8:                                ;   in Loop: Header=BB10_4 Depth=1
	s_or_b32 exec_lo, exec_lo, s13
	s_delay_alu instid0(SALU_CYCLE_1)
	s_and_b32 s10, s10, exec_lo
.LBB10_9:                               ;   in Loop: Header=BB10_4 Depth=1
	s_or_b32 exec_lo, exec_lo, s8
	v_cndmask_b32_e64 v3, 0, 1, s10
	s_mov_b32 s13, exec_lo
	s_delay_alu instid0(VALU_DEP_1)
	v_cmp_ne_u32_e32 vcc_lo, 0, v3
	s_and_saveexec_b32 s8, s0
	s_cbranch_execz .LBB10_3
; %bb.10:                               ;   in Loop: Header=BB10_4 Depth=1
	s_cmp_eq_u32 vcc_lo, s13
	s_cselect_b32 s10, -1, 0
	s_delay_alu instid0(SALU_CYCLE_1)
	v_cndmask_b32_e64 v3, 0, 1, s10
	ds_store_b32 v1, v3
	s_branch .LBB10_3
.LBB10_11:                              ;   in Loop: Header=BB10_4 Depth=1
	s_cbranch_execz .LBB10_4
.LBB10_12:
	s_mov_b32 s0, exec_lo
	v_cmpx_eq_u32_e32 0, v0
	s_cbranch_execz .LBB10_14
; %bb.13:
	s_mul_i32 s0, s11, s12
	v_mov_b32_e32 v1, s4
	s_add_co_i32 s0, s0, s1
	s_delay_alu instid0(SALU_CYCLE_1)
	v_mov_b32_e32 v0, s0
	global_store_b32 v0, v1, s[6:7] scale_offset
.LBB10_14:
	s_endpgm
	.section	.rodata,"a",@progbits
	.p2align	6, 0x0
	.amdhsa_kernel _ZL25flash_attn_mask_to_KV_maxILi2EEvPK7__half2Piiii
		.amdhsa_group_segment_fixed_size 128
		.amdhsa_private_segment_fixed_size 0
		.amdhsa_kernarg_size 288
		.amdhsa_user_sgpr_count 2
		.amdhsa_user_sgpr_dispatch_ptr 0
		.amdhsa_user_sgpr_queue_ptr 0
		.amdhsa_user_sgpr_kernarg_segment_ptr 1
		.amdhsa_user_sgpr_dispatch_id 0
		.amdhsa_user_sgpr_kernarg_preload_length 0
		.amdhsa_user_sgpr_kernarg_preload_offset 0
		.amdhsa_user_sgpr_private_segment_size 0
		.amdhsa_wavefront_size32 1
		.amdhsa_uses_dynamic_stack 0
		.amdhsa_enable_private_segment 0
		.amdhsa_system_sgpr_workgroup_id_x 1
		.amdhsa_system_sgpr_workgroup_id_y 1
		.amdhsa_system_sgpr_workgroup_id_z 0
		.amdhsa_system_sgpr_workgroup_info 0
		.amdhsa_system_vgpr_workitem_id 0
		.amdhsa_next_free_vgpr 6
		.amdhsa_next_free_sgpr 15
		.amdhsa_named_barrier_count 0
		.amdhsa_reserve_vcc 1
		.amdhsa_float_round_mode_32 0
		.amdhsa_float_round_mode_16_64 0
		.amdhsa_float_denorm_mode_32 3
		.amdhsa_float_denorm_mode_16_64 3
		.amdhsa_fp16_overflow 0
		.amdhsa_memory_ordered 1
		.amdhsa_forward_progress 1
		.amdhsa_inst_pref_size 5
		.amdhsa_round_robin_scheduling 0
		.amdhsa_exception_fp_ieee_invalid_op 0
		.amdhsa_exception_fp_denorm_src 0
		.amdhsa_exception_fp_ieee_div_zero 0
		.amdhsa_exception_fp_ieee_overflow 0
		.amdhsa_exception_fp_ieee_underflow 0
		.amdhsa_exception_fp_ieee_inexact 0
		.amdhsa_exception_int_div_zero 0
	.end_amdhsa_kernel
	.section	.text._ZL25flash_attn_mask_to_KV_maxILi2EEvPK7__half2Piiii,"axG",@progbits,_ZL25flash_attn_mask_to_KV_maxILi2EEvPK7__half2Piiii,comdat
.Lfunc_end10:
	.size	_ZL25flash_attn_mask_to_KV_maxILi2EEvPK7__half2Piiii, .Lfunc_end10-_ZL25flash_attn_mask_to_KV_maxILi2EEvPK7__half2Piiii
                                        ; -- End function
	.set _ZL25flash_attn_mask_to_KV_maxILi2EEvPK7__half2Piiii.num_vgpr, 6
	.set _ZL25flash_attn_mask_to_KV_maxILi2EEvPK7__half2Piiii.num_agpr, 0
	.set _ZL25flash_attn_mask_to_KV_maxILi2EEvPK7__half2Piiii.numbered_sgpr, 15
	.set _ZL25flash_attn_mask_to_KV_maxILi2EEvPK7__half2Piiii.num_named_barrier, 0
	.set _ZL25flash_attn_mask_to_KV_maxILi2EEvPK7__half2Piiii.private_seg_size, 0
	.set _ZL25flash_attn_mask_to_KV_maxILi2EEvPK7__half2Piiii.uses_vcc, 1
	.set _ZL25flash_attn_mask_to_KV_maxILi2EEvPK7__half2Piiii.uses_flat_scratch, 0
	.set _ZL25flash_attn_mask_to_KV_maxILi2EEvPK7__half2Piiii.has_dyn_sized_stack, 0
	.set _ZL25flash_attn_mask_to_KV_maxILi2EEvPK7__half2Piiii.has_recursion, 0
	.set _ZL25flash_attn_mask_to_KV_maxILi2EEvPK7__half2Piiii.has_indirect_call, 0
	.section	.AMDGPU.csdata,"",@progbits
; Kernel info:
; codeLenInByte = 548
; TotalNumSgprs: 17
; NumVgprs: 6
; ScratchSize: 0
; MemoryBound: 0
; FloatMode: 240
; IeeeMode: 1
; LDSByteSize: 128 bytes/workgroup (compile time only)
; SGPRBlocks: 0
; VGPRBlocks: 0
; NumSGPRsForWavesPerEU: 17
; NumVGPRsForWavesPerEU: 6
; NamedBarCnt: 0
; Occupancy: 16
; WaveLimiterHint : 0
; COMPUTE_PGM_RSRC2:SCRATCH_EN: 0
; COMPUTE_PGM_RSRC2:USER_SGPR: 2
; COMPUTE_PGM_RSRC2:TRAP_HANDLER: 0
; COMPUTE_PGM_RSRC2:TGID_X_EN: 1
; COMPUTE_PGM_RSRC2:TGID_Y_EN: 1
; COMPUTE_PGM_RSRC2:TGID_Z_EN: 0
; COMPUTE_PGM_RSRC2:TIDIG_COMP_CNT: 0
	.section	.text._ZL33flash_attn_stream_k_fixup_uniformILi64ELi2ELi1EEvPfPK15HIP_vector_typeIfLj2EEiiiiiiS1_IjLj3EES5_S5_,"axG",@progbits,_ZL33flash_attn_stream_k_fixup_uniformILi64ELi2ELi1EEvPfPK15HIP_vector_typeIfLj2EEiiiiiiS1_IjLj3EES5_S5_,comdat
	.globl	_ZL33flash_attn_stream_k_fixup_uniformILi64ELi2ELi1EEvPfPK15HIP_vector_typeIfLj2EEiiiiiiS1_IjLj3EES5_S5_ ; -- Begin function _ZL33flash_attn_stream_k_fixup_uniformILi64ELi2ELi1EEvPfPK15HIP_vector_typeIfLj2EEiiiiiiS1_IjLj3EES5_S5_
	.p2align	8
	.type	_ZL33flash_attn_stream_k_fixup_uniformILi64ELi2ELi1EEvPfPK15HIP_vector_typeIfLj2EEiiiiiiS1_IjLj3EES5_S5_,@function
_ZL33flash_attn_stream_k_fixup_uniformILi64ELi2ELi1EEvPfPK15HIP_vector_typeIfLj2EEiiiiiiS1_IjLj3EES5_S5_: ; @_ZL33flash_attn_stream_k_fixup_uniformILi64ELi2ELi1EEvPfPK15HIP_vector_typeIfLj2EEiiiiiiS1_IjLj3EES5_S5_
; %bb.0:
	s_load_b256 s[4:11], s[0:1], 0x1c
	s_bfe_u32 s2, ttmp6, 0x40014
	s_lshr_b32 s3, ttmp7, 16
	s_add_co_i32 s2, s2, 1
	s_bfe_u32 s13, ttmp6, 0x40010
	s_mul_i32 s2, s3, s2
	s_bfe_u32 s12, ttmp6, 0x40008
	s_and_b32 s14, ttmp7, 0xffff
	s_add_co_i32 s13, s13, 1
	s_bfe_u32 s15, ttmp6, 0x4000c
	s_add_co_i32 s2, s12, s2
	s_mul_i32 s12, s14, s13
	s_bfe_u32 s13, ttmp6, 0x40004
	s_add_co_i32 s15, s15, 1
	s_add_co_i32 s13, s13, s12
	s_and_b32 s12, ttmp6, 15
	s_mul_i32 s15, ttmp9, s15
	s_getreg_b32 s20, hwreg(HW_REG_IB_STS2, 6, 4)
	s_add_co_i32 s12, s12, s15
	s_load_b128 s[16:19], s[0:1], 0x3c
	s_cmp_eq_u32 s20, 0
	s_cselect_b32 s12, ttmp9, s12
	s_cselect_b32 s13, s14, s13
	s_wait_kmcnt 0x0
	s_mul_hi_u32 s7, s7, s12
	s_cselect_b32 s14, s3, s2
	s_add_co_i32 s2, s12, s7
	s_delay_alu instid0(SALU_CYCLE_1) | instskip(NEXT) | instid1(SALU_CYCLE_1)
	s_lshr_b32 s7, s2, s8
	s_mul_i32 s2, s7, s9
	s_delay_alu instid0(SALU_CYCLE_1) | instskip(NEXT) | instid1(SALU_CYCLE_1)
	s_sub_co_i32 s8, s12, s2
	s_mul_hi_u32 s2, s8, s10
	s_delay_alu instid0(SALU_CYCLE_1) | instskip(SKIP_2) | instid1(SALU_CYCLE_1)
	s_add_co_i32 s9, s8, s2
	s_load_b64 s[2:3], s[0:1], 0x10
	s_lshr_b32 s15, s9, s11
	s_mul_i32 s9, s15, s16
	s_delay_alu instid0(SALU_CYCLE_1) | instskip(NEXT) | instid1(SALU_CYCLE_1)
	s_sub_co_i32 s8, s8, s9
	s_mul_hi_u32 s9, s8, s17
	s_delay_alu instid0(SALU_CYCLE_1) | instskip(NEXT) | instid1(SALU_CYCLE_1)
	s_add_co_i32 s9, s8, s9
	s_lshr_b32 s16, s9, s18
	s_delay_alu instid0(SALU_CYCLE_1) | instskip(NEXT) | instid1(SALU_CYCLE_1)
	s_mul_i32 s9, s16, s19
	s_sub_co_i32 s17, s8, s9
	s_delay_alu instid0(SALU_CYCLE_1) | instskip(NEXT) | instid1(SALU_CYCLE_1)
	s_lshl_b32 s8, s17, 1
	s_add_co_i32 s8, s8, s13
	s_wait_kmcnt 0x0
	s_cmp_lt_i32 s8, s2
	s_cselect_b32 s8, -1, 0
	s_add_co_i32 s9, s16, s14
	s_delay_alu instid0(SALU_CYCLE_1) | instskip(SKIP_1) | instid1(SALU_CYCLE_1)
	s_cmp_lt_i32 s9, s5
	s_cselect_b32 s9, -1, 0
	s_and_b32 s8, s8, s9
	s_delay_alu instid0(SALU_CYCLE_1)
	s_and_not1_b32 vcc_lo, exec_lo, s8
	s_cbranch_vccnz .LBB11_6
; %bb.1:
	s_mul_i32 s2, s7, s2
	s_load_b128 s[8:11], s[0:1], 0x0
	s_wait_xcnt 0x0
	s_add_co_i32 s0, s2, s13
	s_mul_i32 s15, s15, s5
	s_mul_i32 s0, s0, s3
	;; [unrolled: 1-line block ×3, first 2 shown]
	s_add_co_i32 s0, s0, s14
	s_lshl_b32 s1, s1, 7
	s_add_co_i32 s0, s0, s15
	s_mul_i32 s7, s6, s12
	s_add_co_i32 s0, s0, s16
	s_add_co_i32 s5, s7, s6
	s_lshl_b32 s0, s0, 6
	s_add_co_i32 s13, s13, s14
	s_add_co_i32 s1, s1, s0
	s_lshl_b32 s0, s5, 1
	v_or_b32_e32 v4, s1, v0
	s_add_co_i32 s0, s13, s0
	s_add_co_i32 s2, s5, -2
	s_add_co_i32 s0, s0, -2
	s_delay_alu instid0(SALU_CYCLE_1)
	s_ashr_i32 s1, s0, 31
	s_wait_kmcnt 0x0
	global_load_b32 v3, v4, s[8:9] scale_offset
	s_lshl_b64 s[0:1], s[0:1], 3
	v_ashrrev_i32_e32 v5, 31, v4
	s_add_nc_u64 s[0:1], s[10:11], s[0:1]
	s_cmp_lt_i32 s2, s7
	s_load_b32 s14, s[0:1], 0x4
	s_cbranch_scc1 .LBB11_4
; %bb.2:
	s_wait_xcnt 0x0
	s_load_b32 s0, s[0:1], 0x0
	s_add_co_i32 s12, s12, 1
	s_lshl_b32 s3, s13, 6
	s_wait_xcnt 0x0
	s_mul_i32 s1, s6, s12
	s_lshl_b32 s2, s4, 3
	s_lshl_b32 s6, s1, 7
	;; [unrolled: 1-line block ×3, first 2 shown]
	s_add_co_i32 s6, s3, s6
	s_ashr_i32 s3, s2, 31
	s_wait_kmcnt 0x0
	v_dual_mov_b32 v2, s14 :: v_dual_bitop2_b32 v0, s6, v0 bitop3:0x54
	s_add_co_i32 s1, s13, s1
	s_lshl_b32 s4, s4, 1
	s_lshl_b64 s[2:3], s[2:3], 2
	s_delay_alu instid0(VALU_DEP_1)
	v_add_nc_u32_e32 v0, 0xffffff00, v0
	s_add_co_i32 s4, s1, s4
	s_add_nc_u64 s[2:3], s[10:11], s[2:3]
	s_add_co_i32 s1, s5, -1
	s_add_co_i32 s4, s4, -4
.LBB11_3:                               ; =>This Inner Loop Header: Depth=1
	global_load_b32 v7, v0, s[2:3] scale_offset
	s_ashr_i32 s5, s4, 31
	v_max_num_f32_e64 v1, s0, s0
	s_lshl_b64 s[12:13], s[4:5], 3
	s_delay_alu instid0(SALU_CYCLE_1) | instskip(SKIP_1) | instid1(VALU_DEP_1)
	s_add_nc_u64 s[12:13], s[10:11], s[12:13]
	s_load_b64 s[12:13], s[12:13], 0x0
	v_readfirstlane_b32 s5, v1
	v_add_nc_u32_e32 v0, 0xffffff80, v0
	s_wait_kmcnt 0x0
	v_max_num_f32_e64 v1, s12, s12
	s_delay_alu instid0(VALU_DEP_1) | instskip(SKIP_1) | instid1(SALU_CYCLE_3)
	v_readfirstlane_b32 s6, v1
	s_max_num_f32 s5, s5, s6
	s_sub_f32 s0, s0, s5
	s_sub_f32 s6, s12, s5
	s_delay_alu instid0(SALU_CYCLE_2) | instskip(NEXT) | instid1(SALU_CYCLE_2)
	s_mul_f32 s12, s0, 0x3fb8aa3b
	s_mul_f32 s14, s6, 0x3fb8aa3b
	s_delay_alu instid0(SALU_CYCLE_2)
	s_xor_b32 s15, s12, 0x80000000
	s_rndne_f32 s16, s12
	s_fmamk_f32 s15, s0, 0x3fb8aa3b, s15
	s_cmp_nlt_f32 s0, 0xc2ce8ed0
	s_rndne_f32 s17, s14
	s_sub_f32 s12, s12, s16
	s_fmamk_f32 s15, s0, 0x32a5705f, s15
	s_cselect_b32 vcc_lo, -1, 0
	s_cmp_ngt_f32 s0, 0x42b17218
	s_delay_alu instid0(SALU_CYCLE_1) | instskip(SKIP_2) | instid1(SALU_CYCLE_1)
	s_add_f32 s12, s12, s15
	s_cvt_i32_f32 s15, s16
	s_sub_f32 s16, s14, s17
	v_s_exp_f32 s12, s12
	v_nop
	s_delay_alu instid0(TRANS32_DEP_1) | instskip(SKIP_1) | instid1(VALU_DEP_1)
	v_ldexp_f32 v1, s12, s15
	s_cvt_i32_f32 s12, s17
	v_cndmask_b32_e32 v1, 0, v1, vcc_lo
	s_cselect_b32 vcc_lo, -1, 0
	s_cmp_ge_f32 s0, 0xc1a00000
	s_delay_alu instid0(VALU_DEP_1)
	v_cndmask_b32_e32 v1, 0x7f800000, v1, vcc_lo
	s_cselect_b32 vcc_lo, -1, 0
	s_xor_b32 s0, s14, 0x80000000
	s_cmp_nlt_f32 s6, 0xc2ce8ed0
	s_fmamk_f32 s0, s6, 0x3fb8aa3b, s0
	v_cndmask_b32_e32 v10, 0, v1, vcc_lo
	s_delay_alu instid0(SALU_CYCLE_2) | instskip(NEXT) | instid1(SALU_CYCLE_3)
	s_fmamk_f32 s0, s6, 0x32a5705f, s0
	s_add_f32 s0, s16, s0
	s_delay_alu instid0(SALU_CYCLE_3) | instskip(SKIP_1) | instid1(TRANS32_DEP_1)
	v_s_exp_f32 s0, s0
	v_nop
	v_ldexp_f32 v6, s0, s12
	s_cselect_b32 s0, -1, 0
	s_cmp_ngt_f32 s6, 0x42b17218
	s_delay_alu instid0(VALU_DEP_1) | instskip(SKIP_2) | instid1(VALU_DEP_1)
	v_cndmask_b32_e64 v6, 0, v6, s0
	s_cselect_b32 s0, -1, 0
	s_cmp_ge_f32 s6, 0xc1a00000
	v_cndmask_b32_e64 v8, 0x7f800000, v6, s0
	s_cselect_b32 s0, -1, 0
	v_mov_b32_e32 v6, s13
	s_add_co_i32 s1, s1, -1
	s_add_co_i32 s4, s4, -2
	v_cndmask_b32_e64 v8, 0, v8, s0
	s_cmp_le_i32 s1, s7
	s_mov_b32 s0, s5
	s_wait_loadcnt 0x0
	s_delay_alu instid0(VALU_DEP_1) | instskip(NEXT) | instid1(VALU_DEP_1)
	v_pk_mul_f32 v[6:7], v[6:7], v[8:9] op_sel_hi:[1,0]
	v_pk_fma_f32 v[2:3], v[2:3], v[10:11], v[6:7] op_sel_hi:[1,0,1]
	s_cbranch_scc0 .LBB11_3
	s_branch .LBB11_5
.LBB11_4:
	s_wait_kmcnt 0x0
	v_mov_b32_e32 v2, s14
.LBB11_5:
	v_lshl_add_u64 v[0:1], v[4:5], 2, s[8:9]
	s_wait_loadcnt 0x0
	s_delay_alu instid0(VALU_DEP_2) | instskip(NEXT) | instid1(VALU_DEP_1)
	v_div_scale_f32 v4, null, v2, v2, v3
	v_rcp_f32_e32 v5, v4
	v_nop
	s_delay_alu instid0(TRANS32_DEP_1) | instskip(NEXT) | instid1(VALU_DEP_1)
	v_fma_f32 v6, -v4, v5, 1.0
	v_fmac_f32_e32 v5, v6, v5
	v_div_scale_f32 v6, vcc_lo, v3, v2, v3
	s_delay_alu instid0(VALU_DEP_1) | instskip(NEXT) | instid1(VALU_DEP_1)
	v_mul_f32_e32 v7, v6, v5
	v_fma_f32 v8, -v4, v7, v6
	s_delay_alu instid0(VALU_DEP_1) | instskip(NEXT) | instid1(VALU_DEP_1)
	v_fmac_f32_e32 v7, v8, v5
	v_fma_f32 v4, -v4, v7, v6
	s_delay_alu instid0(VALU_DEP_1) | instskip(NEXT) | instid1(VALU_DEP_1)
	v_div_fmas_f32 v4, v4, v5, v7
	v_div_fixup_f32 v2, v4, v2, v3
	global_store_b32 v[0:1], v2, off
.LBB11_6:
	s_endpgm
	.section	.rodata,"a",@progbits
	.p2align	6, 0x0
	.amdhsa_kernel _ZL33flash_attn_stream_k_fixup_uniformILi64ELi2ELi1EEvPfPK15HIP_vector_typeIfLj2EEiiiiiiS1_IjLj3EES5_S5_
		.amdhsa_group_segment_fixed_size 0
		.amdhsa_private_segment_fixed_size 0
		.amdhsa_kernarg_size 76
		.amdhsa_user_sgpr_count 2
		.amdhsa_user_sgpr_dispatch_ptr 0
		.amdhsa_user_sgpr_queue_ptr 0
		.amdhsa_user_sgpr_kernarg_segment_ptr 1
		.amdhsa_user_sgpr_dispatch_id 0
		.amdhsa_user_sgpr_kernarg_preload_length 0
		.amdhsa_user_sgpr_kernarg_preload_offset 0
		.amdhsa_user_sgpr_private_segment_size 0
		.amdhsa_wavefront_size32 1
		.amdhsa_uses_dynamic_stack 0
		.amdhsa_enable_private_segment 0
		.amdhsa_system_sgpr_workgroup_id_x 1
		.amdhsa_system_sgpr_workgroup_id_y 1
		.amdhsa_system_sgpr_workgroup_id_z 1
		.amdhsa_system_sgpr_workgroup_info 0
		.amdhsa_system_vgpr_workitem_id 0
		.amdhsa_next_free_vgpr 12
		.amdhsa_next_free_sgpr 21
		.amdhsa_named_barrier_count 0
		.amdhsa_reserve_vcc 1
		.amdhsa_float_round_mode_32 0
		.amdhsa_float_round_mode_16_64 0
		.amdhsa_float_denorm_mode_32 3
		.amdhsa_float_denorm_mode_16_64 3
		.amdhsa_fp16_overflow 0
		.amdhsa_memory_ordered 1
		.amdhsa_forward_progress 1
		.amdhsa_inst_pref_size 9
		.amdhsa_round_robin_scheduling 0
		.amdhsa_exception_fp_ieee_invalid_op 0
		.amdhsa_exception_fp_denorm_src 0
		.amdhsa_exception_fp_ieee_div_zero 0
		.amdhsa_exception_fp_ieee_overflow 0
		.amdhsa_exception_fp_ieee_underflow 0
		.amdhsa_exception_fp_ieee_inexact 0
		.amdhsa_exception_int_div_zero 0
	.end_amdhsa_kernel
	.section	.text._ZL33flash_attn_stream_k_fixup_uniformILi64ELi2ELi1EEvPfPK15HIP_vector_typeIfLj2EEiiiiiiS1_IjLj3EES5_S5_,"axG",@progbits,_ZL33flash_attn_stream_k_fixup_uniformILi64ELi2ELi1EEvPfPK15HIP_vector_typeIfLj2EEiiiiiiS1_IjLj3EES5_S5_,comdat
.Lfunc_end11:
	.size	_ZL33flash_attn_stream_k_fixup_uniformILi64ELi2ELi1EEvPfPK15HIP_vector_typeIfLj2EEiiiiiiS1_IjLj3EES5_S5_, .Lfunc_end11-_ZL33flash_attn_stream_k_fixup_uniformILi64ELi2ELi1EEvPfPK15HIP_vector_typeIfLj2EEiiiiiiS1_IjLj3EES5_S5_
                                        ; -- End function
	.set _ZL33flash_attn_stream_k_fixup_uniformILi64ELi2ELi1EEvPfPK15HIP_vector_typeIfLj2EEiiiiiiS1_IjLj3EES5_S5_.num_vgpr, 12
	.set _ZL33flash_attn_stream_k_fixup_uniformILi64ELi2ELi1EEvPfPK15HIP_vector_typeIfLj2EEiiiiiiS1_IjLj3EES5_S5_.num_agpr, 0
	.set _ZL33flash_attn_stream_k_fixup_uniformILi64ELi2ELi1EEvPfPK15HIP_vector_typeIfLj2EEiiiiiiS1_IjLj3EES5_S5_.numbered_sgpr, 21
	.set _ZL33flash_attn_stream_k_fixup_uniformILi64ELi2ELi1EEvPfPK15HIP_vector_typeIfLj2EEiiiiiiS1_IjLj3EES5_S5_.num_named_barrier, 0
	.set _ZL33flash_attn_stream_k_fixup_uniformILi64ELi2ELi1EEvPfPK15HIP_vector_typeIfLj2EEiiiiiiS1_IjLj3EES5_S5_.private_seg_size, 0
	.set _ZL33flash_attn_stream_k_fixup_uniformILi64ELi2ELi1EEvPfPK15HIP_vector_typeIfLj2EEiiiiiiS1_IjLj3EES5_S5_.uses_vcc, 1
	.set _ZL33flash_attn_stream_k_fixup_uniformILi64ELi2ELi1EEvPfPK15HIP_vector_typeIfLj2EEiiiiiiS1_IjLj3EES5_S5_.uses_flat_scratch, 0
	.set _ZL33flash_attn_stream_k_fixup_uniformILi64ELi2ELi1EEvPfPK15HIP_vector_typeIfLj2EEiiiiiiS1_IjLj3EES5_S5_.has_dyn_sized_stack, 0
	.set _ZL33flash_attn_stream_k_fixup_uniformILi64ELi2ELi1EEvPfPK15HIP_vector_typeIfLj2EEiiiiiiS1_IjLj3EES5_S5_.has_recursion, 0
	.set _ZL33flash_attn_stream_k_fixup_uniformILi64ELi2ELi1EEvPfPK15HIP_vector_typeIfLj2EEiiiiiiS1_IjLj3EES5_S5_.has_indirect_call, 0
	.section	.AMDGPU.csdata,"",@progbits
; Kernel info:
; codeLenInByte = 1080
; TotalNumSgprs: 23
; NumVgprs: 12
; ScratchSize: 0
; MemoryBound: 0
; FloatMode: 240
; IeeeMode: 1
; LDSByteSize: 0 bytes/workgroup (compile time only)
; SGPRBlocks: 0
; VGPRBlocks: 0
; NumSGPRsForWavesPerEU: 23
; NumVGPRsForWavesPerEU: 12
; NamedBarCnt: 0
; Occupancy: 16
; WaveLimiterHint : 0
; COMPUTE_PGM_RSRC2:SCRATCH_EN: 0
; COMPUTE_PGM_RSRC2:USER_SGPR: 2
; COMPUTE_PGM_RSRC2:TRAP_HANDLER: 0
; COMPUTE_PGM_RSRC2:TGID_X_EN: 1
; COMPUTE_PGM_RSRC2:TGID_Y_EN: 1
; COMPUTE_PGM_RSRC2:TGID_Z_EN: 1
; COMPUTE_PGM_RSRC2:TIDIG_COMP_CNT: 0
	.section	.text._ZL33flash_attn_stream_k_fixup_generalILi64ELi2ELi1EEvPfPK15HIP_vector_typeIfLj2EEiiiiS1_IjLj3EES5_S5_S5_,"axG",@progbits,_ZL33flash_attn_stream_k_fixup_generalILi64ELi2ELi1EEvPfPK15HIP_vector_typeIfLj2EEiiiiS1_IjLj3EES5_S5_S5_,comdat
	.globl	_ZL33flash_attn_stream_k_fixup_generalILi64ELi2ELi1EEvPfPK15HIP_vector_typeIfLj2EEiiiiS1_IjLj3EES5_S5_S5_ ; -- Begin function _ZL33flash_attn_stream_k_fixup_generalILi64ELi2ELi1EEvPfPK15HIP_vector_typeIfLj2EEiiiiS1_IjLj3EES5_S5_S5_
	.p2align	8
	.type	_ZL33flash_attn_stream_k_fixup_generalILi64ELi2ELi1EEvPfPK15HIP_vector_typeIfLj2EEiiiiS1_IjLj3EES5_S5_S5_,@function
_ZL33flash_attn_stream_k_fixup_generalILi64ELi2ELi1EEvPfPK15HIP_vector_typeIfLj2EEiiiiS1_IjLj3EES5_S5_S5_: ; @_ZL33flash_attn_stream_k_fixup_generalILi64ELi2ELi1EEvPfPK15HIP_vector_typeIfLj2EEiiiiS1_IjLj3EES5_S5_S5_
; %bb.0:
	s_clause 0x1
	s_load_b128 s[4:7], s[0:1], 0x10
	s_load_b32 s16, s[0:1], 0x50
	s_bfe_u32 s2, ttmp6, 0x4000c
	s_and_b32 s3, ttmp6, 15
	s_add_co_i32 s2, s2, 1
	s_getreg_b32 s15, hwreg(HW_REG_IB_STS2, 6, 4)
	s_mul_i32 s2, ttmp9, s2
	s_mov_b32 s17, 0
	s_add_co_i32 s3, s3, s2
	s_cmp_eq_u32 s15, 0
	s_cselect_b32 s2, ttmp9, s3
	s_delay_alu instid0(SALU_CYCLE_1) | instskip(SKIP_3) | instid1(SALU_CYCLE_1)
	s_ashr_i32 s3, s2, 31
	s_wait_kmcnt 0x0
	s_ashr_i32 s19, s7, 31
	s_mov_b32 s18, s7
	s_mul_u64 s[8:9], s[18:19], s[2:3]
	s_delay_alu instid0(SALU_CYCLE_1) | instskip(NEXT) | instid1(SALU_CYCLE_1)
	s_and_b64 s[10:11], s[8:9], 0xffffffff00000000
	s_cmp_lg_u64 s[10:11], 0
	s_cbranch_scc0 .LBB12_21
; %bb.1:
	s_add_nc_u64 s[10:11], s[16:17], 0
	s_mov_b32 s23, s17
	s_xor_b64 s[10:11], s[10:11], 0
	s_mov_b32 s27, s17
	s_cvt_f32_u32 s3, s10
	s_cvt_f32_u32 s7, s11
	s_sub_nc_u64 s[20:21], 0, s[10:11]
	s_delay_alu instid0(SALU_CYCLE_2) | instskip(NEXT) | instid1(SALU_CYCLE_3)
	s_fmamk_f32 s3, s7, 0x4f800000, s3
	v_s_rcp_f32 s3, s3
	s_delay_alu instid0(TRANS32_DEP_1) | instskip(NEXT) | instid1(SALU_CYCLE_3)
	s_mul_f32 s3, s3, 0x5f7ffffc
	s_mul_f32 s7, s3, 0x2f800000
	s_delay_alu instid0(SALU_CYCLE_3) | instskip(NEXT) | instid1(SALU_CYCLE_3)
	s_trunc_f32 s7, s7
	s_fmamk_f32 s3, s7, 0xcf800000, s3
	s_cvt_u32_f32 s13, s7
	s_delay_alu instid0(SALU_CYCLE_2) | instskip(NEXT) | instid1(SALU_CYCLE_3)
	s_cvt_u32_f32 s12, s3
	s_mul_u64 s[24:25], s[20:21], s[12:13]
	s_delay_alu instid0(SALU_CYCLE_1)
	s_mul_hi_u32 s29, s12, s25
	s_mul_i32 s28, s12, s25
	s_mul_hi_u32 s22, s12, s24
	s_mul_i32 s7, s13, s24
	s_add_nc_u64 s[22:23], s[22:23], s[28:29]
	s_mul_hi_u32 s3, s13, s24
	s_mul_hi_u32 s14, s13, s25
	s_add_co_u32 s7, s22, s7
	s_add_co_ci_u32 s26, s23, s3
	s_mul_i32 s24, s13, s25
	s_add_co_ci_u32 s25, s14, 0
	s_delay_alu instid0(SALU_CYCLE_1) | instskip(SKIP_3) | instid1(SALU_CYCLE_1)
	s_add_nc_u64 s[22:23], s[26:27], s[24:25]
	s_mov_b32 s25, s17
	s_add_co_u32 s12, s12, s22
	s_cselect_b32 s3, -1, 0
	s_cmp_lg_u32 s3, 0
	s_add_co_ci_u32 s13, s13, s23
	s_mov_b32 s23, s17
	s_mul_u64 s[20:21], s[20:21], s[12:13]
	s_delay_alu instid0(SALU_CYCLE_1)
	s_mul_hi_u32 s27, s12, s21
	s_mul_i32 s26, s12, s21
	s_mul_hi_u32 s22, s12, s20
	s_mul_i32 s7, s13, s20
	s_add_nc_u64 s[22:23], s[22:23], s[26:27]
	s_mul_hi_u32 s3, s13, s20
	s_mul_hi_u32 s14, s13, s21
	s_add_co_u32 s7, s22, s7
	s_add_co_ci_u32 s24, s23, s3
	s_mul_i32 s20, s13, s21
	s_add_co_ci_u32 s21, s14, 0
	s_mov_b32 s23, s17
	s_add_nc_u64 s[20:21], s[24:25], s[20:21]
	s_delay_alu instid0(SALU_CYCLE_1) | instskip(SKIP_1) | instid1(SALU_CYCLE_1)
	s_add_co_u32 s3, s12, s20
	s_cselect_b32 s7, -1, 0
	s_cmp_lg_u32 s7, 0
	s_add_co_ci_u32 s7, s13, s21
	s_ashr_i32 s12, s9, 31
	s_delay_alu instid0(SALU_CYCLE_1) | instskip(NEXT) | instid1(SALU_CYCLE_1)
	s_mov_b32 s13, s12
	s_add_nc_u64 s[20:21], s[8:9], s[12:13]
	s_delay_alu instid0(SALU_CYCLE_1) | instskip(NEXT) | instid1(SALU_CYCLE_1)
	s_xor_b64 s[20:21], s[20:21], s[12:13]
	s_mul_hi_u32 s27, s20, s7
	s_mul_i32 s26, s20, s7
	s_mul_hi_u32 s22, s20, s3
	s_mul_hi_u32 s14, s21, s3
	s_mul_i32 s3, s21, s3
	s_add_nc_u64 s[22:23], s[22:23], s[26:27]
	s_mul_hi_u32 s9, s21, s7
	s_add_co_u32 s3, s22, s3
	s_add_co_ci_u32 s24, s23, s14
	s_mul_i32 s26, s21, s7
	s_add_co_ci_u32 s27, s9, 0
	s_delay_alu instid0(SALU_CYCLE_1) | instskip(NEXT) | instid1(SALU_CYCLE_1)
	s_add_nc_u64 s[22:23], s[24:25], s[26:27]
	s_and_b64 s[24:25], s[22:23], 0xffffffff00000000
	s_delay_alu instid0(SALU_CYCLE_1) | instskip(NEXT) | instid1(SALU_CYCLE_1)
	s_or_b32 s24, s24, s22
	s_mul_u64 s[22:23], s[10:11], s[24:25]
	s_add_nc_u64 s[26:27], s[24:25], 1
	s_sub_co_u32 s3, s20, s22
	s_cselect_b32 s7, -1, 0
	s_sub_co_i32 s9, s21, s23
	s_cmp_lg_u32 s7, 0
	s_add_nc_u64 s[28:29], s[24:25], 2
	s_sub_co_ci_u32 s9, s9, s11
	s_sub_co_u32 s14, s3, s10
	s_cselect_b32 s20, -1, 0
	s_delay_alu instid0(SALU_CYCLE_1) | instskip(SKIP_1) | instid1(SALU_CYCLE_1)
	s_cmp_lg_u32 s20, 0
	s_sub_co_ci_u32 s9, s9, 0
	s_cmp_ge_u32 s9, s11
	s_cselect_b32 s20, -1, 0
	s_cmp_ge_u32 s14, s10
	s_cselect_b32 s14, -1, 0
	s_cmp_eq_u32 s9, s11
	s_cselect_b32 s9, s14, s20
	s_delay_alu instid0(SALU_CYCLE_1) | instskip(SKIP_4) | instid1(SALU_CYCLE_1)
	s_cmp_lg_u32 s9, 0
	s_cselect_b32 s9, s28, s26
	s_cselect_b32 s14, s29, s27
	s_cmp_lg_u32 s7, 0
	s_sub_co_ci_u32 s7, s21, s23
	s_cmp_ge_u32 s7, s11
	s_cselect_b32 s20, -1, 0
	s_cmp_ge_u32 s3, s10
	s_cselect_b32 s3, -1, 0
	s_cmp_eq_u32 s7, s11
	s_cselect_b32 s3, s3, s20
	s_delay_alu instid0(SALU_CYCLE_1) | instskip(SKIP_4) | instid1(SALU_CYCLE_1)
	s_cmp_lg_u32 s3, 0
	s_mov_b32 s3, s17
	s_cselect_b32 s11, s14, s25
	s_cselect_b32 s10, s9, s24
	s_xor_b64 s[12:13], s[12:13], 0
	s_xor_b64 s[10:11], s[10:11], s[12:13]
	s_delay_alu instid0(SALU_CYCLE_1)
	s_sub_nc_u64 s[20:21], s[10:11], s[12:13]
	s_and_not1_b32 vcc_lo, exec_lo, s3
	s_cbranch_vccnz .LBB12_3
.LBB12_2:
	v_cvt_f32_u32_e32 v1, s16
	s_sub_co_i32 s7, 0, s16
	s_mov_b32 s21, 0
	s_delay_alu instid0(VALU_DEP_1) | instskip(SKIP_1) | instid1(TRANS32_DEP_1)
	v_rcp_iflag_f32_e32 v1, v1
	v_nop
	v_mul_f32_e32 v1, 0x4f7ffffe, v1
	s_delay_alu instid0(VALU_DEP_1) | instskip(NEXT) | instid1(VALU_DEP_1)
	v_cvt_u32_f32_e32 v1, v1
	v_readfirstlane_b32 s3, v1
	s_mul_i32 s7, s7, s3
	s_delay_alu instid0(SALU_CYCLE_1) | instskip(NEXT) | instid1(SALU_CYCLE_1)
	s_mul_hi_u32 s7, s3, s7
	s_add_co_i32 s3, s3, s7
	s_delay_alu instid0(SALU_CYCLE_1) | instskip(NEXT) | instid1(SALU_CYCLE_1)
	s_mul_hi_u32 s3, s8, s3
	s_mul_i32 s7, s3, s16
	s_delay_alu instid0(SALU_CYCLE_1)
	s_sub_co_i32 s7, s8, s7
	s_add_co_i32 s8, s3, 1
	s_sub_co_i32 s9, s7, s16
	s_cmp_ge_u32 s7, s16
	s_cselect_b32 s3, s8, s3
	s_cselect_b32 s7, s9, s7
	s_add_co_i32 s8, s3, 1
	s_cmp_ge_u32 s7, s16
	s_cselect_b32 s20, s8, s3
.LBB12_3:
	s_add_co_i32 s8, s2, 1
	s_delay_alu instid0(SALU_CYCLE_1) | instskip(NEXT) | instid1(SALU_CYCLE_1)
	s_ashr_i32 s9, s8, 31
	s_mul_u64 s[8:9], s[18:19], s[8:9]
	s_delay_alu instid0(SALU_CYCLE_1) | instskip(NEXT) | instid1(SALU_CYCLE_1)
	s_and_b64 s[10:11], s[8:9], 0xffffffff00000000
	s_cmp_lg_u64 s[10:11], 0
	s_cbranch_scc0 .LBB12_22
; %bb.4:
	s_add_nc_u64 s[10:11], s[16:17], 0
	s_delay_alu instid0(SALU_CYCLE_1) | instskip(SKIP_4) | instid1(SALU_CYCLE_2)
	s_xor_b64 s[12:13], s[10:11], 0
	s_mov_b32 s11, 0
	s_cvt_f32_u32 s3, s12
	s_cvt_f32_u32 s7, s13
	s_sub_nc_u64 s[24:25], 0, s[12:13]
	s_fmamk_f32 s3, s7, 0x4f800000, s3
	s_delay_alu instid0(SALU_CYCLE_3) | instskip(NEXT) | instid1(TRANS32_DEP_1)
	v_s_rcp_f32 s3, s3
	s_mul_f32 s3, s3, 0x5f7ffffc
	s_delay_alu instid0(SALU_CYCLE_3) | instskip(NEXT) | instid1(SALU_CYCLE_3)
	s_mul_f32 s7, s3, 0x2f800000
	s_trunc_f32 s7, s7
	s_delay_alu instid0(SALU_CYCLE_3) | instskip(SKIP_1) | instid1(SALU_CYCLE_2)
	s_fmamk_f32 s3, s7, 0xcf800000, s3
	s_cvt_u32_f32 s23, s7
	s_cvt_u32_f32 s22, s3
	s_delay_alu instid0(SALU_CYCLE_3) | instskip(NEXT) | instid1(SALU_CYCLE_1)
	s_mul_u64 s[26:27], s[24:25], s[22:23]
	s_mul_hi_u32 s29, s22, s27
	s_mul_i32 s28, s22, s27
	s_mul_hi_u32 s10, s22, s26
	s_mul_i32 s7, s23, s26
	s_add_nc_u64 s[28:29], s[10:11], s[28:29]
	s_mul_hi_u32 s3, s23, s26
	s_mul_hi_u32 s14, s23, s27
	s_add_co_u32 s7, s28, s7
	s_add_co_ci_u32 s10, s29, s3
	s_mul_i32 s26, s23, s27
	s_add_co_ci_u32 s27, s14, 0
	s_delay_alu instid0(SALU_CYCLE_1) | instskip(NEXT) | instid1(SALU_CYCLE_1)
	s_add_nc_u64 s[26:27], s[10:11], s[26:27]
	s_add_co_u32 s22, s22, s26
	s_cselect_b32 s3, -1, 0
	s_delay_alu instid0(SALU_CYCLE_1) | instskip(SKIP_1) | instid1(SALU_CYCLE_1)
	s_cmp_lg_u32 s3, 0
	s_add_co_ci_u32 s23, s23, s27
	s_mul_u64 s[24:25], s[24:25], s[22:23]
	s_delay_alu instid0(SALU_CYCLE_1)
	s_mul_hi_u32 s27, s22, s25
	s_mul_i32 s26, s22, s25
	s_mul_hi_u32 s10, s22, s24
	s_mul_i32 s7, s23, s24
	s_add_nc_u64 s[26:27], s[10:11], s[26:27]
	s_mul_hi_u32 s3, s23, s24
	s_mul_hi_u32 s14, s23, s25
	s_add_co_u32 s7, s26, s7
	s_add_co_ci_u32 s10, s27, s3
	s_mul_i32 s24, s23, s25
	s_add_co_ci_u32 s25, s14, 0
	s_delay_alu instid0(SALU_CYCLE_1) | instskip(NEXT) | instid1(SALU_CYCLE_1)
	s_add_nc_u64 s[24:25], s[10:11], s[24:25]
	s_add_co_u32 s3, s22, s24
	s_cselect_b32 s7, -1, 0
	s_delay_alu instid0(SALU_CYCLE_1) | instskip(SKIP_2) | instid1(SALU_CYCLE_1)
	s_cmp_lg_u32 s7, 0
	s_add_co_ci_u32 s7, s23, s25
	s_ashr_i32 s22, s9, 31
	s_mov_b32 s23, s22
	s_delay_alu instid0(SALU_CYCLE_1) | instskip(NEXT) | instid1(SALU_CYCLE_1)
	s_add_nc_u64 s[24:25], s[8:9], s[22:23]
	s_xor_b64 s[24:25], s[24:25], s[22:23]
	s_delay_alu instid0(SALU_CYCLE_1)
	s_mul_hi_u32 s27, s24, s7
	s_mul_i32 s26, s24, s7
	s_mul_hi_u32 s10, s24, s3
	s_mul_hi_u32 s14, s25, s3
	s_mul_i32 s3, s25, s3
	s_add_nc_u64 s[26:27], s[10:11], s[26:27]
	s_mul_hi_u32 s9, s25, s7
	s_add_co_u32 s3, s26, s3
	s_add_co_ci_u32 s10, s27, s14
	s_mul_i32 s28, s25, s7
	s_add_co_ci_u32 s29, s9, 0
	s_delay_alu instid0(SALU_CYCLE_1) | instskip(NEXT) | instid1(SALU_CYCLE_1)
	s_add_nc_u64 s[26:27], s[10:11], s[28:29]
	s_and_b64 s[28:29], s[26:27], 0xffffffff00000000
	s_delay_alu instid0(SALU_CYCLE_1) | instskip(NEXT) | instid1(SALU_CYCLE_1)
	s_or_b32 s28, s28, s26
	s_mul_u64 s[26:27], s[12:13], s[28:29]
	s_add_nc_u64 s[30:31], s[28:29], 1
	s_sub_co_u32 s3, s24, s26
	s_cselect_b32 s7, -1, 0
	s_sub_co_i32 s9, s25, s27
	s_cmp_lg_u32 s7, 0
	s_add_nc_u64 s[34:35], s[28:29], 2
	s_sub_co_ci_u32 s9, s9, s13
	s_sub_co_u32 s10, s3, s12
	s_cselect_b32 s14, -1, 0
	s_delay_alu instid0(SALU_CYCLE_1) | instskip(SKIP_1) | instid1(SALU_CYCLE_1)
	s_cmp_lg_u32 s14, 0
	s_sub_co_ci_u32 s9, s9, 0
	s_cmp_ge_u32 s9, s13
	s_cselect_b32 s14, -1, 0
	s_cmp_ge_u32 s10, s12
	s_cselect_b32 s10, -1, 0
	s_cmp_eq_u32 s9, s13
	s_cselect_b32 s9, s10, s14
	s_delay_alu instid0(SALU_CYCLE_1) | instskip(SKIP_4) | instid1(SALU_CYCLE_1)
	s_cmp_lg_u32 s9, 0
	s_cselect_b32 s9, s34, s30
	s_cselect_b32 s10, s35, s31
	s_cmp_lg_u32 s7, 0
	s_sub_co_ci_u32 s7, s25, s27
	s_cmp_ge_u32 s7, s13
	s_cselect_b32 s14, -1, 0
	s_cmp_ge_u32 s3, s12
	s_cselect_b32 s3, -1, 0
	s_cmp_eq_u32 s7, s13
	s_cselect_b32 s3, s3, s14
	s_delay_alu instid0(SALU_CYCLE_1) | instskip(SKIP_3) | instid1(SALU_CYCLE_1)
	s_cmp_lg_u32 s3, 0
	s_cselect_b32 s13, s10, s29
	s_cselect_b32 s12, s9, s28
	s_xor_b64 s[22:23], s[22:23], 0
	s_xor_b64 s[12:13], s[12:13], s[22:23]
	s_delay_alu instid0(SALU_CYCLE_1)
	s_sub_nc_u64 s[24:25], s[12:13], s[22:23]
	s_load_b96 s[12:14], s[0:1], 0x44
	s_cbranch_execnz .LBB12_6
.LBB12_5:
	v_cvt_f32_u32_e32 v1, s16
	s_sub_co_i32 s7, 0, s16
	s_delay_alu instid0(VALU_DEP_1) | instskip(SKIP_1) | instid1(TRANS32_DEP_1)
	v_rcp_iflag_f32_e32 v1, v1
	v_nop
	v_mul_f32_e32 v1, 0x4f7ffffe, v1
	s_delay_alu instid0(VALU_DEP_1) | instskip(NEXT) | instid1(VALU_DEP_1)
	v_cvt_u32_f32_e32 v1, v1
	v_readfirstlane_b32 s3, v1
	s_mul_i32 s7, s7, s3
	s_delay_alu instid0(SALU_CYCLE_1) | instskip(NEXT) | instid1(SALU_CYCLE_1)
	s_mul_hi_u32 s7, s3, s7
	s_add_co_i32 s3, s3, s7
	s_delay_alu instid0(SALU_CYCLE_1) | instskip(NEXT) | instid1(SALU_CYCLE_1)
	s_mul_hi_u32 s3, s8, s3
	s_mul_i32 s7, s3, s16
	s_delay_alu instid0(SALU_CYCLE_1)
	s_sub_co_i32 s7, s8, s7
	s_add_co_i32 s8, s3, 1
	s_sub_co_i32 s9, s7, s16
	s_cmp_ge_u32 s7, s16
	s_cselect_b32 s3, s8, s3
	s_cselect_b32 s7, s9, s7
	s_add_co_i32 s8, s3, 1
	s_cmp_ge_u32 s7, s16
	s_cselect_b32 s24, s8, s3
.LBB12_6:
	s_delay_alu instid0(SALU_CYCLE_1)
	s_cmp_eq_u32 s20, s24
	s_mov_b64 s[8:9], 0xffffffff
	s_cselect_b32 s3, -1, 0
	s_and_b64 s[8:9], s[20:21], s[8:9]
	s_mov_b32 s23, 0
	s_wait_kmcnt 0x0
	s_mov_b32 s22, s12
	s_mov_b32 s25, s23
	s_mul_u64 s[10:11], s[8:9], s[22:23]
	s_delay_alu instid0(SALU_CYCLE_1) | instskip(SKIP_2) | instid1(SALU_CYCLE_1)
	s_add_co_i32 s7, s11, s20
	s_mul_u64 s[10:11], s[24:25], s[22:23]
	s_lshr_b32 s12, s7, s13
	s_mul_i32 s7, s12, s14
	s_delay_alu instid0(SALU_CYCLE_1) | instskip(SKIP_2) | instid1(SALU_CYCLE_1)
	s_cmp_eq_u32 s7, s20
	s_cselect_b32 s7, -1, 0
	s_add_co_i32 s10, s11, s24
	s_lshr_b32 s10, s10, s13
	s_delay_alu instid0(SALU_CYCLE_1)
	s_cmp_eq_u32 s12, s10
	s_mul_i32 s10, s10, s14
	s_cselect_b32 s11, -1, 0
	s_cmp_lg_u32 s10, s24
	s_cselect_b32 s10, -1, 0
	s_or_b32 s3, s3, s7
	s_and_b32 s10, s11, s10
	s_delay_alu instid0(SALU_CYCLE_1) | instskip(NEXT) | instid1(SALU_CYCLE_1)
	s_or_b32 s3, s3, s10
	s_and_b32 vcc_lo, exec_lo, s3
	s_cbranch_vccnz .LBB12_24
; %bb.7:
	s_load_b256 s[24:31], s[0:1], 0x20
	s_bfe_u32 s7, ttmp6, 0x40014
	s_bfe_u32 s33, ttmp6, 0x40010
	s_lshr_b32 s3, ttmp7, 16
	s_add_co_i32 s7, s7, 1
	s_and_b32 s21, ttmp7, 0xffff
	s_add_co_i32 s33, s33, 1
	s_bfe_u32 s10, ttmp6, 0x40008
	s_mul_i32 s7, s3, s7
	s_bfe_u32 s34, ttmp6, 0x40004
	s_mul_i32 s33, s21, s33
	s_mov_b32 s11, s23
	s_add_co_i32 s7, s10, s7
	s_add_co_i32 s34, s34, s33
	s_cmp_eq_u32 s15, 0
	s_cselect_b32 s15, s21, s34
	s_cselect_b32 s3, s3, s7
	s_wait_kmcnt 0x0
	s_mov_b32 s10, s24
	s_delay_alu instid0(SALU_CYCLE_1) | instskip(SKIP_2) | instid1(SALU_CYCLE_1)
	s_mul_u64 s[8:9], s[8:9], s[10:11]
	s_load_b32 s8, s[0:1], 0x40
	s_add_co_i32 s7, s9, s20
	s_lshr_b32 s7, s7, s25
	s_delay_alu instid0(SALU_CYCLE_1) | instskip(NEXT) | instid1(SALU_CYCLE_1)
	s_mul_i32 s9, s7, s26
	s_sub_co_i32 s9, s20, s9
	s_delay_alu instid0(SALU_CYCLE_1) | instskip(NEXT) | instid1(SALU_CYCLE_1)
	s_mul_hi_u32 s10, s9, s27
	s_add_co_i32 s10, s9, s10
	s_delay_alu instid0(SALU_CYCLE_1) | instskip(NEXT) | instid1(SALU_CYCLE_1)
	s_lshr_b32 s21, s10, s28
	s_mul_i32 s10, s21, s29
	s_delay_alu instid0(SALU_CYCLE_1) | instskip(NEXT) | instid1(SALU_CYCLE_1)
	s_sub_co_i32 s10, s9, s10
	s_mul_hi_u32 s9, s10, s30
	s_delay_alu instid0(SALU_CYCLE_1) | instskip(NEXT) | instid1(SALU_CYCLE_1)
	s_add_co_i32 s9, s10, s9
	s_lshr_b32 s24, s9, s31
	s_mov_b32 s9, s23
	s_wait_kmcnt 0x0
	s_mul_i32 s8, s24, s8
	s_delay_alu instid0(SALU_CYCLE_1) | instskip(NEXT) | instid1(SALU_CYCLE_1)
	s_sub_co_i32 s8, s10, s8
	s_mul_u64 s[10:11], s[8:9], s[22:23]
	s_delay_alu instid0(SALU_CYCLE_1) | instskip(NEXT) | instid1(SALU_CYCLE_1)
	s_add_co_i32 s8, s8, s11
	s_lshr_b32 s25, s8, s13
	s_delay_alu instid0(SALU_CYCLE_1) | instskip(NEXT) | instid1(SALU_CYCLE_1)
	s_lshl_b32 s8, s25, 1
	s_add_co_i32 s8, s8, s15
	s_delay_alu instid0(SALU_CYCLE_1) | instskip(SKIP_2) | instid1(SALU_CYCLE_1)
	s_cmp_lt_i32 s8, s4
	s_cselect_b32 s8, -1, 0
	s_add_co_i32 s9, s24, s3
	s_cmp_lt_i32 s9, s6
	s_cselect_b32 s9, -1, 0
	s_delay_alu instid0(SALU_CYCLE_1) | instskip(NEXT) | instid1(SALU_CYCLE_1)
	s_and_b32 s8, s8, s9
	s_and_not1_b32 vcc_lo, exec_lo, s8
	s_cbranch_vccnz .LBB12_24
; %bb.8:
	s_mul_i32 s4, s7, s4
	s_load_b128 s[8:11], s[0:1], 0x0
	s_wait_xcnt 0x0
	s_add_co_i32 s0, s4, s15
	s_mul_i32 s21, s21, s6
	s_mul_i32 s0, s0, s5
	;; [unrolled: 1-line block ×3, first 2 shown]
	s_add_co_i32 s0, s0, s3
	s_lshl_b32 s1, s1, 7
	s_add_co_i32 s0, s0, s21
	s_add_co_i32 s15, s15, s3
	;; [unrolled: 1-line block ×3, first 2 shown]
	v_lshl_or_b32 v6, s15, 6, v0
	s_lshl_b32 s0, s0, 6
	v_cvt_f32_u32_e32 v4, s16
	s_add_co_i32 s1, s1, s0
	s_lshl_b32 s24, s16, 3
	v_or_b32_e32 v2, s1, v0
	s_add_nc_u64 s[0:1], s[16:17], 0
	v_rcp_iflag_f32_e32 v4, v4
	s_xor_b64 s[6:7], s[0:1], 0
	s_lshl_b32 s0, s2, 1
	s_cvt_f32_u32 s3, s6
	s_add_co_i32 s0, s0, s15
	s_cvt_f32_u32 s4, s7
	s_ashr_i32 s1, s0, 31
	s_mov_b32 s25, 0
	s_lshl_b64 s[0:1], s[0:1], 3
	s_fmamk_f32 s3, s4, 0x4f800000, s3
	s_wait_kmcnt 0x0
	s_add_nc_u64 s[0:1], s[10:11], s[0:1]
	s_add_co_i32 s36, s2, -1
	s_load_b64 s[28:29], s[0:1], 0x0
	v_s_rcp_f32 s3, s3
	s_wait_xcnt 0x0
	s_lshl_b64 s[0:1], s[24:25], 2
	s_sub_nc_u64 s[34:35], 0, s[6:7]
	s_add_nc_u64 s[26:27], s[10:11], s[0:1]
	v_mul_f32_e32 v4, 0x4f7ffffe, v4
	s_delay_alu instid0(TRANS32_DEP_1) | instskip(NEXT) | instid1(VALU_DEP_1)
	s_mul_f32 s3, s3, 0x5f7ffffc
	v_cvt_u32_f32_e32 v7, v4
	s_delay_alu instid0(SALU_CYCLE_2) | instskip(NEXT) | instid1(SALU_CYCLE_3)
	s_mul_f32 s4, s3, 0x2f800000
	s_trunc_f32 s4, s4
	s_wait_kmcnt 0x0
	v_mov_b32_e32 v0, s29
	global_load_b32 v1, v2, s[8:9] scale_offset
	v_ashrrev_i32_e32 v3, 31, v2
	s_fmamk_f32 s0, s4, 0xcf800000, s3
	s_cvt_u32_f32 s31, s4
	s_wait_xcnt 0x0
	s_delay_alu instid0(VALU_DEP_1)
	v_lshl_add_u64 v[2:3], v[2:3], 2, s[8:9]
	s_cvt_u32_f32 s30, s0
	s_mov_b64 s[8:9], 0xffffffff
.LBB12_9:                               ; =>This Inner Loop Header: Depth=1
	s_ashr_i32 s37, s36, 31
                                        ; implicit-def: $sgpr40_sgpr41
	s_delay_alu instid0(SALU_CYCLE_1) | instskip(NEXT) | instid1(SALU_CYCLE_1)
	s_mul_u64 s[0:1], s[36:37], s[18:19]
	s_and_b64 s[2:3], s[0:1], 0xffffffff00000000
	s_delay_alu instid0(SALU_CYCLE_1)
	s_cmp_lg_u64 s[2:3], 0
	s_mov_b32 s2, -1
	s_cbranch_scc0 .LBB12_11
; %bb.10:                               ;   in Loop: Header=BB12_9 Depth=1
	s_mul_u64 s[2:3], s[34:35], s[30:31]
	s_delay_alu instid0(SALU_CYCLE_1)
	s_mul_hi_u32 s5, s30, s3
	s_mul_i32 s4, s30, s3
	s_mul_hi_u32 s24, s30, s2
	s_mul_hi_u32 s17, s31, s2
	s_add_nc_u64 s[4:5], s[24:25], s[4:5]
	s_mul_i32 s2, s31, s2
	s_mul_hi_u32 s21, s31, s3
	s_add_co_u32 s2, s4, s2
	s_add_co_ci_u32 s24, s5, s17
	s_add_co_ci_u32 s5, s21, 0
	s_mul_i32 s4, s31, s3
	s_delay_alu instid0(SALU_CYCLE_1) | instskip(NEXT) | instid1(SALU_CYCLE_1)
	s_add_nc_u64 s[2:3], s[24:25], s[4:5]
	s_add_co_u32 s2, s30, s2
	s_cselect_b32 s4, -1, 0
	s_delay_alu instid0(SALU_CYCLE_1) | instskip(SKIP_1) | instid1(SALU_CYCLE_1)
	s_cmp_lg_u32 s4, 0
	s_add_co_ci_u32 s3, s31, s3
	s_mul_u64 s[4:5], s[34:35], s[2:3]
	s_delay_alu instid0(SALU_CYCLE_1)
	s_mul_hi_u32 s39, s2, s5
	s_mul_i32 s38, s2, s5
	s_mul_hi_u32 s24, s2, s4
	s_mul_hi_u32 s17, s3, s4
	s_mul_i32 s4, s3, s4
	s_add_nc_u64 s[38:39], s[24:25], s[38:39]
	s_mul_hi_u32 s21, s3, s5
	s_add_co_u32 s4, s38, s4
	s_add_co_ci_u32 s24, s39, s17
	s_mul_i32 s4, s3, s5
	s_add_co_ci_u32 s5, s21, 0
	s_delay_alu instid0(SALU_CYCLE_1) | instskip(NEXT) | instid1(SALU_CYCLE_1)
	s_add_nc_u64 s[4:5], s[24:25], s[4:5]
	s_add_co_u32 s17, s2, s4
	s_cselect_b32 s2, -1, 0
	s_delay_alu instid0(SALU_CYCLE_1) | instskip(SKIP_2) | instid1(SALU_CYCLE_1)
	s_cmp_lg_u32 s2, 0
	s_add_co_ci_u32 s21, s3, s5
	s_ashr_i32 s2, s1, 31
	s_mov_b32 s3, s2
	s_delay_alu instid0(SALU_CYCLE_1) | instskip(NEXT) | instid1(SALU_CYCLE_1)
	s_add_nc_u64 s[4:5], s[0:1], s[2:3]
	s_xor_b64 s[4:5], s[4:5], s[2:3]
	s_delay_alu instid0(SALU_CYCLE_1)
	s_mul_hi_u32 s39, s4, s21
	s_mul_i32 s38, s4, s21
	s_mul_hi_u32 s24, s4, s17
	s_mul_hi_u32 s29, s5, s17
	s_mul_i32 s17, s5, s17
	s_add_nc_u64 s[38:39], s[24:25], s[38:39]
	s_mul_hi_u32 s1, s5, s21
	s_add_co_u32 s17, s38, s17
	s_add_co_ci_u32 s24, s39, s29
	s_mul_i32 s40, s5, s21
	s_add_co_ci_u32 s41, s1, 0
	s_delay_alu instid0(SALU_CYCLE_1) | instskip(NEXT) | instid1(SALU_CYCLE_1)
	s_add_nc_u64 s[38:39], s[24:25], s[40:41]
	s_and_b64 s[40:41], s[38:39], 0xffffffff00000000
	s_delay_alu instid0(SALU_CYCLE_1) | instskip(NEXT) | instid1(SALU_CYCLE_1)
	s_or_b32 s40, s40, s38
	s_mul_u64 s[38:39], s[6:7], s[40:41]
	s_add_nc_u64 s[42:43], s[40:41], 1
	s_sub_co_u32 s1, s4, s38
	s_cselect_b32 s4, -1, 0
	s_sub_co_i32 s17, s5, s39
	s_cmp_lg_u32 s4, 0
	s_add_nc_u64 s[44:45], s[40:41], 2
	s_sub_co_ci_u32 s17, s17, s7
	s_sub_co_u32 s21, s1, s6
	s_cselect_b32 s24, -1, 0
	s_delay_alu instid0(SALU_CYCLE_1) | instskip(SKIP_1) | instid1(SALU_CYCLE_1)
	s_cmp_lg_u32 s24, 0
	s_sub_co_ci_u32 s17, s17, 0
	s_cmp_ge_u32 s17, s7
	s_cselect_b32 s24, -1, 0
	s_cmp_ge_u32 s21, s6
	s_cselect_b32 s21, -1, 0
	s_cmp_eq_u32 s17, s7
	s_cselect_b32 s17, s21, s24
	s_delay_alu instid0(SALU_CYCLE_1) | instskip(SKIP_4) | instid1(SALU_CYCLE_1)
	s_cmp_lg_u32 s17, 0
	s_cselect_b32 s17, s44, s42
	s_cselect_b32 s21, s45, s43
	s_cmp_lg_u32 s4, 0
	s_sub_co_ci_u32 s4, s5, s39
	s_cmp_ge_u32 s4, s7
	s_cselect_b32 s5, -1, 0
	s_cmp_ge_u32 s1, s6
	s_cselect_b32 s1, -1, 0
	s_cmp_eq_u32 s4, s7
	s_cselect_b32 s1, s1, s5
	s_delay_alu instid0(SALU_CYCLE_1) | instskip(SKIP_3) | instid1(SALU_CYCLE_1)
	s_cmp_lg_u32 s1, 0
	s_cselect_b32 s5, s21, s41
	s_cselect_b32 s4, s17, s40
	s_xor_b64 s[2:3], s[2:3], 0
	s_xor_b64 s[4:5], s[4:5], s[2:3]
	s_delay_alu instid0(SALU_CYCLE_1)
	s_sub_nc_u64 s[40:41], s[4:5], s[2:3]
	s_mov_b32 s2, 0
.LBB12_11:                              ;   in Loop: Header=BB12_9 Depth=1
	s_delay_alu instid0(SALU_CYCLE_1)
	s_and_not1_b32 vcc_lo, exec_lo, s2
	s_cbranch_vccnz .LBB12_13
; %bb.12:                               ;   in Loop: Header=BB12_9 Depth=1
	v_readfirstlane_b32 s1, v7
	s_sub_co_i32 s2, 0, s16
	s_delay_alu instid0(SALU_CYCLE_1) | instskip(NEXT) | instid1(SALU_CYCLE_1)
	s_mul_i32 s2, s2, s1
	s_mul_hi_u32 s2, s1, s2
	s_delay_alu instid0(SALU_CYCLE_1) | instskip(NEXT) | instid1(SALU_CYCLE_1)
	s_add_co_i32 s1, s1, s2
	s_mul_hi_u32 s1, s0, s1
	s_delay_alu instid0(SALU_CYCLE_1) | instskip(NEXT) | instid1(SALU_CYCLE_1)
	s_mul_i32 s2, s1, s16
	s_sub_co_i32 s0, s0, s2
	s_add_co_i32 s2, s1, 1
	s_sub_co_i32 s3, s0, s16
	s_cmp_ge_u32 s0, s16
	s_cselect_b32 s1, s2, s1
	s_cselect_b32 s0, s3, s0
	s_add_co_i32 s2, s1, 1
	s_cmp_ge_u32 s0, s16
	s_cselect_b32 s24, s2, s1
	s_delay_alu instid0(SALU_CYCLE_1)
	s_mov_b64 s[40:41], s[24:25]
.LBB12_13:                              ;   in Loop: Header=BB12_9 Depth=1
	s_delay_alu instid0(SALU_CYCLE_1)
	s_cmp_lg_u32 s20, s40
	s_mov_b32 s0, -1
                                        ; implicit-def: $vgpr4_vgpr5
                                        ; implicit-def: $sgpr24
                                        ; implicit-def: $sgpr17
                                        ; implicit-def: $sgpr21
                                        ; implicit-def: $sgpr29
	s_cbranch_scc0 .LBB12_18
; %bb.14:                               ;   in Loop: Header=BB12_9 Depth=1
	s_add_co_i32 s0, s36, s16
	v_max_num_f32_e64 v4, s28, s28
	s_lshl_b32 s0, s0, 1
	s_mov_b32 s29, s20
	s_add_co_i32 s0, s0, s15
	s_load_b64 s[38:39], s[10:11], s0 offset:0x0 scale_offset
	s_wait_xcnt 0x0
	v_readfirstlane_b32 s0, v4
	s_wait_kmcnt 0x0
	v_max_num_f32_e64 v5, s38, s38
	s_delay_alu instid0(VALU_DEP_1) | instskip(SKIP_1) | instid1(SALU_CYCLE_3)
	v_readfirstlane_b32 s1, v5
	s_max_num_f32 s17, s0, s1
	s_sub_f32 s33, s28, s17
	s_sub_f32 s37, s38, s17
	s_delay_alu instid0(SALU_CYCLE_2)
	s_cmp_nlt_f32 s33, 0xc2ce8ed0
	s_cselect_b32 s1, -1, 0
	s_cmp_ngt_f32 s33, 0x42b17218
	s_cselect_b32 s2, -1, 0
	s_cmp_ge_f32 s33, 0xc1a00000
	s_cselect_b32 s0, -1, 0
	s_cmp_nlt_f32 s37, 0xc2ce8ed0
	s_cselect_b32 s3, -1, 0
	s_cmp_ngt_f32 s37, 0x42b17218
	s_cselect_b32 s4, -1, 0
	s_cmp_ge_f32 s37, 0xc1a00000
	s_cselect_b32 s5, -1, 0
	s_and_b64 s[42:43], s[40:41], s[8:9]
	s_delay_alu instid0(SALU_CYCLE_1) | instskip(NEXT) | instid1(SALU_CYCLE_1)
	s_mul_u64 s[42:43], s[42:43], s[22:23]
	s_add_co_i32 s21, s43, s40
	s_delay_alu instid0(SALU_CYCLE_1) | instskip(NEXT) | instid1(SALU_CYCLE_1)
	s_lshr_b32 s21, s21, s13
	s_mul_i32 s24, s21, s14
	s_delay_alu instid0(SALU_CYCLE_1) | instskip(SKIP_3) | instid1(SALU_CYCLE_1)
	s_cmp_eq_u32 s24, s40
	s_cselect_b32 s24, -1, 0
	s_cmp_lt_u32 s21, s12
	s_cselect_b32 s21, -1, 0
	s_or_b32 s21, s21, s24
	s_mov_b32 s24, -1
	s_and_b32 vcc_lo, exec_lo, s21
	s_mov_b32 s21, s36
	s_cbranch_vccnz .LBB12_16
; %bb.15:                               ;   in Loop: Header=BB12_9 Depth=1
	s_add_co_i32 s21, s36, -1
	s_mov_b32 s24, 0
	s_mov_b32 s29, s40
.LBB12_16:                              ;   in Loop: Header=BB12_9 Depth=1
	v_lshl_add_u32 v4, s36, 7, v6
	s_mul_f32 s40, s33, 0x3fb8aa3b
	s_mul_f32 s38, s37, 0x3fb8aa3b
	s_delay_alu instid0(SALU_CYCLE_2)
	s_xor_b32 s42, s40, 0x80000000
	global_load_b32 v5, v4, s[26:27] scale_offset
	s_fmamk_f32 s42, s33, 0x3fb8aa3b, s42
	s_rndne_f32 s44, s40
	s_xor_b32 s41, s38, 0x80000000
	s_rndne_f32 s43, s38
	s_fmamk_f32 s33, s33, 0x32a5705f, s42
	s_sub_f32 s40, s40, s44
	s_fmamk_f32 s41, s37, 0x3fb8aa3b, s41
	s_sub_f32 s38, s38, s43
	s_delay_alu instid0(SALU_CYCLE_1) | instskip(NEXT) | instid1(SALU_CYCLE_1)
	s_add_f32 s33, s40, s33
	s_fmamk_f32 s37, s37, 0x32a5705f, s41
	s_cvt_i32_f32 s40, s44
	s_delay_alu instid0(SALU_CYCLE_1) | instskip(NEXT) | instid1(SALU_CYCLE_1)
	v_s_exp_f32 s33, s33
	s_add_f32 s37, s38, s37
	s_cvt_i32_f32 s38, s43
	s_delay_alu instid0(SALU_CYCLE_2) | instskip(NEXT) | instid1(TRANS32_DEP_2)
	v_s_exp_f32 s37, s37
	v_ldexp_f32 v8, s33, s40
	s_wait_xcnt 0x0
	s_delay_alu instid0(TRANS32_DEP_1) | instskip(NEXT) | instid1(VALU_DEP_2)
	v_ldexp_f32 v4, s37, s38
	v_cndmask_b32_e64 v8, 0, v8, s1
	s_delay_alu instid0(VALU_DEP_1) | instskip(NEXT) | instid1(VALU_DEP_1)
	v_cndmask_b32_e64 v9, 0x7f800000, v8, s2
	v_dual_cndmask_b32 v4, 0, v4, s3 :: v_dual_cndmask_b32 v10, 0, v9, s0
	s_delay_alu instid0(VALU_DEP_1) | instskip(NEXT) | instid1(VALU_DEP_1)
	v_cndmask_b32_e64 v4, 0x7f800000, v4, s4
	v_dual_cndmask_b32 v8, 0, v4, s5 :: v_dual_mov_b32 v4, s39
	s_wait_loadcnt 0x0
	s_delay_alu instid0(VALU_DEP_1) | instskip(NEXT) | instid1(VALU_DEP_1)
	v_pk_mul_f32 v[4:5], v[4:5], v[8:9] op_sel_hi:[1,0]
	v_pk_fma_f32 v[4:5], v[0:1], v[10:11], v[4:5] op_sel_hi:[1,0,1]
	s_cbranch_execz .LBB12_19
.LBB12_17:                              ;   in Loop: Header=BB12_9 Depth=1
	s_and_not1_b32 vcc_lo, exec_lo, s24
	s_cbranch_vccnz .LBB12_20
	s_branch .LBB12_23
.LBB12_18:                              ;   in Loop: Header=BB12_9 Depth=1
	s_and_not1_b32 vcc_lo, exec_lo, s0
	s_cbranch_vccnz .LBB12_17
.LBB12_19:                              ;   in Loop: Header=BB12_9 Depth=1
	s_wait_loadcnt 0x0
	v_mov_b64_e32 v[4:5], v[0:1]
	s_add_co_i32 s21, s36, -1
	s_mov_b32 s29, s20
	s_mov_b32 s17, s28
	s_cbranch_execz .LBB12_23
.LBB12_20:                              ;   in Loop: Header=BB12_9 Depth=1
	s_wait_loadcnt 0x0
	s_delay_alu instid0(VALU_DEP_1)
	v_mov_b64_e32 v[0:1], v[4:5]
	s_mov_b32 s20, s29
	s_mov_b32 s36, s21
	;; [unrolled: 1-line block ×3, first 2 shown]
	s_branch .LBB12_9
.LBB12_21:
                                        ; implicit-def: $sgpr20_sgpr21
	s_branch .LBB12_2
.LBB12_22:
                                        ; implicit-def: $sgpr24_sgpr25
	s_load_b96 s[12:14], s[0:1], 0x44
	s_branch .LBB12_5
.LBB12_23:
	s_delay_alu instid0(VALU_DEP_1) | instskip(SKIP_1) | instid1(VALU_DEP_1)
	v_div_scale_f32 v0, null, v4, v4, v5
	s_wait_loadcnt 0x0
	v_rcp_f32_e32 v1, v0
	v_nop
	s_delay_alu instid0(TRANS32_DEP_1) | instskip(NEXT) | instid1(VALU_DEP_1)
	v_fma_f32 v6, -v0, v1, 1.0
	v_fmac_f32_e32 v1, v6, v1
	v_div_scale_f32 v6, vcc_lo, v5, v4, v5
	s_delay_alu instid0(VALU_DEP_1) | instskip(NEXT) | instid1(VALU_DEP_1)
	v_mul_f32_e32 v7, v6, v1
	v_fma_f32 v8, -v0, v7, v6
	s_delay_alu instid0(VALU_DEP_1) | instskip(NEXT) | instid1(VALU_DEP_1)
	v_fmac_f32_e32 v7, v8, v1
	v_fma_f32 v0, -v0, v7, v6
	s_delay_alu instid0(VALU_DEP_1) | instskip(NEXT) | instid1(VALU_DEP_1)
	v_div_fmas_f32 v0, v0, v1, v7
	v_div_fixup_f32 v0, v0, v4, v5
	global_store_b32 v[2:3], v0, off
.LBB12_24:
	s_endpgm
	.section	.rodata,"a",@progbits
	.p2align	6, 0x0
	.amdhsa_kernel _ZL33flash_attn_stream_k_fixup_generalILi64ELi2ELi1EEvPfPK15HIP_vector_typeIfLj2EEiiiiS1_IjLj3EES5_S5_S5_
		.amdhsa_group_segment_fixed_size 0
		.amdhsa_private_segment_fixed_size 0
		.amdhsa_kernarg_size 336
		.amdhsa_user_sgpr_count 2
		.amdhsa_user_sgpr_dispatch_ptr 0
		.amdhsa_user_sgpr_queue_ptr 0
		.amdhsa_user_sgpr_kernarg_segment_ptr 1
		.amdhsa_user_sgpr_dispatch_id 0
		.amdhsa_user_sgpr_kernarg_preload_length 0
		.amdhsa_user_sgpr_kernarg_preload_offset 0
		.amdhsa_user_sgpr_private_segment_size 0
		.amdhsa_wavefront_size32 1
		.amdhsa_uses_dynamic_stack 0
		.amdhsa_enable_private_segment 0
		.amdhsa_system_sgpr_workgroup_id_x 1
		.amdhsa_system_sgpr_workgroup_id_y 1
		.amdhsa_system_sgpr_workgroup_id_z 1
		.amdhsa_system_sgpr_workgroup_info 0
		.amdhsa_system_vgpr_workitem_id 0
		.amdhsa_next_free_vgpr 12
		.amdhsa_next_free_sgpr 46
		.amdhsa_named_barrier_count 0
		.amdhsa_reserve_vcc 1
		.amdhsa_float_round_mode_32 0
		.amdhsa_float_round_mode_16_64 0
		.amdhsa_float_denorm_mode_32 3
		.amdhsa_float_denorm_mode_16_64 3
		.amdhsa_fp16_overflow 0
		.amdhsa_memory_ordered 1
		.amdhsa_forward_progress 1
		.amdhsa_inst_pref_size 27
		.amdhsa_round_robin_scheduling 0
		.amdhsa_exception_fp_ieee_invalid_op 0
		.amdhsa_exception_fp_denorm_src 0
		.amdhsa_exception_fp_ieee_div_zero 0
		.amdhsa_exception_fp_ieee_overflow 0
		.amdhsa_exception_fp_ieee_underflow 0
		.amdhsa_exception_fp_ieee_inexact 0
		.amdhsa_exception_int_div_zero 0
	.end_amdhsa_kernel
	.section	.text._ZL33flash_attn_stream_k_fixup_generalILi64ELi2ELi1EEvPfPK15HIP_vector_typeIfLj2EEiiiiS1_IjLj3EES5_S5_S5_,"axG",@progbits,_ZL33flash_attn_stream_k_fixup_generalILi64ELi2ELi1EEvPfPK15HIP_vector_typeIfLj2EEiiiiS1_IjLj3EES5_S5_S5_,comdat
.Lfunc_end12:
	.size	_ZL33flash_attn_stream_k_fixup_generalILi64ELi2ELi1EEvPfPK15HIP_vector_typeIfLj2EEiiiiS1_IjLj3EES5_S5_S5_, .Lfunc_end12-_ZL33flash_attn_stream_k_fixup_generalILi64ELi2ELi1EEvPfPK15HIP_vector_typeIfLj2EEiiiiS1_IjLj3EES5_S5_S5_
                                        ; -- End function
	.set _ZL33flash_attn_stream_k_fixup_generalILi64ELi2ELi1EEvPfPK15HIP_vector_typeIfLj2EEiiiiS1_IjLj3EES5_S5_S5_.num_vgpr, 12
	.set _ZL33flash_attn_stream_k_fixup_generalILi64ELi2ELi1EEvPfPK15HIP_vector_typeIfLj2EEiiiiS1_IjLj3EES5_S5_S5_.num_agpr, 0
	.set _ZL33flash_attn_stream_k_fixup_generalILi64ELi2ELi1EEvPfPK15HIP_vector_typeIfLj2EEiiiiS1_IjLj3EES5_S5_S5_.numbered_sgpr, 46
	.set _ZL33flash_attn_stream_k_fixup_generalILi64ELi2ELi1EEvPfPK15HIP_vector_typeIfLj2EEiiiiS1_IjLj3EES5_S5_S5_.num_named_barrier, 0
	.set _ZL33flash_attn_stream_k_fixup_generalILi64ELi2ELi1EEvPfPK15HIP_vector_typeIfLj2EEiiiiS1_IjLj3EES5_S5_S5_.private_seg_size, 0
	.set _ZL33flash_attn_stream_k_fixup_generalILi64ELi2ELi1EEvPfPK15HIP_vector_typeIfLj2EEiiiiS1_IjLj3EES5_S5_S5_.uses_vcc, 1
	.set _ZL33flash_attn_stream_k_fixup_generalILi64ELi2ELi1EEvPfPK15HIP_vector_typeIfLj2EEiiiiS1_IjLj3EES5_S5_S5_.uses_flat_scratch, 0
	.set _ZL33flash_attn_stream_k_fixup_generalILi64ELi2ELi1EEvPfPK15HIP_vector_typeIfLj2EEiiiiS1_IjLj3EES5_S5_S5_.has_dyn_sized_stack, 0
	.set _ZL33flash_attn_stream_k_fixup_generalILi64ELi2ELi1EEvPfPK15HIP_vector_typeIfLj2EEiiiiS1_IjLj3EES5_S5_S5_.has_recursion, 0
	.set _ZL33flash_attn_stream_k_fixup_generalILi64ELi2ELi1EEvPfPK15HIP_vector_typeIfLj2EEiiiiS1_IjLj3EES5_S5_S5_.has_indirect_call, 0
	.section	.AMDGPU.csdata,"",@progbits
; Kernel info:
; codeLenInByte = 3352
; TotalNumSgprs: 48
; NumVgprs: 12
; ScratchSize: 0
; MemoryBound: 0
; FloatMode: 240
; IeeeMode: 1
; LDSByteSize: 0 bytes/workgroup (compile time only)
; SGPRBlocks: 0
; VGPRBlocks: 0
; NumSGPRsForWavesPerEU: 48
; NumVGPRsForWavesPerEU: 12
; NamedBarCnt: 0
; Occupancy: 16
; WaveLimiterHint : 0
; COMPUTE_PGM_RSRC2:SCRATCH_EN: 0
; COMPUTE_PGM_RSRC2:USER_SGPR: 2
; COMPUTE_PGM_RSRC2:TRAP_HANDLER: 0
; COMPUTE_PGM_RSRC2:TGID_X_EN: 1
; COMPUTE_PGM_RSRC2:TGID_Y_EN: 1
; COMPUTE_PGM_RSRC2:TGID_Z_EN: 1
; COMPUTE_PGM_RSRC2:TIDIG_COMP_CNT: 0
	.section	.text._ZL18flash_attn_ext_vecILi64ELi2EL9ggml_type6ELS0_6ELb1EEvPKcS2_S2_S2_S2_PKiPfP15HIP_vector_typeIfLj2EEffffjfiS6_IjLj3EEiiiiiiiiiiiliiliiiiil,"axG",@progbits,_ZL18flash_attn_ext_vecILi64ELi2EL9ggml_type6ELS0_6ELb1EEvPKcS2_S2_S2_S2_PKiPfP15HIP_vector_typeIfLj2EEffffjfiS6_IjLj3EEiiiiiiiiiiiliiliiiiil,comdat
	.globl	_ZL18flash_attn_ext_vecILi64ELi2EL9ggml_type6ELS0_6ELb1EEvPKcS2_S2_S2_S2_PKiPfP15HIP_vector_typeIfLj2EEffffjfiS6_IjLj3EEiiiiiiiiiiiliiliiiiil ; -- Begin function _ZL18flash_attn_ext_vecILi64ELi2EL9ggml_type6ELS0_6ELb1EEvPKcS2_S2_S2_S2_PKiPfP15HIP_vector_typeIfLj2EEffffjfiS6_IjLj3EEiiiiiiiiiiiliiliiiiil
	.p2align	8
	.type	_ZL18flash_attn_ext_vecILi64ELi2EL9ggml_type6ELS0_6ELb1EEvPKcS2_S2_S2_S2_PKiPfP15HIP_vector_typeIfLj2EEffffjfiS6_IjLj3EEiiiiiiiiiiiliiliiiiil,@function
_ZL18flash_attn_ext_vecILi64ELi2EL9ggml_type6ELS0_6ELb1EEvPKcS2_S2_S2_S2_PKiPfP15HIP_vector_typeIfLj2EEffffjfiS6_IjLj3EEiiiiiiiiiiiliiliiiiil: ; @_ZL18flash_attn_ext_vecILi64ELi2EL9ggml_type6ELS0_6ELb1EEvPKcS2_S2_S2_S2_PKiPfP15HIP_vector_typeIfLj2EEffffjfiS6_IjLj3EEiiiiiiiiiiiliiliiiiil
; %bb.0:
	s_get_pc_i64 s[2:3]
	s_add_nc_u64 s[2:3], s[2:3], _ZL14no_device_codePKciS0_iS0_@rel64+4
	s_add_nc_u64 s[8:9], s[0:1], 0xd0
	s_mov_b32 s32, 0
	s_swap_pc_i64 s[30:31], s[2:3]
	.section	.rodata,"a",@progbits
	.p2align	6, 0x0
	.amdhsa_kernel _ZL18flash_attn_ext_vecILi64ELi2EL9ggml_type6ELS0_6ELb1EEvPKcS2_S2_S2_S2_PKiPfP15HIP_vector_typeIfLj2EEffffjfiS6_IjLj3EEiiiiiiiiiiiliiliiiiil
		.amdhsa_group_segment_fixed_size 0
		.amdhsa_private_segment_fixed_size 16
		.amdhsa_kernarg_size 464
		.amdhsa_user_sgpr_count 2
		.amdhsa_user_sgpr_dispatch_ptr 0
		.amdhsa_user_sgpr_queue_ptr 0
		.amdhsa_user_sgpr_kernarg_segment_ptr 1
		.amdhsa_user_sgpr_dispatch_id 0
		.amdhsa_user_sgpr_kernarg_preload_length 0
		.amdhsa_user_sgpr_kernarg_preload_offset 0
		.amdhsa_user_sgpr_private_segment_size 0
		.amdhsa_wavefront_size32 1
		.amdhsa_uses_dynamic_stack 0
		.amdhsa_enable_private_segment 1
		.amdhsa_system_sgpr_workgroup_id_x 1
		.amdhsa_system_sgpr_workgroup_id_y 0
		.amdhsa_system_sgpr_workgroup_id_z 0
		.amdhsa_system_sgpr_workgroup_info 0
		.amdhsa_system_vgpr_workitem_id 0
		.amdhsa_next_free_vgpr 50
		.amdhsa_next_free_sgpr 34
		.amdhsa_named_barrier_count 0
		.amdhsa_reserve_vcc 1
		.amdhsa_float_round_mode_32 0
		.amdhsa_float_round_mode_16_64 0
		.amdhsa_float_denorm_mode_32 3
		.amdhsa_float_denorm_mode_16_64 3
		.amdhsa_fp16_overflow 0
		.amdhsa_memory_ordered 1
		.amdhsa_forward_progress 1
		.amdhsa_inst_pref_size 1
		.amdhsa_round_robin_scheduling 0
		.amdhsa_exception_fp_ieee_invalid_op 0
		.amdhsa_exception_fp_denorm_src 0
		.amdhsa_exception_fp_ieee_div_zero 0
		.amdhsa_exception_fp_ieee_overflow 0
		.amdhsa_exception_fp_ieee_underflow 0
		.amdhsa_exception_fp_ieee_inexact 0
		.amdhsa_exception_int_div_zero 0
	.end_amdhsa_kernel
	.section	.text._ZL18flash_attn_ext_vecILi64ELi2EL9ggml_type6ELS0_6ELb1EEvPKcS2_S2_S2_S2_PKiPfP15HIP_vector_typeIfLj2EEffffjfiS6_IjLj3EEiiiiiiiiiiiliiliiiiil,"axG",@progbits,_ZL18flash_attn_ext_vecILi64ELi2EL9ggml_type6ELS0_6ELb1EEvPKcS2_S2_S2_S2_PKiPfP15HIP_vector_typeIfLj2EEffffjfiS6_IjLj3EEiiiiiiiiiiiliiliiiiil,comdat
.Lfunc_end13:
	.size	_ZL18flash_attn_ext_vecILi64ELi2EL9ggml_type6ELS0_6ELb1EEvPKcS2_S2_S2_S2_PKiPfP15HIP_vector_typeIfLj2EEffffjfiS6_IjLj3EEiiiiiiiiiiiliiliiiiil, .Lfunc_end13-_ZL18flash_attn_ext_vecILi64ELi2EL9ggml_type6ELS0_6ELb1EEvPKcS2_S2_S2_S2_PKiPfP15HIP_vector_typeIfLj2EEffffjfiS6_IjLj3EEiiiiiiiiiiiliiliiiiil
                                        ; -- End function
	.set _ZL18flash_attn_ext_vecILi64ELi2EL9ggml_type6ELS0_6ELb1EEvPKcS2_S2_S2_S2_PKiPfP15HIP_vector_typeIfLj2EEffffjfiS6_IjLj3EEiiiiiiiiiiiliiliiiiil.num_vgpr, max(0, .L_ZL14no_device_codePKciS0_iS0_.num_vgpr)
	.set _ZL18flash_attn_ext_vecILi64ELi2EL9ggml_type6ELS0_6ELb1EEvPKcS2_S2_S2_S2_PKiPfP15HIP_vector_typeIfLj2EEffffjfiS6_IjLj3EEiiiiiiiiiiiliiliiiiil.num_agpr, max(0, .L_ZL14no_device_codePKciS0_iS0_.num_agpr)
	.set _ZL18flash_attn_ext_vecILi64ELi2EL9ggml_type6ELS0_6ELb1EEvPKcS2_S2_S2_S2_PKiPfP15HIP_vector_typeIfLj2EEffffjfiS6_IjLj3EEiiiiiiiiiiiliiliiiiil.numbered_sgpr, max(33, .L_ZL14no_device_codePKciS0_iS0_.numbered_sgpr)
	.set _ZL18flash_attn_ext_vecILi64ELi2EL9ggml_type6ELS0_6ELb1EEvPKcS2_S2_S2_S2_PKiPfP15HIP_vector_typeIfLj2EEffffjfiS6_IjLj3EEiiiiiiiiiiiliiliiiiil.num_named_barrier, max(0, .L_ZL14no_device_codePKciS0_iS0_.num_named_barrier)
	.set _ZL18flash_attn_ext_vecILi64ELi2EL9ggml_type6ELS0_6ELb1EEvPKcS2_S2_S2_S2_PKiPfP15HIP_vector_typeIfLj2EEffffjfiS6_IjLj3EEiiiiiiiiiiiliiliiiiil.private_seg_size, 0+max(.L_ZL14no_device_codePKciS0_iS0_.private_seg_size)
	.set _ZL18flash_attn_ext_vecILi64ELi2EL9ggml_type6ELS0_6ELb1EEvPKcS2_S2_S2_S2_PKiPfP15HIP_vector_typeIfLj2EEffffjfiS6_IjLj3EEiiiiiiiiiiiliiliiiiil.uses_vcc, or(1, .L_ZL14no_device_codePKciS0_iS0_.uses_vcc)
	.set _ZL18flash_attn_ext_vecILi64ELi2EL9ggml_type6ELS0_6ELb1EEvPKcS2_S2_S2_S2_PKiPfP15HIP_vector_typeIfLj2EEffffjfiS6_IjLj3EEiiiiiiiiiiiliiliiiiil.uses_flat_scratch, or(0, .L_ZL14no_device_codePKciS0_iS0_.uses_flat_scratch)
	.set _ZL18flash_attn_ext_vecILi64ELi2EL9ggml_type6ELS0_6ELb1EEvPKcS2_S2_S2_S2_PKiPfP15HIP_vector_typeIfLj2EEffffjfiS6_IjLj3EEiiiiiiiiiiiliiliiiiil.has_dyn_sized_stack, or(0, .L_ZL14no_device_codePKciS0_iS0_.has_dyn_sized_stack)
	.set _ZL18flash_attn_ext_vecILi64ELi2EL9ggml_type6ELS0_6ELb1EEvPKcS2_S2_S2_S2_PKiPfP15HIP_vector_typeIfLj2EEffffjfiS6_IjLj3EEiiiiiiiiiiiliiliiiiil.has_recursion, or(0, .L_ZL14no_device_codePKciS0_iS0_.has_recursion)
	.set _ZL18flash_attn_ext_vecILi64ELi2EL9ggml_type6ELS0_6ELb1EEvPKcS2_S2_S2_S2_PKiPfP15HIP_vector_typeIfLj2EEffffjfiS6_IjLj3EEiiiiiiiiiiiliiliiiiil.has_indirect_call, or(0, .L_ZL14no_device_codePKciS0_iS0_.has_indirect_call)
	.section	.AMDGPU.csdata,"",@progbits
; Kernel info:
; codeLenInByte = 32
; TotalNumSgprs: 36
; NumVgprs: 50
; ScratchSize: 16
; MemoryBound: 0
; FloatMode: 240
; IeeeMode: 1
; LDSByteSize: 0 bytes/workgroup (compile time only)
; SGPRBlocks: 0
; VGPRBlocks: 3
; NumSGPRsForWavesPerEU: 36
; NumVGPRsForWavesPerEU: 50
; NamedBarCnt: 0
; Occupancy: 16
; WaveLimiterHint : 1
; COMPUTE_PGM_RSRC2:SCRATCH_EN: 1
; COMPUTE_PGM_RSRC2:USER_SGPR: 2
; COMPUTE_PGM_RSRC2:TRAP_HANDLER: 0
; COMPUTE_PGM_RSRC2:TGID_X_EN: 1
; COMPUTE_PGM_RSRC2:TGID_Y_EN: 0
; COMPUTE_PGM_RSRC2:TGID_Z_EN: 0
; COMPUTE_PGM_RSRC2:TIDIG_COMP_CNT: 0
	.section	.text._ZL18flash_attn_ext_vecILi128ELi1EL9ggml_type6ELS0_6ELb0EEvPKcS2_S2_S2_S2_PKiPfP15HIP_vector_typeIfLj2EEffffjfiS6_IjLj3EEiiiiiiiiiiiliiliiiiil,"axG",@progbits,_ZL18flash_attn_ext_vecILi128ELi1EL9ggml_type6ELS0_6ELb0EEvPKcS2_S2_S2_S2_PKiPfP15HIP_vector_typeIfLj2EEffffjfiS6_IjLj3EEiiiiiiiiiiiliiliiiiil,comdat
	.globl	_ZL18flash_attn_ext_vecILi128ELi1EL9ggml_type6ELS0_6ELb0EEvPKcS2_S2_S2_S2_PKiPfP15HIP_vector_typeIfLj2EEffffjfiS6_IjLj3EEiiiiiiiiiiiliiliiiiil ; -- Begin function _ZL18flash_attn_ext_vecILi128ELi1EL9ggml_type6ELS0_6ELb0EEvPKcS2_S2_S2_S2_PKiPfP15HIP_vector_typeIfLj2EEffffjfiS6_IjLj3EEiiiiiiiiiiiliiliiiiil
	.p2align	8
	.type	_ZL18flash_attn_ext_vecILi128ELi1EL9ggml_type6ELS0_6ELb0EEvPKcS2_S2_S2_S2_PKiPfP15HIP_vector_typeIfLj2EEffffjfiS6_IjLj3EEiiiiiiiiiiiliiliiiiil,@function
_ZL18flash_attn_ext_vecILi128ELi1EL9ggml_type6ELS0_6ELb0EEvPKcS2_S2_S2_S2_PKiPfP15HIP_vector_typeIfLj2EEffffjfiS6_IjLj3EEiiiiiiiiiiiliiliiiiil: ; @_ZL18flash_attn_ext_vecILi128ELi1EL9ggml_type6ELS0_6ELb0EEvPKcS2_S2_S2_S2_PKiPfP15HIP_vector_typeIfLj2EEffffjfiS6_IjLj3EEiiiiiiiiiiiliiliiiiil
; %bb.0:
	s_clause 0x2
	s_load_b64 s[24:25], s[0:1], 0x64
	s_load_b64 s[30:31], s[0:1], 0x80
	;; [unrolled: 1-line block ×3, first 2 shown]
	s_bfe_u32 s4, ttmp6, 0x40014
	s_lshr_b32 s3, ttmp7, 16
	s_add_co_i32 s4, s4, 1
	s_bfe_u32 s5, ttmp6, 0x40008
	s_mul_i32 s4, s3, s4
	s_getreg_b32 s33, hwreg(HW_REG_IB_STS2, 6, 4)
	s_add_co_i32 s5, s5, s4
	s_load_b128 s[20:23], s[0:1], 0x40
	v_mov_b32_e32 v185, 1.0
	s_mov_b32 s39, 0
	s_wait_kmcnt 0x0
	s_cvt_f32_u32 s2, s25
	s_sub_co_i32 s6, 0, s25
	s_delay_alu instid0(SALU_CYCLE_2) | instskip(SKIP_1) | instid1(TRANS32_DEP_1)
	v_rcp_iflag_f32_e32 v1, s2
	v_nop
	v_readfirstlane_b32 s2, v1
	s_mul_f32 s2, s2, 0x4f7ffffe
	s_delay_alu instid0(SALU_CYCLE_3) | instskip(NEXT) | instid1(SALU_CYCLE_3)
	s_cvt_u32_f32 s2, s2
	s_mul_i32 s6, s6, s2
	s_delay_alu instid0(SALU_CYCLE_1) | instskip(NEXT) | instid1(SALU_CYCLE_1)
	s_mul_hi_u32 s6, s2, s6
	s_add_co_i32 s2, s2, s6
	s_cmp_eq_u32 s33, 0
	s_cselect_b32 s3, s3, s5
	s_delay_alu instid0(SALU_CYCLE_1) | instskip(NEXT) | instid1(SALU_CYCLE_1)
	s_mul_hi_u32 s2, s3, s2
	s_mul_i32 s4, s2, s25
	s_add_co_i32 s5, s2, 1
	s_sub_co_i32 s4, s3, s4
	s_delay_alu instid0(SALU_CYCLE_1)
	s_sub_co_i32 s6, s4, s25
	s_cmp_ge_u32 s4, s25
	s_cselect_b32 s2, s5, s2
	s_cselect_b32 s4, s6, s4
	s_add_co_i32 s5, s2, 1
	s_cmp_ge_u32 s4, s25
	s_cselect_b32 s26, s5, s2
	s_abs_i32 s2, s31
	s_abs_i32 s7, s25
	s_cvt_f32_u32 s4, s2
	s_sub_co_i32 s5, 0, s2
	s_xor_b32 s6, s25, s31
	s_delay_alu instid0(SALU_CYCLE_1) | instskip(SKIP_2) | instid1(TRANS32_DEP_1)
	v_rcp_iflag_f32_e32 v1, s4
	s_ashr_i32 s6, s6, 31
	v_nop
	v_readfirstlane_b32 s4, v1
	s_mul_f32 s4, s4, 0x4f7ffffe
	s_delay_alu instid0(SALU_CYCLE_3) | instskip(NEXT) | instid1(SALU_CYCLE_3)
	s_cvt_u32_f32 s4, s4
	s_mul_i32 s5, s5, s4
	s_delay_alu instid0(SALU_CYCLE_1) | instskip(NEXT) | instid1(SALU_CYCLE_1)
	s_mul_hi_u32 s5, s4, s5
	s_add_co_i32 s4, s4, s5
	s_mul_i32 s5, s26, s25
	s_mul_hi_u32 s4, s7, s4
	s_sub_co_i32 s28, s3, s5
	s_mul_i32 s8, s4, s2
	s_add_co_i32 s5, s4, 1
	s_sub_co_i32 s3, s7, s8
	s_delay_alu instid0(SALU_CYCLE_1)
	s_sub_co_i32 s7, s3, s2
	s_cmp_ge_u32 s3, s2
	s_cselect_b32 s4, s5, s4
	s_cselect_b32 s3, s7, s3
	s_add_co_i32 s5, s4, 1
	s_cmp_ge_u32 s3, s2
	s_cselect_b32 s2, s5, s4
	s_abs_i32 s34, s34
	s_xor_b32 s2, s2, s6
	s_sub_co_i32 s5, 0, s34
	s_sub_co_i32 s27, s2, s6
	s_cvt_f32_u32 s2, s34
	s_abs_i32 s47, s27
	s_abs_i32 s38, s28
	s_cvt_f32_u32 s3, s47
	v_rcp_iflag_f32_e32 v1, s2
	s_load_b32 s2, s[0:1], 0x50
	s_sub_co_i32 s6, 0, s47
	v_rcp_iflag_f32_e32 v2, s3
	s_abs_i32 s36, s26
	v_nop
	s_delay_alu instid0(TRANS32_DEP_2) | instskip(NEXT) | instid1(TRANS32_DEP_1)
	v_readfirstlane_b32 s3, v1
	v_readfirstlane_b32 s4, v2
	s_mul_f32 s3, s3, 0x4f7ffffe
	s_mul_f32 s4, s4, 0x4f7ffffe
	s_delay_alu instid0(SALU_CYCLE_2) | instskip(NEXT) | instid1(SALU_CYCLE_2)
	s_cvt_u32_f32 s3, s3
	s_cvt_u32_f32 s4, s4
	s_delay_alu instid0(SALU_CYCLE_2) | instskip(NEXT) | instid1(SALU_CYCLE_1)
	s_mul_i32 s5, s5, s3
	s_mul_hi_u32 s5, s3, s5
	s_delay_alu instid0(SALU_CYCLE_1) | instskip(SKIP_2) | instid1(SALU_CYCLE_1)
	s_mul_i32 s6, s6, s4
	s_add_co_i32 s40, s3, s5
	s_mul_hi_u32 s6, s4, s6
	s_add_co_i32 s42, s4, s6
	s_cmp_le_f32 s21, 0
	s_cbranch_scc1 .LBB14_2
; %bb.1:
	s_wait_kmcnt 0x0
	v_sub_co_u32 v1, s2, s28, s2
	s_and_b32 s4, s2, exec_lo
	s_cselect_b32 s4, s22, s23
	s_add_co_i32 s5, s28, 1
	v_readfirstlane_b32 s3, v1
	s_lshl_b32 s3, s3, 1
	s_delay_alu instid0(SALU_CYCLE_1) | instskip(SKIP_4) | instid1(SALU_CYCLE_3)
	s_or_b32 s3, s3, 1
	s_and_b32 s2, s2, exec_lo
	s_cselect_b32 s2, s5, s3
	s_cmp_neq_f32 s4, 1.0
	s_cvt_f32_i32 s2, s2
	s_cselect_b32 s3, s2, 1.0
	s_delay_alu instid0(SALU_CYCLE_1) | instskip(SKIP_1) | instid1(SALU_CYCLE_1)
	s_cmp_neq_f32 s3, 0
	s_cselect_b32 s2, s4, 1.0
	v_cvt_f64_f32_e64 v[2:3], |s2|
	s_delay_alu instid0(VALU_DEP_1) | instskip(SKIP_1) | instid1(VALU_DEP_1)
	v_frexp_exp_i32_f64_e32 v1, v[2:3]
	v_frexp_mant_f32_e64 v2, |s2|
	v_readfirstlane_b32 s4, v2
	s_cmp_lt_f32 s4, 0x3f2aaaab
	s_cselect_b32 vcc_lo, -1, 0
	s_delay_alu instid0(SALU_CYCLE_1) | instskip(SKIP_1) | instid1(SALU_CYCLE_1)
	s_and_b32 s5, vcc_lo, exec_lo
	s_cselect_b32 s5, 2.0, 1.0
	s_mul_f32 s4, s4, s5
	s_delay_alu instid0(SALU_CYCLE_3) | instskip(SKIP_1) | instid1(SALU_CYCLE_2)
	s_add_f32 s5, s4, 1.0
	s_add_f32 s7, s4, -1.0
	v_s_rcp_f32 s6, s5
	s_add_f32 s10, s5, -1.0
	v_subrev_co_ci_u32_e64 v1, null, 0, v1, vcc_lo
	s_delay_alu instid0(SALU_CYCLE_2) | instskip(NEXT) | instid1(TRANS32_DEP_1)
	s_sub_f32 s4, s4, s10
	s_mul_f32 s8, s7, s6
	v_cvt_f32_i32_e32 v1, v1
	s_delay_alu instid0(SALU_CYCLE_2) | instskip(NEXT) | instid1(SALU_CYCLE_3)
	s_mul_f32 s9, s5, s8
	v_dual_mov_b32 v3, s7 :: v_dual_mov_b32 v4, s9
	s_xor_b32 s11, s9, 0x80000000
	s_delay_alu instid0(SALU_CYCLE_1) | instskip(NEXT) | instid1(SALU_CYCLE_3)
	s_fmac_f32 s11, s8, s5
	s_fmac_f32 s11, s8, s4
	s_delay_alu instid0(SALU_CYCLE_3) | instskip(SKIP_2) | instid1(SALU_CYCLE_1)
	s_add_f32 s4, s9, s11
	v_mov_b32_e32 v6, s11
	s_mov_b32 s9, 0x3e76c4e1
	s_sub_f32 s5, s7, s4
	v_dual_mov_b32 v2, s4 :: v_dual_mov_b32 v7, s4
	s_delay_alu instid0(SALU_CYCLE_2) | instskip(NEXT) | instid1(VALU_DEP_1)
	v_mov_b32_e32 v5, s5
	v_pk_add_f32 v[2:3], v[2:3], v[4:5] neg_lo:[0,1] neg_hi:[0,1]
	s_delay_alu instid0(VALU_DEP_1) | instskip(NEXT) | instid1(VALU_DEP_1)
	v_pk_add_f32 v[2:3], v[2:3], v[6:7] neg_lo:[0,1] neg_hi:[0,1]
	v_readfirstlane_b32 s4, v3
	s_delay_alu instid0(VALU_DEP_2) | instskip(SKIP_1) | instid1(SALU_CYCLE_3)
	v_readfirstlane_b32 s7, v2
	s_add_f32 s4, s7, s4
	s_add_f32 s4, s5, s4
	s_delay_alu instid0(SALU_CYCLE_3) | instskip(NEXT) | instid1(SALU_CYCLE_3)
	s_mul_f32 s5, s6, s4
	s_add_f32 s4, s8, s5
	s_delay_alu instid0(SALU_CYCLE_3) | instskip(SKIP_1) | instid1(SALU_CYCLE_2)
	s_sub_f32 s6, s4, s8
	s_mul_f32 s7, s4, s4
	s_sub_f32 s8, s5, s6
	s_delay_alu instid0(SALU_CYCLE_2) | instskip(NEXT) | instid1(SALU_CYCLE_1)
	s_xor_b32 s5, s7, 0x80000000
	s_fmac_f32 s5, s4, s4
	s_delay_alu instid0(SALU_CYCLE_1) | instskip(NEXT) | instid1(SALU_CYCLE_3)
	s_add_f32 s6, s8, s8
	s_fmac_f32 s5, s4, s6
	s_delay_alu instid0(SALU_CYCLE_3) | instskip(NEXT) | instid1(SALU_CYCLE_3)
	s_add_f32 s6, s7, s5
	s_fmaak_f32 s9, s6, s9, 0x3e91f4c4
	s_sub_f32 s7, s6, s7
	s_delay_alu instid0(SALU_CYCLE_2) | instskip(NEXT) | instid1(SALU_CYCLE_2)
	s_fmaak_f32 s9, s6, s9, 0x3ecccdef
	s_sub_f32 s12, s5, s7
	s_delay_alu instid0(SALU_CYCLE_2) | instskip(NEXT) | instid1(SALU_CYCLE_3)
	s_mul_f32 s10, s6, s9
	s_xor_b32 s11, s10, 0x80000000
	s_delay_alu instid0(SALU_CYCLE_1) | instskip(NEXT) | instid1(SALU_CYCLE_3)
	s_fmac_f32 s11, s6, s9
	s_fmac_f32 s11, s12, s9
	s_delay_alu instid0(SALU_CYCLE_3) | instskip(NEXT) | instid1(SALU_CYCLE_3)
	s_add_f32 s7, s10, s11
	s_sub_f32 s5, s7, s10
	s_add_f32 s9, s7, 0x3f2aaaaa
	s_delay_alu instid0(SALU_CYCLE_2) | instskip(NEXT) | instid1(SALU_CYCLE_2)
	s_sub_f32 s5, s11, s5
	s_add_f32 s10, s9, 0xbf2aaaaa
	s_delay_alu instid0(SALU_CYCLE_2) | instskip(NEXT) | instid1(SALU_CYCLE_2)
	s_add_f32 s5, s5, 0x31739010
	s_sub_f32 s7, s7, s10
	s_delay_alu instid0(SALU_CYCLE_2) | instskip(NEXT) | instid1(SALU_CYCLE_2)
	v_mov_b64_e32 v[2:3], s[4:5]
	v_mov_b64_e32 v[4:5], s[6:7]
	s_delay_alu instid0(VALU_DEP_1) | instskip(SKIP_2) | instid1(VALU_DEP_3)
	v_pk_mul_f32 v[6:7], v[2:3], v[4:5]
	v_pk_add_f32 v[2:3], v[2:3], v[4:5]
	v_mov_b32_e32 v9, s9
	v_xor_b32_e32 v8, 0x80000000, v6
	s_delay_alu instid0(VALU_DEP_3) | instskip(NEXT) | instid1(VALU_DEP_2)
	v_mov_b32_e32 v7, v3
	v_fmac_f32_e64 v8, s6, s4
	s_delay_alu instid0(VALU_DEP_1) | instskip(NEXT) | instid1(VALU_DEP_1)
	v_fmac_f32_e64 v8, s6, s8
	v_fmac_f32_e64 v8, s12, s4
	s_delay_alu instid0(VALU_DEP_1) | instskip(NEXT) | instid1(VALU_DEP_1)
	v_pk_add_f32 v[4:5], v[6:7], v[8:9]
	v_dual_mov_b32 v2, v5 :: v_dual_sub_f32 v7, s9, v5
	v_mul_f32_e32 v12, 0x3f317218, v1
	s_delay_alu instid0(VALU_DEP_2) | instskip(NEXT) | instid1(VALU_DEP_3)
	v_pk_mul_f32 v[10:11], v[4:5], v[2:3]
	v_add_f32_e32 v3, v3, v7
	s_delay_alu instid0(VALU_DEP_3) | instskip(NEXT) | instid1(VALU_DEP_3)
	v_xor_b32_e32 v7, 0x80000000, v12
	v_xor_b32_e32 v2, 0x80000000, v10
	s_delay_alu instid0(VALU_DEP_2) | instskip(NEXT) | instid1(VALU_DEP_2)
	v_dual_sub_f32 v6, v4, v6 :: v_dual_fmac_f32 v7, 0x3f317218, v1
	v_fmac_f32_e32 v2, v4, v5
	s_delay_alu instid0(VALU_DEP_2) | instskip(NEXT) | instid1(VALU_DEP_2)
	v_sub_f32_e32 v6, v8, v6
	v_fmac_f32_e32 v2, v4, v3
	s_delay_alu instid0(VALU_DEP_1) | instskip(SKIP_3) | instid1(VALU_DEP_2)
	v_fmac_f32_e32 v2, v6, v5
	v_fmamk_f32 v4, v1, 0xb102e308, v7
	v_ldexp_f32 v5, s4, 1
	v_ldexp_f32 v1, s8, 1
	v_dual_add_f32 v13, v10, v2 :: v_dual_mov_b32 v11, v5
	s_delay_alu instid0(VALU_DEP_1) | instskip(SKIP_1) | instid1(VALU_DEP_2)
	v_pk_add_f32 v[6:7], v[12:13], v[4:5]
	v_dual_mov_b32 v8, v13 :: v_dual_mov_b32 v3, v13
	v_dual_mov_b32 v9, v7 :: v_dual_mov_b32 v5, v6
	v_mov_b32_e32 v14, v7
	s_delay_alu instid0(VALU_DEP_2) | instskip(NEXT) | instid1(VALU_DEP_1)
	v_pk_add_f32 v[8:9], v[8:9], v[10:11] neg_lo:[0,1] neg_hi:[0,1]
	v_pk_add_f32 v[2:3], v[2:3], v[8:9] neg_lo:[0,1] neg_hi:[0,1]
	s_delay_alu instid0(VALU_DEP_1) | instskip(NEXT) | instid1(VALU_DEP_1)
	v_add_f32_e32 v1, v1, v2
	v_add_f32_e32 v13, v1, v3
	s_delay_alu instid0(VALU_DEP_1) | instskip(SKIP_1) | instid1(VALU_DEP_2)
	v_pk_add_f32 v[2:3], v[6:7], v[12:13]
	v_pk_add_f32 v[8:9], v[6:7], v[12:13] neg_lo:[0,1] neg_hi:[0,1]
	v_mov_b32_e32 v9, v3
	s_delay_alu instid0(VALU_DEP_1) | instskip(SKIP_2) | instid1(VALU_DEP_3)
	v_pk_add_f32 v[10:11], v[4:5], v[8:9]
	v_pk_add_f32 v[4:5], v[4:5], v[8:9] neg_lo:[0,1] neg_hi:[0,1]
	v_dual_mov_b32 v16, v3 :: v_dual_mov_b32 v5, v6
	v_dual_mov_b32 v12, v11 :: v_dual_mov_b32 v17, v11
	s_delay_alu instid0(VALU_DEP_3) | instskip(NEXT) | instid1(VALU_DEP_2)
	v_readfirstlane_b32 s4, v4
	v_pk_add_f32 v[8:9], v[12:13], v[6:7] neg_lo:[0,1] neg_hi:[0,1]
	s_delay_alu instid0(VALU_DEP_2) | instskip(NEXT) | instid1(VALU_DEP_2)
	v_dual_mov_b32 v4, v13 :: v_dual_mov_b32 v10, s4
	v_dual_mov_b32 v15, v8 :: v_dual_mov_b32 v1, v8
	s_delay_alu instid0(VALU_DEP_1) | instskip(NEXT) | instid1(VALU_DEP_2)
	v_pk_add_f32 v[6:7], v[16:17], v[14:15] neg_lo:[0,1] neg_hi:[0,1]
	v_pk_add_f32 v[2:3], v[2:3], v[0:1] neg_lo:[0,1] neg_hi:[0,1]
	v_mov_b32_e32 v2, s4
	s_delay_alu instid0(VALU_DEP_3) | instskip(NEXT) | instid1(VALU_DEP_1)
	v_pk_add_f32 v[4:5], v[4:5], v[6:7] neg_lo:[0,1] neg_hi:[0,1]
	v_pk_add_f32 v[2:3], v[2:3], v[4:5]
	s_delay_alu instid0(VALU_DEP_1) | instskip(NEXT) | instid1(VALU_DEP_2)
	v_readfirstlane_b32 s5, v2
	v_mov_b32_e32 v6, v3
	s_delay_alu instid0(VALU_DEP_1) | instskip(NEXT) | instid1(VALU_DEP_3)
	v_pk_add_f32 v[6:7], v[2:3], v[6:7]
	v_mov_b32_e32 v2, s5
	s_delay_alu instid0(VALU_DEP_2) | instskip(SKIP_1) | instid1(VALU_DEP_2)
	v_pk_add_f32 v[8:9], v[12:13], v[6:7]
	v_mov_b32_e32 v5, v6
	v_readfirstlane_b32 s6, v8
	s_delay_alu instid0(VALU_DEP_1) | instskip(NEXT) | instid1(VALU_DEP_1)
	v_mov_b32_e32 v3, s6
	v_pk_add_f32 v[2:3], v[2:3], v[10:11] neg_lo:[0,1] neg_hi:[0,1]
	s_delay_alu instid0(VALU_DEP_1) | instskip(NEXT) | instid1(VALU_DEP_2)
	v_readfirstlane_b32 s7, v2
	v_pk_add_f32 v[2:3], v[4:5], v[2:3] neg_lo:[0,1] neg_hi:[0,1]
	s_sub_f32 s5, s5, s7
	s_delay_alu instid0(VALU_DEP_1) | instskip(NEXT) | instid1(SALU_CYCLE_2)
	v_readfirstlane_b32 s7, v2
	s_sub_f32 s4, s4, s5
	v_readfirstlane_b32 s5, v3
	s_delay_alu instid0(SALU_CYCLE_2) | instskip(NEXT) | instid1(SALU_CYCLE_3)
	s_add_f32 s4, s7, s4
	s_add_f32 s4, s4, s5
	s_delay_alu instid0(SALU_CYCLE_3) | instskip(NEXT) | instid1(SALU_CYCLE_3)
	s_add_f32 s5, s6, s4
	s_mul_f32 s7, s3, s5
	s_sub_f32 s6, s5, s6
	s_delay_alu instid0(SALU_CYCLE_2) | instskip(NEXT) | instid1(SALU_CYCLE_2)
	s_xor_b32 s8, s7, 0x80000000
	s_sub_f32 s4, s4, s6
	s_fmac_f32 s8, s3, s5
	s_delay_alu instid0(SALU_CYCLE_3) | instskip(SKIP_1) | instid1(SALU_CYCLE_2)
	s_fmac_f32 s8, s3, s4
	v_cmp_class_f32_e64 s4, s7, 0x204
	s_add_f32 s5, s7, s8
	s_and_b32 s4, s4, exec_lo
	s_delay_alu instid0(SALU_CYCLE_2) | instskip(SKIP_1) | instid1(SALU_CYCLE_1)
	s_sub_f32 s4, s5, s7
	s_cselect_b32 s5, s7, s5
	s_and_b32 s6, s5, 0x7fffffff
	s_delay_alu instid0(SALU_CYCLE_1) | instskip(SKIP_1) | instid1(SALU_CYCLE_2)
	s_sub_f32 s4, s8, s4
	s_cmp_neq_f32 s6, 0x7f800000
	s_cselect_b32 s4, s4, 0
	s_cmp_eq_f32 s5, 0x42b17218
	s_cselect_b32 s6, 0x37000000, 0
	s_delay_alu instid0(SALU_CYCLE_1) | instskip(SKIP_1) | instid1(SALU_CYCLE_2)
	s_sub_f32 s5, s5, s6
	s_add_f32 s4, s6, s4
	s_mul_f32 s7, s5, 0x3fb8aa3b
	s_delay_alu instid0(SALU_CYCLE_3) | instskip(SKIP_3) | instid1(SALU_CYCLE_1)
	s_xor_b32 s8, s7, 0x80000000
	s_rndne_f32 s9, s7
	s_fmamk_f32 s8, s5, 0x3fb8aa3b, s8
	s_cmp_nlt_f32 s5, 0xc2ce8ed0
	s_sub_f32 s7, s7, s9
	s_delay_alu instid0(SALU_CYCLE_1)
	s_fmamk_f32 s8, s5, 0x32a5705f, s8
	s_cselect_b32 vcc_lo, -1, 0
	s_cmp_ngt_f32 s5, 0x42b17218
	s_trunc_f32 s5, s3
	s_add_f32 s7, s7, s8
	s_cvt_i32_f32 s8, s9
	s_delay_alu instid0(SALU_CYCLE_2)
	v_s_exp_f32 s7, s7
	v_nop
	s_delay_alu instid0(TRANS32_DEP_1) | instid1(SALU_CYCLE_1)
	v_ldexp_f32 v1, s7, s8
	s_mul_f32 s7, s3, 0.5
	s_delay_alu instid0(VALU_DEP_1) | instskip(SKIP_3) | instid1(VALU_DEP_1)
	v_cndmask_b32_e32 v1, 0, v1, vcc_lo
	s_cselect_b32 vcc_lo, -1, 0
	s_cmp_eq_f32 s5, s3
	s_trunc_f32 s8, s7
	v_cndmask_b32_e32 v1, 0x7f800000, v1, vcc_lo
	s_cselect_b32 s9, -1, 0
	s_delay_alu instid0(SALU_CYCLE_1) | instskip(NEXT) | instid1(VALU_DEP_1)
	s_cmp_neq_f32 s8, s7
	v_fma_f32 v2, s4, v1, v1
	v_cmp_class_f32_e64 vcc_lo, v1, 0x204
	s_cselect_b32 s6, -1, 0
	s_delay_alu instid0(SALU_CYCLE_1)
	s_and_b32 s4, s9, s6
	v_cndmask_b32_e32 v1, v2, v1, vcc_lo
	s_and_b32 s6, s4, exec_lo
	s_cselect_b32 s6, s2, 1.0
	s_cmp_eq_f32 s5, s3
	v_cmp_class_f32_e64 s5, s2, 0x204
	v_bfi_b32 v1, 0x7fffffff, v1, s6
	s_cselect_b32 vcc_lo, -1, 0
	s_cmp_lt_f32 s2, 0
	s_delay_alu instid0(VALU_DEP_1) | instskip(SKIP_2) | instid1(VALU_DEP_1)
	v_cndmask_b32_e32 v2, 0x7fc00000, v1, vcc_lo
	s_cselect_b32 vcc_lo, -1, 0
	s_cmp_eq_f32 s2, 0
	v_cndmask_b32_e32 v1, v1, v2, vcc_lo
	s_cselect_b32 s6, -1, 0
	s_delay_alu instid0(SALU_CYCLE_1) | instskip(SKIP_2) | instid1(SALU_CYCLE_1)
	s_or_b32 vcc_lo, s6, s5
	s_cmp_lt_f32 s3, 0
	s_cselect_b32 s3, -1, 0
	s_xor_b32 s3, s3, s6
	s_delay_alu instid0(SALU_CYCLE_1)
	s_and_b32 s3, s3, exec_lo
	s_cselect_b32 s3, 0, 0x7f800000
	s_and_b32 s4, s4, exec_lo
	s_cselect_b32 s4, s2, 0
	s_cmp_o_f32 s2, s2
	v_mov_b32_e32 v2, s4
	s_delay_alu instid0(VALU_DEP_1) | instskip(NEXT) | instid1(VALU_DEP_1)
	v_bfi_b32 v2, 0x7fffffff, s3, v2
	v_cndmask_b32_e32 v1, v1, v2, vcc_lo
	s_cselect_b32 vcc_lo, -1, 0
	s_delay_alu instid0(VALU_DEP_1)
	v_cndmask_b32_e32 v185, 0x7fc00000, v1, vcc_lo
.LBB14_2:
	s_load_b512 s[4:19], s[0:1], 0x0
	s_wait_kmcnt 0x0
	s_bfe_u32 s2, ttmp6, 0x4000c
	v_bfe_u32 v182, v0, 10, 10
	s_add_co_i32 s2, s2, 1
	s_and_b32 s3, ttmp6, 15
	s_mul_i32 s2, ttmp9, s2
	v_and_b32_e32 v183, 0x3ff, v0
	s_add_co_i32 s3, s3, s2
	v_cmp_eq_u32_e64 s2, 0, v182
	v_mbcnt_lo_u32_b32 v184, -1, 0
	s_cmp_eq_u32 s33, 0
	s_mov_b32 s43, s39
	s_mov_b32 s37, s39
	s_mov_b32 s41, s39
	s_cselect_b32 s31, ttmp9, s3
	s_and_saveexec_b32 s22, s2
	s_cbranch_execz .LBB14_7
; %bb.3:
	s_load_b96 s[44:46], s[0:1], 0x70
	v_xor_b32_e32 v7, 2, v184
	s_wait_kmcnt 0x0
	s_mul_i32 s3, s26, s46
	s_mul_i32 s23, s44, s31
	;; [unrolled: 1-line block ×3, first 2 shown]
	s_add_co_i32 s3, s3, s23
	s_delay_alu instid0(SALU_CYCLE_1) | instskip(NEXT) | instid1(SALU_CYCLE_1)
	s_add_co_i32 s44, s3, s29
	s_ashr_i32 s45, s44, 31
	s_delay_alu instid0(SALU_CYCLE_1) | instskip(SKIP_4) | instid1(VALU_DEP_2)
	s_add_nc_u64 s[4:5], s[4:5], s[44:45]
	global_load_b128 v[8:11], v183, s[4:5] scale_offset
	s_wait_loadcnt 0x0
	v_dual_mul_f32 v6, s20, v10 :: v_dual_bitop2_b32 v5, 4, v184 bitop3:0x14
	v_dual_mov_b32 v0, v11 :: v_dual_mov_b32 v1, v9
	v_cmp_gt_i32_e32 vcc_lo, 32, v5
	v_mul_f32_e32 v4, s20, v8
	s_delay_alu instid0(VALU_DEP_3) | instskip(SKIP_2) | instid1(VALU_DEP_3)
	v_pk_mul_f32 v[2:3], s[20:21], v[0:1] op_sel_hi:[0,1]
	v_cndmask_b32_e32 v0, v184, v5, vcc_lo
	v_cmp_gt_i32_e32 vcc_lo, 32, v7
	v_max_num_f32_e64 v1, |v4|, |v3|
	s_delay_alu instid0(VALU_DEP_3) | instskip(SKIP_1) | instid1(VALU_DEP_3)
	v_dual_cndmask_b32 v7, v184, v7 :: v_dual_lshlrev_b32 v0, 2, v0
	v_fma_f32 v8, s20, v8, v3
	v_max3_num_f32 v1, v1, |v6|, |v2|
	s_delay_alu instid0(VALU_DEP_2)
	v_fmac_f32_e32 v8, s20, v10
	s_mov_b32 s20, exec_lo
	ds_bpermute_b32 v5, v0, v1
	v_add_f32_e32 v8, v8, v2
	ds_bpermute_b32 v0, v0, v8
	s_wait_dscnt 0x1
	v_dual_max_num_f32 v5, v5, v5 :: v_dual_lshlrev_b32 v7, 2, v7
	s_wait_dscnt 0x0
	s_delay_alu instid0(VALU_DEP_1) | instskip(SKIP_3) | instid1(VALU_DEP_1)
	v_dual_max_num_f32 v1, v1, v5 :: v_dual_add_f32 v0, v8, v0
	ds_bpermute_b32 v5, v7, v1
	s_wait_dscnt 0x0
	v_dual_max_num_f32 v5, v5, v5 :: v_dual_bitop2_b32 v9, 1, v184 bitop3:0x14
	v_cmp_gt_i32_e32 vcc_lo, 32, v9
	s_delay_alu instid0(VALU_DEP_2) | instskip(SKIP_1) | instid1(VALU_DEP_1)
	v_max_num_f32_e32 v1, v1, v5
	v_cndmask_b32_e32 v9, v184, v9, vcc_lo
	v_lshlrev_b32_e32 v9, 2, v9
	ds_bpermute_b32 v5, v9, v1
	s_wait_dscnt 0x0
	v_max_num_f32_e32 v5, v5, v5
	s_delay_alu instid0(VALU_DEP_1) | instskip(SKIP_2) | instid1(VALU_DEP_1)
	v_max_num_f32_e32 v10, v1, v5
	ds_bpermute_b32 v5, v7, v0
	v_div_scale_f32 v11, null, 0x42fe0000, 0x42fe0000, v10
	v_rcp_f32_e32 v12, v11
	v_nop
	s_delay_alu instid0(TRANS32_DEP_1) | instskip(NEXT) | instid1(VALU_DEP_1)
	v_fma_f32 v1, -v11, v12, 1.0
	v_fmac_f32_e32 v12, v1, v12
	v_div_scale_f32 v7, vcc_lo, v10, 0x42fe0000, v10
	s_wait_dscnt 0x0
	s_delay_alu instid0(VALU_DEP_1) | instskip(SKIP_2) | instid1(VALU_DEP_1)
	v_dual_add_f32 v1, v0, v5 :: v_dual_mul_f32 v8, v7, v12
	ds_bpermute_b32 v5, v9, v1
	v_fma_f32 v13, -v11, v8, v7
	v_fmac_f32_e32 v8, v13, v12
	s_delay_alu instid0(VALU_DEP_1) | instskip(NEXT) | instid1(VALU_DEP_1)
	v_dual_fma_f32 v0, -v11, v8, v7 :: v_dual_mov_b32 v7, 0
	v_div_fmas_f32 v0, v0, v12, v8
	s_delay_alu instid0(VALU_DEP_1) | instskip(NEXT) | instid1(VALU_DEP_1)
	v_div_fixup_f32 v0, v0, 0x42fe0000, v10
	v_cmpx_neq_f32_e32 0, v0
	s_cbranch_execz .LBB14_5
; %bb.4:
	v_div_scale_f32 v7, null, v0, v0, v4
	v_div_scale_f32 v8, null, v0, v0, v2
	;; [unrolled: 1-line block ×3, first 2 shown]
	s_delay_alu instid0(VALU_DEP_3) | instskip(NEXT) | instid1(VALU_DEP_2)
	v_rcp_f32_e32 v9, v7
	v_rcp_f32_e32 v11, v8
	v_div_scale_f32 v12, null, v0, v0, v6
	s_delay_alu instid0(VALU_DEP_2) | instskip(SKIP_1) | instid1(TRANS32_DEP_3)
	v_rcp_f32_e32 v15, v10
	v_div_scale_f32 v14, vcc_lo, v4, v0, v4
	v_fma_f32 v13, -v7, v9, 1.0
	s_delay_alu instid0(TRANS32_DEP_2) | instskip(SKIP_2) | instid1(VALU_DEP_2)
	v_fma_f32 v16, -v8, v11, 1.0
	v_rcp_f32_e32 v17, v12
	v_div_scale_f32 v21, s4, v3, v0, v3
	v_dual_fmac_f32 v9, v13, v9 :: v_dual_fmac_f32 v11, v16, v11
	v_div_scale_f32 v13, s3, v2, v0, v2
	v_fma_f32 v16, -v10, v15, 1.0
	s_delay_alu instid0(VALU_DEP_3) | instskip(NEXT) | instid1(TRANS32_DEP_1)
	v_mul_f32_e32 v19, v14, v9
	v_fma_f32 v18, -v12, v17, 1.0
	s_delay_alu instid0(VALU_DEP_4) | instskip(NEXT) | instid1(VALU_DEP_4)
	v_mul_f32_e32 v20, v13, v11
	v_fmac_f32_e32 v15, v16, v15
	s_delay_alu instid0(VALU_DEP_3) | instskip(NEXT) | instid1(VALU_DEP_3)
	v_dual_fma_f32 v16, -v7, v19, v14 :: v_dual_fmac_f32 v17, v18, v17
	v_fma_f32 v22, -v8, v20, v13
	v_div_scale_f32 v18, s5, v6, v0, v6
	s_delay_alu instid0(VALU_DEP_3) | instskip(NEXT) | instid1(VALU_DEP_1)
	v_dual_mul_f32 v23, v21, v15 :: v_dual_fmac_f32 v19, v16, v9
	v_dual_mul_f32 v16, v18, v17 :: v_dual_fma_f32 v7, -v7, v19, v14
	s_delay_alu instid0(VALU_DEP_4) | instskip(NEXT) | instid1(VALU_DEP_2)
	v_fmac_f32_e32 v20, v22, v11
	v_div_fmas_f32 v7, v7, v9, v19
	s_delay_alu instid0(VALU_DEP_2) | instskip(NEXT) | instid1(VALU_DEP_4)
	v_fma_f32 v8, -v8, v20, v13
	v_dual_fma_f32 v13, -v12, v16, v18 :: v_dual_fma_f32 v22, -v10, v23, v21
	s_mov_b32 vcc_lo, s3
	s_delay_alu instid0(VALU_DEP_3) | instskip(NEXT) | instid1(VALU_DEP_2)
	v_div_fixup_f32 v4, v7, v0, v4
	v_dual_fmac_f32 v16, v13, v17 :: v_dual_fmac_f32 v23, v22, v15
	v_div_fmas_f32 v8, v8, v11, v20
	s_mov_b32 vcc_lo, s4
	s_delay_alu instid0(VALU_DEP_2) | instskip(NEXT) | instid1(VALU_DEP_2)
	v_dual_fma_f32 v9, -v10, v23, v21 :: v_dual_fma_f32 v10, -v12, v16, v18
	v_div_fixup_f32 v2, v8, v0, v2
	v_trunc_f32_e32 v12, v4
	s_delay_alu instid0(VALU_DEP_3) | instskip(SKIP_1) | instid1(VALU_DEP_3)
	v_div_fmas_f32 v9, v9, v15, v23
	s_mov_b32 vcc_lo, s5
	v_trunc_f32_e32 v7, v2
	v_div_fmas_f32 v10, v10, v17, v16
	s_delay_alu instid0(VALU_DEP_3) | instskip(NEXT) | instid1(VALU_DEP_3)
	v_div_fixup_f32 v3, v9, v0, v3
	v_sub_f32_e32 v13, v2, v7
	s_delay_alu instid0(VALU_DEP_3) | instskip(NEXT) | instid1(VALU_DEP_3)
	v_div_fixup_f32 v6, v10, v0, v6
	v_trunc_f32_e32 v8, v3
	s_delay_alu instid0(VALU_DEP_2) | instskip(NEXT) | instid1(VALU_DEP_1)
	v_trunc_f32_e32 v9, v6
	v_dual_sub_f32 v11, v3, v8 :: v_dual_sub_f32 v10, v6, v9
	s_delay_alu instid0(VALU_DEP_1) | instskip(NEXT) | instid1(VALU_DEP_1)
	v_cmp_ge_f32_e64 s3, |v10|, 0.5
	v_cndmask_b32_e64 v10, 0, 1.0, s3
	s_delay_alu instid0(VALU_DEP_3) | instskip(NEXT) | instid1(VALU_DEP_2)
	v_cmp_ge_f32_e64 s3, |v11|, 0.5
	v_bfi_b32 v6, 0x7fffffff, v10, v6
	s_delay_alu instid0(VALU_DEP_2) | instskip(SKIP_2) | instid1(VALU_DEP_3)
	v_cndmask_b32_e64 v11, 0, 1.0, s3
	v_sub_f32_e32 v10, v4, v12
	v_cmp_ge_f32_e64 s3, |v13|, 0.5
	v_bfi_b32 v3, 0x7fffffff, v11, v3
	v_add_f32_e32 v6, v9, v6
	s_delay_alu instid0(VALU_DEP_3) | instskip(SKIP_1) | instid1(VALU_DEP_4)
	v_cndmask_b32_e64 v13, 0, 1.0, s3
	v_cmp_ge_f32_e64 s3, |v10|, 0.5
	v_add_f32_e32 v3, v8, v3
	s_delay_alu instid0(VALU_DEP_4) | instskip(NEXT) | instid1(VALU_DEP_4)
	v_cvt_i32_f32_e32 v6, v6
	v_bfi_b32 v2, 0x7fffffff, v13, v2
	s_delay_alu instid0(VALU_DEP_4) | instskip(NEXT) | instid1(VALU_DEP_4)
	v_cndmask_b32_e64 v9, 0, 1.0, s3
	v_cvt_i32_f32_e32 v3, v3
	s_delay_alu instid0(VALU_DEP_4) | instskip(NEXT) | instid1(VALU_DEP_3)
	v_and_b32_e32 v6, 0xff, v6
	v_bfi_b32 v4, 0x7fffffff, v9, v4
	v_add_f32_e32 v2, v7, v2
	s_delay_alu instid0(VALU_DEP_4) | instskip(NEXT) | instid1(VALU_DEP_3)
	v_and_b32_e32 v3, 0xff, v3
	v_dual_lshlrev_b32 v6, 16, v6 :: v_dual_add_f32 v4, v12, v4
	s_delay_alu instid0(VALU_DEP_3) | instskip(NEXT) | instid1(VALU_DEP_3)
	v_cvt_i32_f32_e32 v2, v2
	v_lshlrev_b32_e32 v3, 8, v3
	s_delay_alu instid0(VALU_DEP_3) | instskip(NEXT) | instid1(VALU_DEP_3)
	v_cvt_i32_f32_e32 v4, v4
	v_lshl_or_b32 v2, v2, 24, v6
	s_delay_alu instid0(VALU_DEP_2) | instskip(NEXT) | instid1(VALU_DEP_1)
	v_and_b32_e32 v4, 0xff, v4
	v_or3_b32 v7, v2, v3, v4
.LBB14_5:
	s_or_b32 exec_lo, exec_lo, s20
	v_dual_lshlrev_b32 v3, 2, v183 :: v_dual_bitop2_b32 v2, 7, v183 bitop3:0x40
	s_delay_alu instid0(VALU_DEP_1)
	v_cmp_eq_u32_e32 vcc_lo, 0, v2
	ds_store_b32 v3, v7
	s_and_b32 exec_lo, exec_lo, vcc_lo
	s_cbranch_execz .LBB14_7
; %bb.6:
	s_wait_dscnt 0x1
	v_add_f32_e32 v1, v1, v5
	ds_store_b64 v183, v[0:1] offset:128
.LBB14_7:
	s_or_b32 exec_lo, exec_lo, s22
	v_dual_mov_b32 v189, 0 :: v_dual_bitop2_b32 v9, 1, v183 bitop3:0x40
	s_wait_dscnt 0x0
	s_barrier_signal -1
	s_barrier_wait -1
	s_delay_alu instid0(VALU_DEP_1)
	v_lshlrev_b32_e32 v20, 2, v9
	s_ashr_i32 s29, s28, 31
	s_ashr_i32 s3, s27, 31
	;; [unrolled: 1-line block ×3, first 2 shown]
	ds_load_2addr_b32 v[22:23], v20 offset1:2
	ds_load_2addr_b32 v[24:25], v20 offset0:4 offset1:6
	ds_load_2addr_b32 v[26:27], v20 offset0:8 offset1:10
	;; [unrolled: 1-line block ×3, first 2 shown]
	ds_load_b128 v[0:3], v189 offset:128
	ds_load_b128 v[4:7], v189 offset:144
	ds_load_2addr_b32 v[30:31], v20 offset0:16 offset1:18
	ds_load_2addr_b32 v[32:33], v20 offset0:20 offset1:22
	;; [unrolled: 1-line block ×4, first 2 shown]
	s_mul_u64 s[44:45], s[38:39], s[42:43]
	s_mul_u64 s[40:41], s[36:37], s[40:41]
	s_cmp_eq_u64 s[14:15], 0
	s_wait_dscnt 0x0
	s_barrier_signal -1
	s_barrier_wait -1
	s_cbranch_scc1 .LBB14_9
; %bb.8:
	s_load_b32 s4, s[0:1], 0xd0
	s_wait_kmcnt 0x0
	s_mul_i32 s4, s4, s26
	s_delay_alu instid0(SALU_CYCLE_1)
	s_add_co_i32 s4, s4, s31
	s_load_b32 s30, s[14:15], s4 offset:0x0 scale_offset
.LBB14_9:
	v_dual_lshlrev_b32 v8, 5, v182 :: v_dual_lshlrev_b32 v188, 2, v183
	s_wait_xcnt 0x0
	s_bfe_u32 s4, ttmp6, 0x40010
	s_and_b32 s5, ttmp7, 0xffff
	s_add_co_i32 s4, s4, 1
	s_bfe_u32 s14, ttmp6, 0x40004
	s_mul_i32 s4, s5, s4
	v_add_nc_u32_e32 v186, v8, v183
	s_add_co_i32 s14, s14, s4
	s_cmp_eq_u32 s33, 0
	s_cselect_b32 s33, s5, s14
	s_delay_alu instid0(VALU_DEP_1)
	v_lshlrev_b32_e32 v187, 1, v186
	s_lshl_b32 s46, s33, 7
	s_mov_b32 s5, 0
	s_wait_kmcnt 0x0
	s_cmp_ge_i32 s46, s30
	s_cbranch_scc1 .LBB14_17
; %bb.10:
	s_load_b128 s[20:23], s[0:1], 0x98
	s_mul_i32 s37, s45, s47
	s_xor_b32 s3, s29, s3
	s_sub_co_i32 s37, s38, s37
	s_add_co_i32 s4, s45, 1
	s_sub_co_i32 s38, s37, s47
	s_cmp_ge_u32 s37, s47
	s_clause 0x2
	s_load_b64 s[42:43], s[0:1], 0xa8
	s_load_b64 s[14:15], s[0:1], 0xc8
	s_load_b32 s48, s[0:1], 0xd4
	s_cselect_b32 s4, s4, s45
	s_load_b64 s[44:45], s[0:1], 0x8c
	v_dual_add_nc_u32 v13, 31, v8 :: v_dual_add_nc_u32 v17, 30, v8
	v_dual_mov_b32 v21, 0 :: v_dual_bitop2_b32 v10, 12, v188 bitop3:0x40
	v_bfe_u32 v11, v183, 3, 27
	v_dual_add_nc_u32 v19, 29, v8 :: v_dual_add_nc_u32 v39, 28, v8
	s_cselect_b32 s37, s38, s37
	s_add_co_i32 s38, s4, 1
	s_delay_alu instid0(VALU_DEP_2)
	v_mul_hi_u32_u24_e32 v15, 22, v11
	s_wait_kmcnt 0x0
	v_mul_lo_u32 v12, v8, s22
	v_mul_lo_u32 v18, s22, v13
	v_mul_u32_u24_e32 v14, 22, v11
	v_mov_b32_e32 v11, v21
	v_mul_lo_u32 v44, s22, v39
	v_mul_lo_u32 v40, s22, v19
	s_cmp_ge_u32 s37, s47
	v_mad_nc_u64_u32 v[14:15], s42, s26, v[14:15]
	s_cselect_b32 s4, s38, s4
	v_mul_lo_u32 v38, s22, v17
	s_xor_b32 s4, s4, s3
	v_add_nc_u32_e32 v16, s22, v12
	s_sub_co_i32 s3, s4, s3
	s_mul_i32 s4, s43, s26
	s_mul_i32 s38, s3, s23
	;; [unrolled: 1-line block ×3, first 2 shown]
	v_dual_add_nc_u32 v42, s22, v16 :: v_dual_ashrrev_i32 v19, 31, v18
	s_delay_alu instid0(VALU_DEP_4) | instskip(SKIP_2) | instid1(VALU_DEP_3)
	v_add3_u32 v15, s23, s4, v15
	s_ashr_i32 s39, s38, 31
	v_dual_add_nc_u32 v49, 27, v8 :: v_dual_add_nc_u32 v55, 26, v8
	v_dual_add_nc_u32 v46, s22, v42 :: v_dual_ashrrev_i32 v13, 31, v12
	s_delay_alu instid0(VALU_DEP_3) | instskip(SKIP_1) | instid1(VALU_DEP_3)
	v_add_nc_u64_e32 v[10:11], v[14:15], v[10:11]
	v_add_nc_u64_e32 v[50:51], s[38:39], v[14:15]
	v_dual_ashrrev_i32 v45, 31, v44 :: v_dual_add_nc_u32 v48, s22, v46
	s_delay_alu instid0(VALU_DEP_4) | instskip(SKIP_1) | instid1(VALU_DEP_3)
	v_add_nc_u64_e32 v[14:15], v[14:15], v[12:13]
	v_dual_ashrrev_i32 v39, 31, v38 :: v_dual_ashrrev_i32 v41, 31, v40
	v_dual_ashrrev_i32 v43, 31, v42 :: v_dual_add_nc_u32 v52, s22, v48
	v_add_nc_u64_e32 v[12:13], v[10:11], v[12:13]
	v_add_nc_u64_e32 v[10:11], s[38:39], v[10:11]
	s_delay_alu instid0(VALU_DEP_4) | instskip(NEXT) | instid1(VALU_DEP_4)
	v_add_nc_u64_e32 v[70:71], v[50:51], v[38:39]
	v_dual_ashrrev_i32 v47, 31, v46 :: v_dual_add_nc_u32 v54, s22, v52
	v_ashrrev_i32_e32 v17, 31, v16
	v_add_nc_u64_e32 v[74:75], v[50:51], v[40:41]
	v_add_nc_u64_e32 v[78:79], v[50:51], v[44:45]
	;; [unrolled: 1-line block ×3, first 2 shown]
	v_add_nc_u32_e32 v58, s22, v54
	v_add_nc_u64_e32 v[64:65], v[10:11], v[40:41]
	v_mul_lo_u32 v40, s22, v49
	v_add_nc_u64_e32 v[68:69], v[10:11], v[44:45]
	s_delay_alu instid0(VALU_DEP_4) | instskip(SKIP_2) | instid1(VALU_DEP_3)
	v_dual_ashrrev_i32 v49, 31, v48 :: v_dual_add_nc_u32 v60, s22, v58
	v_mul_lo_u32 v44, s22, v55
	v_dual_ashrrev_i32 v59, 31, v58 :: v_dual_add_nc_u32 v45, 25, v8
	v_dual_ashrrev_i32 v55, 31, v54 :: v_dual_add_nc_u32 v38, s22, v60
	v_ashrrev_i32_e32 v53, 31, v52
	v_dual_add_nc_u32 v81, 24, v8 :: v_dual_add_nc_u32 v98, 23, v8
	s_delay_alu instid0(VALU_DEP_4) | instskip(NEXT) | instid1(VALU_DEP_4)
	v_mul_lo_u32 v80, s22, v45
	v_dual_add_nc_u32 v72, s22, v38 :: v_dual_add_nc_u32 v99, 22, v8
	v_add_nc_u32_e32 v103, 21, v8
	s_delay_alu instid0(VALU_DEP_4) | instskip(SKIP_1) | instid1(VALU_DEP_4)
	v_mul_lo_u32 v90, s22, v81
	v_dual_ashrrev_i32 v61, 31, v60 :: v_dual_ashrrev_i32 v39, 31, v38
	v_dual_add_nc_u32 v76, s22, v72 :: v_dual_ashrrev_i32 v73, 31, v72
	v_mul_lo_u32 v102, s22, v99
	v_mul_lo_u32 v106, s22, v103
	v_ashrrev_i32_e32 v81, 31, v80
	s_delay_alu instid0(VALU_DEP_4) | instskip(SKIP_2) | instid1(VALU_DEP_3)
	v_dual_add_nc_u32 v82, s22, v76 :: v_dual_ashrrev_i32 v77, 31, v76
	v_ashrrev_i32_e32 v41, 31, v40
	v_dual_ashrrev_i32 v45, 31, v44 :: v_dual_ashrrev_i32 v91, 31, v90
	v_ashrrev_i32_e32 v83, 31, v82
	v_add_nc_u64_e32 v[94:95], v[10:11], v[80:81]
	s_delay_alu instid0(VALU_DEP_4)
	v_add_nc_u64_e32 v[84:85], v[10:11], v[40:41]
	v_add_nc_u64_e32 v[86:87], v[50:51], v[40:41]
	v_add_nc_u32_e32 v40, s22, v82
	v_add_nc_u64_e32 v[88:89], v[10:11], v[44:45]
	v_add_nc_u64_e32 v[92:93], v[50:51], v[44:45]
	;; [unrolled: 1-line block ×4, first 2 shown]
	v_dual_add_nc_u32 v44, s22, v40 :: v_dual_ashrrev_i32 v41, 31, v40
	v_add_nc_u32_e32 v99, 20, v8
	v_add_nc_u64_e32 v[108:109], v[50:51], v[90:91]
	v_add_nc_u32_e32 v91, 19, v8
	s_delay_alu instid0(VALU_DEP_4) | instskip(SKIP_3) | instid1(VALU_DEP_1)
	v_dual_add_nc_u32 v80, s22, v44 :: v_dual_ashrrev_i32 v45, 31, v44
	s_mul_i32 s4, s41, s34
	s_mul_i32 s40, s3, s45
	s_sub_co_i32 s3, s36, s4
	v_dual_ashrrev_i32 v81, 31, v80 :: v_dual_add_nc_u32 v104, s22, v80
	v_mul_lo_u32 v98, s22, v98
	v_mul_lo_u32 v110, s22, v99
	;; [unrolled: 1-line block ×3, first 2 shown]
	s_delay_alu instid0(VALU_DEP_4)
	v_dual_ashrrev_i32 v103, 31, v102 :: v_dual_ashrrev_i32 v105, 31, v104
	v_add_nc_u32_e32 v90, s22, v104
	v_add_nc_u64_e32 v[160:161], v[10:11], v[38:39]
	v_add_nc_u64_e32 v[162:163], v[50:51], v[38:39]
	v_and_b32_e32 v38, 30, v184
	s_ashr_i32 s41, s40, 31
	s_sub_co_i32 s4, s3, s34
	s_cmp_ge_u32 s3, s34
	v_dual_ashrrev_i32 v91, 31, v90 :: v_dual_add_nc_u32 v118, s22, v90
	s_cselect_b32 s3, s4, s3
	v_dual_ashrrev_i32 v107, 31, v106 :: v_dual_bitop2_b32 v39, 1, v184 bitop3:0x14
	v_add_nc_u32_e32 v38, 2, v38
	s_sub_co_i32 s4, s3, s34
	s_cmp_ge_u32 s3, s34
	v_dual_ashrrev_i32 v99, 31, v98 :: v_dual_ashrrev_i32 v113, 31, v112
	s_cselect_b32 s3, s4, s3
	v_cmp_lt_i32_e32 vcc_lo, v39, v38
	v_ashrrev_i32_e32 v119, 31, v118
	s_xor_b32 s4, s3, s27
	v_cmp_eq_u32_e64 s3, 0, v9
	v_and_b32_e32 v9, 0x7e, v183
	v_ashrrev_i32_e32 v111, 31, v110
	v_add_nc_u64_e32 v[56:57], v[50:51], v[16:17]
	v_add_nc_u64_e32 v[66:67], v[50:51], v[18:19]
	;; [unrolled: 1-line block ×28, first 2 shown]
	v_add_nc_u32_e32 v43, v8, v9
	v_cndmask_b32_e32 v9, v184, v39, vcc_lo
	v_add_nc_u64_e32 v[158:159], v[50:51], v[72:73]
	v_xor_b32_e32 v38, 4, v184
	v_add_nc_u64_e32 v[198:199], v[50:51], v[46:47]
	v_mul_lo_u32 v72, v43, s44
	v_dual_lshlrev_b32 v190, 2, v9 :: v_dual_bitop2_b32 v9, 2, v184 bitop3:0x14
	v_add_nc_u64_e32 v[146:147], v[50:51], v[40:41]
	s_mul_u64 s[36:37], s[20:21], s[26:27]
	s_sub_co_i32 s42, s4, s27
	s_mul_i32 s50, s35, s31
	v_cmp_gt_i32_e32 vcc_lo, 32, v9
	v_lshlrev_b32_e32 v195, 1, v8
	s_ashr_i32 s43, s42, 31
	s_ashr_i32 s51, s50, 31
	v_dual_ashrrev_i32 v73, 31, v72 :: v_dual_add_nc_u32 v46, s44, v72
	v_dual_cndmask_b32 v9, v184, v9, vcc_lo :: v_dual_bitop2_b32 v39, 8, v184 bitop3:0x14
	v_cmp_gt_i32_e32 vcc_lo, 32, v38
	s_cmp_lg_u64 s[10:11], 0
	s_delay_alu instid0(VALU_DEP_3)
	v_ashrrev_i32_e32 v47, 31, v46
	s_cselect_b32 s27, -1, 0
	v_dual_cndmask_b32 v38, v184, v38 :: v_dual_lshlrev_b32 v191, 2, v9
	v_cmp_gt_i32_e32 vcc_lo, 32, v39
	v_xor_b32_e32 v40, 16, v184
	v_add_nc_u64_e32 v[8:9], s[36:37], v[20:21]
	s_lshl_b32 s20, s48, 7
	s_mul_u64 s[42:43], s[14:15], s[42:43]
	v_cndmask_b32_e32 v39, v184, v39, vcc_lo
	v_cmp_gt_i32_e32 vcc_lo, 32, v40
	v_lshlrev_b32_e32 v192, 2, v38
	s_mul_i32 s14, s44, s46
	s_mul_i32 s34, s20, s44
	s_lshl_b32 s44, s46, 1
	v_dual_cndmask_b32 v40, v184, v40, vcc_lo :: v_dual_add_f32 v38, v7, v7
	s_mov_b32 s45, s5
	v_add_nc_u64_e32 v[142:143], v[50:51], v[44:45]
	v_add_nc_u64_e32 v[196:197], v[50:51], v[48:49]
	s_delay_alu instid0(VALU_DEP_3)
	v_dual_lshlrev_b32 v194, 2, v40 :: v_dual_add_f32 v40, v5, v5
	v_dual_mov_b32 v45, v21 :: v_dual_lshlrev_b32 v44, 1, v43
	v_add_nc_u64_e32 v[48:49], v[8:9], v[46:47]
	v_add_nc_u64_e32 v[8:9], s[40:41], v[8:9]
	s_add_nc_u64 s[42:43], s[42:43], s[44:45]
	s_add_nc_u64 s[10:11], s[10:11], s[50:51]
	v_add_nc_u64_e32 v[98:99], v[50:51], v[98:99]
	s_add_nc_u64 s[10:11], s[10:11], s[42:43]
	v_add_nc_u64_e32 v[102:103], v[50:51], v[102:103]
	v_add_nc_u64_e32 v[106:107], v[50:51], v[106:107]
	;; [unrolled: 1-line block ×13, first 2 shown]
	s_add_nc_u64 s[10:11], s[8:9], s[38:39]
	v_add_nc_u64_e32 v[8:9], v[8:9], v[72:73]
	v_add_nc_u64_e32 v[12:13], s[10:11], v[12:13]
	;; [unrolled: 1-line block ×3, first 2 shown]
	s_add_nc_u64 s[42:43], s[6:7], s[40:41]
	v_add_nc_u64_e32 v[82:83], s[8:9], v[86:87]
	v_add_nc_u64_e32 v[44:45], s[42:43], v[48:49]
	;; [unrolled: 1-line block ×9, first 2 shown]
	s_add_nc_u64 s[10:11], s[36:37], s[40:41]
	v_add_nc_u64_e32 v[86:87], s[8:9], v[92:93]
	s_add_nc_u64 s[6:7], s[6:7], s[10:11]
	v_add_nc_u64_e32 v[64:65], 6, v[8:9]
	v_add_nc_u64_e32 v[8:9], s[8:9], v[68:69]
	v_add_nc_u64_e32 v[68:69], 6, v[12:13]
	v_add_nc_u64_e32 v[12:13], s[8:9], v[84:85]
	v_add_nc_u64_e32 v[62:63], s[6:7], v[72:73]
	v_add_nc_u64_e32 v[72:73], 6, v[14:15]
	v_add_nc_u64_e32 v[14:15], s[8:9], v[88:89]
	v_add_nc_u64_e32 v[90:91], s[8:9], v[96:97]
	v_add_nc_u64_e32 v[76:77], 6, v[8:9]
	v_add_nc_u64_e32 v[8:9], s[8:9], v[94:95]
	v_add_nc_u64_e32 v[80:81], 6, v[12:13]
	v_add_nc_u64_e32 v[12:13], s[8:9], v[100:101]
	v_add_nc_u64_e32 v[94:95], s[8:9], v[108:109]
	v_add_nc_u64_e32 v[84:85], 6, v[14:15]
	v_add_nc_u64_e32 v[14:15], s[8:9], v[114:115]
	v_add_nc_u64_e32 v[16:17], s[8:9], v[16:17]
	v_add_nc_u64_e32 v[88:89], 6, v[8:9]
	v_add_nc_u64_e32 v[8:9], s[8:9], v[116:117]
	v_add_nc_u64_e32 v[92:93], 6, v[12:13]
	v_add_nc_u64_e32 v[12:13], s[8:9], v[120:121]
	v_add_nc_u64_e32 v[10:11], s[8:9], v[10:11]
	v_add_nc_u64_e32 v[96:97], 6, v[14:15]
	v_add_nc_u64_e32 v[14:15], s[8:9], v[122:123]
	v_dual_add_f32 v42, v3, v3 :: v_dual_mov_b32 v3, v2
	v_add_nc_u64_e32 v[100:101], 6, v[8:9]
	v_add_nc_u64_e32 v[8:9], s[8:9], v[124:125]
	v_add_nc_u64_e32 v[104:105], 6, v[12:13]
	v_add_nc_u64_e32 v[12:13], s[8:9], v[112:113]
	v_add_nc_u64_e32 v[108:109], 6, v[14:15]
	v_add_nc_u64_e32 v[14:15], s[8:9], v[128:129]
	v_add_nc_u64_e32 v[114:115], s[8:9], v[126:127]
	v_add_nc_u64_e32 v[126:127], s[8:9], v[134:135]
	v_add_nc_u64_e32 v[112:113], 6, v[8:9]
	v_add_nc_u64_e32 v[8:9], s[8:9], v[132:133]
	v_add_nc_u64_e32 v[116:117], 6, v[12:13]
	v_add_nc_u64_e32 v[12:13], s[8:9], v[136:137]
	v_add_nc_u64_e32 v[120:121], 6, v[14:15]
	v_add_nc_u64_e32 v[14:15], s[8:9], v[140:141]
	v_add_nc_u64_e32 v[134:135], s[8:9], v[142:143]
	v_add_nc_u64_e32 v[142:143], s[8:9], v[150:151]
	v_add_nc_u64_e32 v[124:125], 6, v[8:9]
	v_add_nc_u64_e32 v[8:9], s[8:9], v[144:145]
	v_add_nc_u64_e32 v[128:129], 6, v[12:13]
	v_add_nc_u64_e32 v[12:13], s[8:9], v[148:149]
	v_add_nc_u64_e32 v[132:133], 6, v[14:15]
	v_add_nc_u64_e32 v[14:15], s[8:9], v[152:153]
	v_add_nc_u64_e32 v[150:151], s[8:9], v[158:159]
	v_add_nc_u64_e32 v[158:159], s[8:9], v[166:167]
	v_add_nc_u64_e32 v[136:137], 6, v[8:9]
	v_add_nc_u64_e32 v[8:9], s[8:9], v[156:157]
	v_add_nc_u64_e32 v[140:141], 6, v[12:13]
	v_add_nc_u64_e32 v[12:13], s[8:9], v[160:161]
	v_add_nc_u64_e32 v[144:145], 6, v[14:15]
	v_add_nc_u64_e32 v[14:15], s[8:9], v[164:165]
	v_add_nc_u64_e32 v[166:167], s[8:9], v[174:175]
	v_add_nc_u64_e32 v[174:175], s[8:9], v[196:197]
	v_add_nc_u64_e32 v[148:149], 6, v[8:9]
	v_add_nc_u64_e32 v[8:9], s[8:9], v[168:169]
	v_add_nc_u64_e32 v[152:153], 6, v[12:13]
	v_add_nc_u64_e32 v[12:13], s[8:9], v[172:173]
	v_add_nc_u64_e32 v[156:157], 6, v[14:15]
	v_add_nc_u64_e32 v[14:15], s[8:9], v[180:181]
	v_and_b32_e32 v196, 28, v188
	s_add_nc_u64 s[38:39], s[42:43], s[36:37]
	v_add_nc_u64_e32 v[160:161], 6, v[8:9]
	v_add_nc_u64_e32 v[8:9], s[8:9], v[176:177]
	;; [unrolled: 1-line block ×28, first 2 shown]
	v_dual_lshlrev_b32 v193, 2, v39 :: v_dual_mov_b32 v7, v6
	v_dual_mov_b32 v39, v38 :: v_dual_mov_b32 v5, v4
	v_dual_mov_b32 v41, v40 :: v_dual_mov_b32 v43, v42
	v_dual_add_f32 v1, v1, v1 :: v_dual_bitop2_b32 v197, 8, v20 bitop3:0x54
	v_dual_mov_b32 v189, v21 :: v_dual_bitop2_b32 v198, 16, v20 bitop3:0x54
	v_or_b32_e32 v199, 24, v20
	v_and_b32_e32 v200, 4, v183
	v_dual_mov_b32 v9, 0xfeffffff :: v_dual_mov_b32 v8, v21
	v_or_b32_e32 v201, 1, v196
	v_or_b32_e32 v202, 2, v196
	v_or_b32_e32 v203, 3, v196
	s_mov_b32 s21, s5
	s_mul_i32 s4, s22, s46
	s_mov_b32 s15, s5
	s_mov_b32 s35, s5
	s_mul_i32 s22, s20, s22
	s_mov_b32 s23, s5
	s_lshl_b64 s[6:7], s[20:21], 1
.LBB14_11:                              ; =>This Inner Loop Header: Depth=1
	v_add_nc_u64_e32 v[12:13], s[14:15], v[56:57]
	v_add_nc_u64_e32 v[10:11], s[14:15], v[62:63]
	s_and_b32 vcc_lo, exec_lo, s27
	global_load_b32 v14, v[12:13], off offset:6
	global_load_b32 v15, v[10:11], off offset:2
	s_wait_loadcnt 0x1
	v_and_b32_e32 v18, 0xf0f0f0f, v14
	s_wait_loadcnt 0x0
	v_dual_ashrrev_i32 v16, v20, v15 :: v_dual_lshrrev_b32 v14, 4, v14
	s_delay_alu instid0(VALU_DEP_1) | instskip(NEXT) | instid1(VALU_DEP_2)
	v_lshlrev_b32_e32 v17, 4, v16
	v_and_b32_e32 v14, 0xf0f0f0f, v14
	s_delay_alu instid0(VALU_DEP_2) | instskip(SKIP_1) | instid1(VALU_DEP_2)
	v_dual_lshlrev_b32 v19, 11, v16 :: v_dual_bitop2_b32 v17, 16, v17 bitop3:0x40
	v_dual_lshlrev_b32 v204, 18, v16 :: v_dual_lshlrev_b32 v16, 25, v16
	v_and_b32_e32 v19, 0x1000, v19
	s_delay_alu instid0(VALU_DEP_2) | instskip(NEXT) | instid1(VALU_DEP_3)
	v_and_b32_e32 v204, 0x100000, v204
	v_and_b32_e32 v16, 0x10000000, v16
	s_delay_alu instid0(VALU_DEP_1)
	v_or3_b32 v16, v16, v18, v204
	global_load_b32 v18, v[12:13], off offset:14
	v_or3_b32 v16, v16, v17, v19
	global_load_u16 v17, v[10:11], off
	v_ashrrev_i32_e32 v19, v197, v15
	v_dot4_i32_iu8 v16, v16, v22, 0 neg_lo:[1,1,0]
	s_delay_alu instid0(VALU_DEP_2) | instskip(SKIP_1) | instid1(VALU_DEP_3)
	v_dual_lshlrev_b32 v204, 4, v19 :: v_dual_lshlrev_b32 v206, 11, v19
	v_lshlrev_b32_e32 v207, 18, v19
	v_cvt_f32_i32_e32 v16, v16
	s_delay_alu instid0(VALU_DEP_3) | instskip(NEXT) | instid1(VALU_DEP_4)
	v_dual_lshlrev_b32 v19, 25, v19 :: v_dual_bitop2_b32 v204, 16, v204 bitop3:0x40
	v_and_b32_e32 v206, 0x1000, v206
	s_delay_alu instid0(VALU_DEP_4) | instskip(NEXT) | instid1(VALU_DEP_4)
	v_and_b32_e32 v207, 0x100000, v207
	v_fma_f32 v16, v0, v16, -v1
	s_delay_alu instid0(VALU_DEP_4) | instskip(NEXT) | instid1(VALU_DEP_1)
	v_and_b32_e32 v19, 0x10000000, v19
	v_or3_b32 v19, v207, v19, v204
	s_wait_loadcnt 0x1
	v_and_b32_e32 v205, 0xf0f0f0f, v18
	s_delay_alu instid0(VALU_DEP_1) | instskip(SKIP_2) | instid1(VALU_DEP_2)
	v_or3_b32 v19, v19, v206, v205
	s_wait_loadcnt 0x0
	v_fma_mix_f32 v16, v16, v17, 0 op_sel_hi:[0,1,0]
	v_dot4_i32_iu8 v19, v19, v23, 0 neg_lo:[1,1,0]
	s_delay_alu instid0(VALU_DEP_1) | instskip(NEXT) | instid1(VALU_DEP_1)
	v_cvt_f32_i32_e32 v19, v19
	v_fma_f32 v19, v0, v19, -v1
	s_delay_alu instid0(VALU_DEP_1) | instskip(SKIP_1) | instid1(VALU_DEP_1)
	v_fma_mix_f32 v16, v19, v17, v16 op_sel_hi:[0,1,0]
	v_dual_ashrrev_i32 v19, v198, v15 :: v_dual_ashrrev_i32 v15, v199, v15
	v_dual_lshlrev_b32 v204, 4, v19 :: v_dual_lshlrev_b32 v205, 11, v19
	v_dual_lshlrev_b32 v206, 18, v19 :: v_dual_lshlrev_b32 v19, 25, v19
	s_delay_alu instid0(VALU_DEP_2) | instskip(NEXT) | instid1(VALU_DEP_3)
	v_and_b32_e32 v204, 16, v204
	v_and_b32_e32 v205, 0x1000, v205
	s_delay_alu instid0(VALU_DEP_3) | instskip(NEXT) | instid1(VALU_DEP_4)
	v_and_b32_e32 v206, 0x100000, v206
	v_and_b32_e32 v19, 0x10000000, v19
	s_delay_alu instid0(VALU_DEP_1) | instskip(SKIP_1) | instid1(VALU_DEP_2)
	v_or3_b32 v14, v19, v14, v206
	v_lshlrev_b32_e32 v19, 11, v15
	v_or3_b32 v14, v14, v204, v205
	v_lshlrev_b32_e32 v204, 18, v15
	s_delay_alu instid0(VALU_DEP_3) | instskip(NEXT) | instid1(VALU_DEP_3)
	v_and_b32_e32 v19, 0x1000, v19
	v_dot4_i32_iu8 v14, v14, v24, 0 neg_lo:[1,1,0]
	s_delay_alu instid0(VALU_DEP_3) | instskip(NEXT) | instid1(VALU_DEP_2)
	v_and_b32_e32 v204, 0x100000, v204
	v_cvt_f32_i32_e32 v14, v14
	s_delay_alu instid0(VALU_DEP_1) | instskip(NEXT) | instid1(VALU_DEP_1)
	v_fma_f32 v14, v0, v14, -v1
	v_fma_mix_f32 v14, v14, v17, v16 op_sel_hi:[0,1,0]
	v_dual_lshrrev_b32 v16, 4, v18 :: v_dual_lshlrev_b32 v18, 4, v15
	v_lshlrev_b32_e32 v15, 25, v15
	s_delay_alu instid0(VALU_DEP_2) | instskip(NEXT) | instid1(VALU_DEP_3)
	v_and_b32_e32 v16, 0xf0f0f0f, v16
	v_and_b32_e32 v18, 16, v18
	s_delay_alu instid0(VALU_DEP_3) | instskip(NEXT) | instid1(VALU_DEP_1)
	v_and_b32_e32 v15, 0x10000000, v15
	v_or3_b32 v15, v204, v15, v18
	s_delay_alu instid0(VALU_DEP_1) | instskip(SKIP_3) | instid1(VALU_DEP_1)
	v_or3_b32 v15, v15, v19, v16
	global_load_b32 v18, v[12:13], off offset:28
	global_load_b32 v19, v[10:11], off offset:24
	v_dot4_i32_iu8 v15, v15, v25, 0 neg_lo:[1,1,0]
	v_cvt_f32_i32_e32 v15, v15
	s_delay_alu instid0(VALU_DEP_1) | instskip(NEXT) | instid1(VALU_DEP_1)
	v_fma_f32 v15, v0, v15, -v1
	v_fma_mix_f32 v15, v15, v17, v14 op_sel_hi:[0,1,0]
	s_wait_loadcnt 0x1
	v_and_b32_e32 v17, 0xf0f0f0f, v18
	s_wait_loadcnt 0x0
	v_ashrrev_i32_e32 v14, v20, v19
	s_delay_alu instid0(VALU_DEP_1) | instskip(SKIP_1) | instid1(VALU_DEP_2)
	v_dual_lshlrev_b32 v16, 4, v14 :: v_dual_lshlrev_b32 v204, 11, v14
	v_dual_lshlrev_b32 v205, 18, v14 :: v_dual_lshlrev_b32 v14, 25, v14
	v_and_b32_e32 v16, 16, v16
	s_delay_alu instid0(VALU_DEP_3) | instskip(NEXT) | instid1(VALU_DEP_3)
	v_and_b32_e32 v204, 0x1000, v204
	v_and_b32_e32 v205, 0x100000, v205
	s_delay_alu instid0(VALU_DEP_4) | instskip(NEXT) | instid1(VALU_DEP_1)
	v_and_b32_e32 v14, 0x10000000, v14
	v_or3_b32 v14, v14, v17, v205
	v_ashrrev_i32_e32 v17, v197, v19
	s_delay_alu instid0(VALU_DEP_2)
	v_or3_b32 v14, v14, v16, v204
	global_load_b32 v204, v[12:13], off offset:36
	v_dual_lshlrev_b32 v205, 4, v17 :: v_dual_lshlrev_b32 v207, 11, v17
	v_lshlrev_b32_e32 v208, 18, v17
	v_dot4_i32_iu8 v16, v14, v26, 0 neg_lo:[1,1,0]
	global_load_u16 v14, v[10:11], off offset:22
	v_lshlrev_b32_e32 v17, 25, v17
	v_and_b32_e32 v205, 16, v205
	v_and_b32_e32 v208, 0x100000, v208
	;; [unrolled: 1-line block ×3, first 2 shown]
	v_cvt_f32_i32_e32 v16, v16
	v_and_b32_e32 v17, 0x10000000, v17
	s_delay_alu instid0(VALU_DEP_1) | instskip(SKIP_2) | instid1(VALU_DEP_1)
	v_or3_b32 v17, v208, v17, v205
	s_wait_loadcnt 0x1
	v_and_b32_e32 v206, 0xf0f0f0f, v204
	v_or3_b32 v17, v17, v207, v206
	s_wait_loadcnt 0x0
	v_cvt_f32_f16_e32 v14, v14
	s_delay_alu instid0(VALU_DEP_2) | instskip(NEXT) | instid1(VALU_DEP_1)
	v_dot4_i32_iu8 v17, v17, v27, 0 neg_lo:[1,1,0]
	v_cvt_f32_i32_e32 v17, v17
	s_delay_alu instid0(VALU_DEP_1) | instskip(NEXT) | instid1(VALU_DEP_1)
	v_pk_fma_f32 v[16:17], v[2:3], v[16:17], v[42:43] neg_lo:[0,0,1] neg_hi:[0,0,1]
	v_pk_mul_f32 v[16:17], v[16:17], v[14:15] op_sel_hi:[1,0]
	s_delay_alu instid0(VALU_DEP_1) | instskip(NEXT) | instid1(VALU_DEP_1)
	v_dual_add_f32 v15, v15, v16 :: v_dual_ashrrev_i32 v16, v198, v19
	v_dual_add_f32 v205, v15, v17 :: v_dual_lshlrev_b32 v17, 4, v16
	v_dual_lshrrev_b32 v15, 4, v18 :: v_dual_lshlrev_b32 v18, 11, v16
	v_dual_lshlrev_b32 v206, 18, v16 :: v_dual_lshlrev_b32 v16, 25, v16
	s_delay_alu instid0(VALU_DEP_3) | instskip(NEXT) | instid1(VALU_DEP_3)
	v_and_b32_e32 v17, 16, v17
	v_and_b32_e32 v15, 0xf0f0f0f, v15
	s_delay_alu instid0(VALU_DEP_4) | instskip(NEXT) | instid1(VALU_DEP_4)
	v_and_b32_e32 v18, 0x1000, v18
	v_and_b32_e32 v206, 0x100000, v206
	v_and_b32_e32 v16, 0x10000000, v16
	s_delay_alu instid0(VALU_DEP_1) | instskip(NEXT) | instid1(VALU_DEP_1)
	v_or3_b32 v15, v16, v15, v206
	v_or3_b32 v15, v15, v17, v18
	v_dual_ashrrev_i32 v17, v199, v19 :: v_dual_lshrrev_b32 v16, 4, v204
	s_delay_alu instid0(VALU_DEP_2) | instskip(NEXT) | instid1(VALU_DEP_2)
	v_dot4_i32_iu8 v15, v15, v28, 0 neg_lo:[1,1,0]
	v_dual_lshlrev_b32 v18, 4, v17 :: v_dual_lshlrev_b32 v204, 18, v17
	s_delay_alu instid0(VALU_DEP_3) | instskip(SKIP_1) | instid1(VALU_DEP_3)
	v_and_b32_e32 v16, 0xf0f0f0f, v16
	v_dual_lshlrev_b32 v19, 11, v17 :: v_dual_lshlrev_b32 v17, 25, v17
	v_and_b32_e32 v18, 16, v18
	s_delay_alu instid0(VALU_DEP_4) | instskip(NEXT) | instid1(VALU_DEP_3)
	v_and_b32_e32 v204, 0x100000, v204
	v_and_b32_e32 v19, 0x1000, v19
	s_delay_alu instid0(VALU_DEP_4) | instskip(NEXT) | instid1(VALU_DEP_1)
	v_and_b32_e32 v17, 0x10000000, v17
	v_or3_b32 v17, v204, v17, v18
	s_delay_alu instid0(VALU_DEP_1) | instskip(SKIP_3) | instid1(VALU_DEP_1)
	v_or3_b32 v16, v17, v19, v16
	global_load_b32 v18, v[12:13], off offset:50
	global_load_b32 v19, v[10:11], off offset:46
	v_dot4_i32_iu8 v16, v16, v29, 0 neg_lo:[1,1,0]
	v_cvt_f32_i32_e32 v17, v16
	v_cvt_f32_i32_e32 v16, v15
	s_delay_alu instid0(VALU_DEP_1) | instskip(NEXT) | instid1(VALU_DEP_1)
	v_pk_fma_f32 v[16:17], v[2:3], v[16:17], v[42:43] neg_lo:[0,0,1] neg_hi:[0,0,1]
	v_pk_mul_f32 v[14:15], v[16:17], v[14:15] op_sel_hi:[1,0]
	s_delay_alu instid0(VALU_DEP_1) | instskip(NEXT) | instid1(VALU_DEP_1)
	v_add_f32_e32 v14, v14, v205
	v_add_f32_e32 v15, v14, v15
	s_wait_loadcnt 0x1
	v_and_b32_e32 v17, 0xf0f0f0f, v18
	s_wait_loadcnt 0x0
	v_ashrrev_i32_e32 v14, v20, v19
	s_delay_alu instid0(VALU_DEP_1) | instskip(SKIP_1) | instid1(VALU_DEP_2)
	v_dual_lshlrev_b32 v16, 4, v14 :: v_dual_lshlrev_b32 v204, 11, v14
	v_dual_lshlrev_b32 v205, 18, v14 :: v_dual_lshlrev_b32 v14, 25, v14
	v_and_b32_e32 v16, 16, v16
	s_delay_alu instid0(VALU_DEP_3) | instskip(NEXT) | instid1(VALU_DEP_3)
	v_and_b32_e32 v204, 0x1000, v204
	v_and_b32_e32 v205, 0x100000, v205
	s_delay_alu instid0(VALU_DEP_4) | instskip(NEXT) | instid1(VALU_DEP_1)
	v_and_b32_e32 v14, 0x10000000, v14
	v_or3_b32 v14, v14, v17, v205
	v_ashrrev_i32_e32 v17, v197, v19
	s_delay_alu instid0(VALU_DEP_2)
	v_or3_b32 v14, v14, v16, v204
	global_load_b32 v204, v[12:13], off offset:58
	v_dual_lshlrev_b32 v205, 4, v17 :: v_dual_lshlrev_b32 v207, 11, v17
	v_lshlrev_b32_e32 v208, 18, v17
	v_dot4_i32_iu8 v16, v14, v30, 0 neg_lo:[1,1,0]
	global_load_u16 v14, v[10:11], off offset:44
	v_lshlrev_b32_e32 v17, 25, v17
	v_and_b32_e32 v205, 16, v205
	v_and_b32_e32 v208, 0x100000, v208
	v_and_b32_e32 v207, 0x1000, v207
	v_cvt_f32_i32_e32 v16, v16
	v_and_b32_e32 v17, 0x10000000, v17
	s_delay_alu instid0(VALU_DEP_1) | instskip(SKIP_2) | instid1(VALU_DEP_1)
	v_or3_b32 v17, v208, v17, v205
	s_wait_loadcnt 0x1
	v_and_b32_e32 v206, 0xf0f0f0f, v204
	v_or3_b32 v17, v17, v207, v206
	s_wait_loadcnt 0x0
	v_cvt_f32_f16_e32 v14, v14
	s_delay_alu instid0(VALU_DEP_2) | instskip(NEXT) | instid1(VALU_DEP_1)
	v_dot4_i32_iu8 v17, v17, v31, 0 neg_lo:[1,1,0]
	v_cvt_f32_i32_e32 v17, v17
	s_delay_alu instid0(VALU_DEP_1) | instskip(NEXT) | instid1(VALU_DEP_1)
	v_pk_fma_f32 v[16:17], v[4:5], v[16:17], v[40:41] neg_lo:[0,0,1] neg_hi:[0,0,1]
	v_pk_mul_f32 v[16:17], v[16:17], v[14:15] op_sel_hi:[1,0]
	s_delay_alu instid0(VALU_DEP_1) | instskip(NEXT) | instid1(VALU_DEP_1)
	v_dual_add_f32 v15, v15, v16 :: v_dual_ashrrev_i32 v16, v198, v19
	v_dual_add_f32 v205, v15, v17 :: v_dual_lshlrev_b32 v17, 4, v16
	v_dual_lshrrev_b32 v15, 4, v18 :: v_dual_lshlrev_b32 v18, 11, v16
	v_dual_lshlrev_b32 v206, 18, v16 :: v_dual_lshlrev_b32 v16, 25, v16
	s_delay_alu instid0(VALU_DEP_3) | instskip(NEXT) | instid1(VALU_DEP_3)
	v_and_b32_e32 v17, 16, v17
	v_and_b32_e32 v15, 0xf0f0f0f, v15
	s_delay_alu instid0(VALU_DEP_4) | instskip(NEXT) | instid1(VALU_DEP_4)
	v_and_b32_e32 v18, 0x1000, v18
	v_and_b32_e32 v206, 0x100000, v206
	;; [unrolled: 1-line block ×3, first 2 shown]
	s_delay_alu instid0(VALU_DEP_1) | instskip(NEXT) | instid1(VALU_DEP_1)
	v_or3_b32 v15, v16, v15, v206
	v_or3_b32 v15, v15, v17, v18
	v_dual_ashrrev_i32 v17, v199, v19 :: v_dual_lshrrev_b32 v16, 4, v204
	s_delay_alu instid0(VALU_DEP_2) | instskip(NEXT) | instid1(VALU_DEP_2)
	v_dot4_i32_iu8 v15, v15, v32, 0 neg_lo:[1,1,0]
	v_dual_lshlrev_b32 v18, 4, v17 :: v_dual_lshlrev_b32 v204, 18, v17
	s_delay_alu instid0(VALU_DEP_3) | instskip(SKIP_1) | instid1(VALU_DEP_3)
	v_and_b32_e32 v16, 0xf0f0f0f, v16
	v_dual_lshlrev_b32 v19, 11, v17 :: v_dual_lshlrev_b32 v17, 25, v17
	v_and_b32_e32 v18, 16, v18
	s_delay_alu instid0(VALU_DEP_4) | instskip(NEXT) | instid1(VALU_DEP_3)
	v_and_b32_e32 v204, 0x100000, v204
	v_and_b32_e32 v19, 0x1000, v19
	s_delay_alu instid0(VALU_DEP_4) | instskip(NEXT) | instid1(VALU_DEP_1)
	v_and_b32_e32 v17, 0x10000000, v17
	v_or3_b32 v17, v204, v17, v18
	s_delay_alu instid0(VALU_DEP_1) | instskip(NEXT) | instid1(VALU_DEP_1)
	v_or3_b32 v16, v17, v19, v16
	v_dot4_i32_iu8 v16, v16, v33, 0 neg_lo:[1,1,0]
	s_delay_alu instid0(VALU_DEP_1) | instskip(SKIP_1) | instid1(VALU_DEP_1)
	v_cvt_f32_i32_e32 v17, v16
	v_cvt_f32_i32_e32 v16, v15
	v_pk_fma_f32 v[16:17], v[4:5], v[16:17], v[40:41] neg_lo:[0,0,1] neg_hi:[0,0,1]
	s_delay_alu instid0(VALU_DEP_1) | instskip(NEXT) | instid1(VALU_DEP_1)
	v_pk_mul_f32 v[14:15], v[16:17], v[14:15] op_sel_hi:[1,0]
	v_add_f32_e32 v14, v14, v205
	s_delay_alu instid0(VALU_DEP_1)
	v_add_f32_e32 v14, v14, v15
	global_load_b32 v15, v[12:13], off offset:72
	s_clause 0x1
	global_load_b32 v16, v[10:11], off offset:68
	global_load_u16 v10, v[10:11], off offset:66
	global_load_b32 v11, v[12:13], off offset:80
	s_wait_loadcnt 0x3
	v_and_b32_e32 v19, 0xf0f0f0f, v15
	s_wait_loadcnt 0x2
	s_wait_xcnt 0x0
	v_dual_ashrrev_i32 v17, v20, v16 :: v_dual_ashrrev_i32 v12, v197, v16
	s_wait_loadcnt 0x1
	v_cvt_f32_f16_e32 v10, v10
	s_delay_alu instid0(VALU_DEP_2) | instskip(SKIP_1) | instid1(VALU_DEP_2)
	v_dual_lshlrev_b32 v18, 4, v17 :: v_dual_lshlrev_b32 v205, 18, v17
	v_dual_lshlrev_b32 v204, 11, v17 :: v_dual_lshlrev_b32 v17, 25, v17
	v_dual_lshlrev_b32 v13, 4, v12 :: v_dual_bitop2_b32 v18, 16, v18 bitop3:0x40
	s_delay_alu instid0(VALU_DEP_3) | instskip(NEXT) | instid1(VALU_DEP_3)
	v_and_b32_e32 v205, 0x100000, v205
	v_and_b32_e32 v204, 0x1000, v204
	s_delay_alu instid0(VALU_DEP_4) | instskip(NEXT) | instid1(VALU_DEP_4)
	v_and_b32_e32 v17, 0x10000000, v17
	v_and_b32_e32 v13, 16, v13
	s_delay_alu instid0(VALU_DEP_2) | instskip(SKIP_1) | instid1(VALU_DEP_2)
	v_or3_b32 v17, v17, v19, v205
	v_lshlrev_b32_e32 v19, 11, v12
	v_or3_b32 v17, v17, v18, v204
	v_dual_lshlrev_b32 v204, 18, v12 :: v_dual_lshlrev_b32 v12, 25, v12
	s_wait_loadcnt 0x0
	v_and_b32_e32 v18, 0xf0f0f0f, v11
	v_and_b32_e32 v19, 0x1000, v19
	v_dot4_i32_iu8 v17, v17, v34, 0 neg_lo:[1,1,0]
	v_and_b32_e32 v204, 0x100000, v204
	v_and_b32_e32 v12, 0x10000000, v12
	s_delay_alu instid0(VALU_DEP_1) | instskip(NEXT) | instid1(VALU_DEP_1)
	v_or3_b32 v12, v204, v12, v13
	v_or3_b32 v12, v12, v19, v18
	s_delay_alu instid0(VALU_DEP_1) | instskip(NEXT) | instid1(VALU_DEP_1)
	v_dot4_i32_iu8 v12, v12, v35, 0 neg_lo:[1,1,0]
	v_cvt_f32_i32_e32 v13, v12
	v_cvt_f32_i32_e32 v12, v17
	s_delay_alu instid0(VALU_DEP_1) | instskip(NEXT) | instid1(VALU_DEP_1)
	v_pk_fma_f32 v[12:13], v[6:7], v[12:13], v[38:39] neg_lo:[0,0,1] neg_hi:[0,0,1]
	v_pk_mul_f32 v[12:13], v[12:13], v[10:11] op_sel_hi:[1,0]
	s_delay_alu instid0(VALU_DEP_1) | instskip(NEXT) | instid1(VALU_DEP_1)
	v_dual_add_f32 v12, v14, v12 :: v_dual_lshrrev_b32 v11, 4, v11
	v_and_b32_e32 v11, 0xf0f0f0f, v11
	s_delay_alu instid0(VALU_DEP_2) | instskip(SKIP_1) | instid1(VALU_DEP_2)
	v_dual_add_f32 v14, v12, v13 :: v_dual_lshrrev_b32 v12, 4, v15
	v_ashrrev_i32_e32 v13, v198, v16
	v_and_b32_e32 v12, 0xf0f0f0f, v12
	s_delay_alu instid0(VALU_DEP_2) | instskip(NEXT) | instid1(VALU_DEP_1)
	v_lshlrev_b32_e32 v15, 4, v13
	v_dual_lshlrev_b32 v17, 11, v13 :: v_dual_bitop2_b32 v15, 16, v15 bitop3:0x40
	v_dual_lshlrev_b32 v18, 18, v13 :: v_dual_lshlrev_b32 v13, 25, v13
	s_delay_alu instid0(VALU_DEP_2) | instskip(NEXT) | instid1(VALU_DEP_2)
	v_and_b32_e32 v17, 0x1000, v17
	v_and_b32_e32 v18, 0x100000, v18
	s_delay_alu instid0(VALU_DEP_3) | instskip(NEXT) | instid1(VALU_DEP_1)
	v_and_b32_e32 v13, 0x10000000, v13
	v_or3_b32 v12, v13, v12, v18
	v_ashrrev_i32_e32 v13, v199, v16
	s_delay_alu instid0(VALU_DEP_2) | instskip(NEXT) | instid1(VALU_DEP_2)
	v_or3_b32 v12, v12, v15, v17
	v_lshlrev_b32_e32 v15, 4, v13
	s_delay_alu instid0(VALU_DEP_2) | instskip(NEXT) | instid1(VALU_DEP_2)
	v_dot4_i32_iu8 v12, v12, v36, 0 neg_lo:[1,1,0]
	v_dual_lshlrev_b32 v16, 11, v13 :: v_dual_bitop2_b32 v15, 16, v15 bitop3:0x40
	v_dual_lshlrev_b32 v17, 18, v13 :: v_dual_lshlrev_b32 v13, 25, v13
	s_delay_alu instid0(VALU_DEP_3) | instskip(NEXT) | instid1(VALU_DEP_3)
	v_cvt_f32_i32_e32 v12, v12
	v_and_b32_e32 v16, 0x1000, v16
	s_delay_alu instid0(VALU_DEP_3) | instskip(NEXT) | instid1(VALU_DEP_4)
	v_and_b32_e32 v17, 0x100000, v17
	v_and_b32_e32 v13, 0x10000000, v13
	s_delay_alu instid0(VALU_DEP_1) | instskip(NEXT) | instid1(VALU_DEP_1)
	v_or3_b32 v13, v17, v13, v15
	v_or3_b32 v11, v13, v16, v11
	s_delay_alu instid0(VALU_DEP_1) | instskip(NEXT) | instid1(VALU_DEP_1)
	v_dot4_i32_iu8 v11, v11, v37, 0 neg_lo:[1,1,0]
	v_cvt_f32_i32_e32 v13, v11
	s_delay_alu instid0(VALU_DEP_1) | instskip(NEXT) | instid1(VALU_DEP_1)
	v_pk_fma_f32 v[12:13], v[6:7], v[12:13], v[38:39] neg_lo:[0,0,1] neg_hi:[0,0,1]
	v_pk_mul_f32 v[10:11], v[12:13], v[10:11] op_sel_hi:[1,0]
	s_delay_alu instid0(VALU_DEP_1) | instskip(NEXT) | instid1(VALU_DEP_1)
	v_add_f32_e32 v10, v10, v14
	v_add_f32_e32 v10, v10, v11
	ds_bpermute_b32 v11, v190, v10
	s_wait_dscnt 0x0
	v_add_f32_e32 v10, v10, v11
	s_cbranch_vccz .LBB14_13
; %bb.12:                               ;   in Loop: Header=BB14_11 Depth=1
	global_load_u16 v11, v[48:49], off offset:-2
	s_wait_loadcnt 0x0
	v_fma_mix_f32 v10, v185, v11, v10 op_sel_hi:[0,1,0]
.LBB14_13:                              ;   in Loop: Header=BB14_11 Depth=1
	v_add_nc_u64_e32 v[14:15], s[14:15], v[44:45]
	v_add_nc_u64_e32 v[12:13], s[14:15], v[46:47]
	s_and_not1_b32 vcc_lo, exec_lo, s27
	global_load_b32 v11, v[14:15], off offset:6
	global_load_b32 v16, v[12:13], off offset:2
	s_wait_loadcnt 0x1
	v_and_b32_e32 v19, 0xf0f0f0f, v11
	s_wait_loadcnt 0x0
	v_dual_ashrrev_i32 v17, v20, v16 :: v_dual_lshrrev_b32 v11, 4, v11
	s_delay_alu instid0(VALU_DEP_1) | instskip(NEXT) | instid1(VALU_DEP_2)
	v_lshlrev_b32_e32 v18, 4, v17
	v_and_b32_e32 v11, 0xf0f0f0f, v11
	s_delay_alu instid0(VALU_DEP_2) | instskip(SKIP_1) | instid1(VALU_DEP_2)
	v_dual_lshlrev_b32 v204, 11, v17 :: v_dual_bitop2_b32 v18, 16, v18 bitop3:0x40
	v_dual_lshlrev_b32 v205, 18, v17 :: v_dual_lshlrev_b32 v17, 25, v17
	v_and_b32_e32 v204, 0x1000, v204
	s_delay_alu instid0(VALU_DEP_2) | instskip(NEXT) | instid1(VALU_DEP_3)
	v_and_b32_e32 v205, 0x100000, v205
	v_and_b32_e32 v17, 0x10000000, v17
	s_delay_alu instid0(VALU_DEP_1)
	v_or3_b32 v17, v17, v19, v205
	global_load_b32 v19, v[14:15], off offset:14
	v_or3_b32 v17, v17, v18, v204
	global_load_u16 v18, v[12:13], off
	v_ashrrev_i32_e32 v204, v197, v16
	v_dot4_i32_iu8 v17, v17, v22, 0 neg_lo:[1,1,0]
	s_delay_alu instid0(VALU_DEP_2) | instskip(SKIP_1) | instid1(VALU_DEP_3)
	v_dual_lshlrev_b32 v205, 4, v204 :: v_dual_lshlrev_b32 v207, 11, v204
	v_lshlrev_b32_e32 v208, 18, v204
	v_cvt_f32_i32_e32 v17, v17
	s_delay_alu instid0(VALU_DEP_3) | instskip(NEXT) | instid1(VALU_DEP_4)
	v_dual_lshlrev_b32 v204, 25, v204 :: v_dual_bitop2_b32 v205, 16, v205 bitop3:0x40
	v_and_b32_e32 v207, 0x1000, v207
	s_delay_alu instid0(VALU_DEP_4) | instskip(NEXT) | instid1(VALU_DEP_4)
	v_and_b32_e32 v208, 0x100000, v208
	v_fma_f32 v17, v0, v17, -v1
	s_delay_alu instid0(VALU_DEP_4) | instskip(NEXT) | instid1(VALU_DEP_1)
	v_and_b32_e32 v204, 0x10000000, v204
	v_or3_b32 v204, v208, v204, v205
	s_wait_loadcnt 0x1
	v_and_b32_e32 v206, 0xf0f0f0f, v19
	s_delay_alu instid0(VALU_DEP_1) | instskip(SKIP_2) | instid1(VALU_DEP_2)
	v_or3_b32 v204, v204, v207, v206
	s_wait_loadcnt 0x0
	v_fma_mix_f32 v17, v17, v18, 0 op_sel_hi:[0,1,0]
	v_dot4_i32_iu8 v204, v204, v23, 0 neg_lo:[1,1,0]
	s_delay_alu instid0(VALU_DEP_1) | instskip(NEXT) | instid1(VALU_DEP_1)
	v_cvt_f32_i32_e32 v204, v204
	v_fma_f32 v204, v0, v204, -v1
	s_delay_alu instid0(VALU_DEP_1) | instskip(SKIP_1) | instid1(VALU_DEP_1)
	v_fma_mix_f32 v17, v204, v18, v17 op_sel_hi:[0,1,0]
	v_dual_ashrrev_i32 v204, v198, v16 :: v_dual_ashrrev_i32 v16, v199, v16
	v_dual_lshlrev_b32 v205, 4, v204 :: v_dual_lshlrev_b32 v206, 11, v204
	v_dual_lshlrev_b32 v207, 18, v204 :: v_dual_lshlrev_b32 v204, 25, v204
	s_delay_alu instid0(VALU_DEP_2) | instskip(NEXT) | instid1(VALU_DEP_3)
	v_and_b32_e32 v205, 16, v205
	v_and_b32_e32 v206, 0x1000, v206
	s_delay_alu instid0(VALU_DEP_3) | instskip(NEXT) | instid1(VALU_DEP_4)
	v_and_b32_e32 v207, 0x100000, v207
	v_and_b32_e32 v204, 0x10000000, v204
	s_delay_alu instid0(VALU_DEP_1) | instskip(SKIP_1) | instid1(VALU_DEP_2)
	v_or3_b32 v11, v204, v11, v207
	v_lshlrev_b32_e32 v204, 11, v16
	v_or3_b32 v11, v11, v205, v206
	v_lshlrev_b32_e32 v205, 18, v16
	s_delay_alu instid0(VALU_DEP_3) | instskip(NEXT) | instid1(VALU_DEP_3)
	v_and_b32_e32 v204, 0x1000, v204
	v_dot4_i32_iu8 v11, v11, v24, 0 neg_lo:[1,1,0]
	s_delay_alu instid0(VALU_DEP_3) | instskip(NEXT) | instid1(VALU_DEP_2)
	v_and_b32_e32 v205, 0x100000, v205
	v_cvt_f32_i32_e32 v11, v11
	s_delay_alu instid0(VALU_DEP_1) | instskip(NEXT) | instid1(VALU_DEP_1)
	v_fma_f32 v11, v0, v11, -v1
	v_fma_mix_f32 v11, v11, v18, v17 op_sel_hi:[0,1,0]
	v_dual_lshrrev_b32 v17, 4, v19 :: v_dual_lshlrev_b32 v19, 4, v16
	v_lshlrev_b32_e32 v16, 25, v16
	s_delay_alu instid0(VALU_DEP_2) | instskip(NEXT) | instid1(VALU_DEP_3)
	v_and_b32_e32 v17, 0xf0f0f0f, v17
	v_and_b32_e32 v19, 16, v19
	s_delay_alu instid0(VALU_DEP_3) | instskip(NEXT) | instid1(VALU_DEP_1)
	v_and_b32_e32 v16, 0x10000000, v16
	v_or3_b32 v16, v205, v16, v19
	s_delay_alu instid0(VALU_DEP_1) | instskip(SKIP_3) | instid1(VALU_DEP_1)
	v_or3_b32 v16, v16, v204, v17
	global_load_b32 v17, v[14:15], off offset:28
	global_load_b32 v204, v[12:13], off offset:24
	v_dot4_i32_iu8 v16, v16, v25, 0 neg_lo:[1,1,0]
	v_cvt_f32_i32_e32 v16, v16
	s_delay_alu instid0(VALU_DEP_1) | instskip(NEXT) | instid1(VALU_DEP_1)
	v_fma_f32 v16, v0, v16, -v1
	v_fma_mix_f32 v11, v16, v18, v11 op_sel_hi:[0,1,0]
	s_wait_loadcnt 0x1
	v_and_b32_e32 v19, 0xf0f0f0f, v17
	s_wait_loadcnt 0x0
	v_ashrrev_i32_e32 v16, v20, v204
	s_delay_alu instid0(VALU_DEP_1) | instskip(SKIP_1) | instid1(VALU_DEP_2)
	v_dual_lshlrev_b32 v18, 4, v16 :: v_dual_lshlrev_b32 v205, 11, v16
	v_dual_lshlrev_b32 v206, 18, v16 :: v_dual_lshlrev_b32 v16, 25, v16
	v_and_b32_e32 v18, 16, v18
	s_delay_alu instid0(VALU_DEP_3) | instskip(NEXT) | instid1(VALU_DEP_3)
	v_and_b32_e32 v205, 0x1000, v205
	v_and_b32_e32 v206, 0x100000, v206
	s_delay_alu instid0(VALU_DEP_4) | instskip(NEXT) | instid1(VALU_DEP_1)
	v_and_b32_e32 v16, 0x10000000, v16
	v_or3_b32 v16, v16, v19, v206
	v_ashrrev_i32_e32 v19, v197, v204
	s_delay_alu instid0(VALU_DEP_2)
	v_or3_b32 v16, v16, v18, v205
	global_load_b32 v205, v[14:15], off offset:36
	v_dual_lshlrev_b32 v206, 4, v19 :: v_dual_lshlrev_b32 v208, 11, v19
	v_dual_lshlrev_b32 v209, 18, v19 :: v_dual_lshlrev_b32 v19, 25, v19
	v_dot4_i32_iu8 v18, v16, v26, 0 neg_lo:[1,1,0]
	global_load_u16 v16, v[12:13], off offset:22
	v_and_b32_e32 v206, 16, v206
	v_and_b32_e32 v209, 0x100000, v209
	;; [unrolled: 1-line block ×4, first 2 shown]
	v_cvt_f32_i32_e32 v18, v18
	s_delay_alu instid0(VALU_DEP_3) | instskip(SKIP_2) | instid1(VALU_DEP_1)
	v_or3_b32 v19, v209, v19, v206
	s_wait_loadcnt 0x1
	v_and_b32_e32 v207, 0xf0f0f0f, v205
	v_or3_b32 v19, v19, v208, v207
	s_wait_loadcnt 0x0
	v_cvt_f32_f16_e32 v16, v16
	s_delay_alu instid0(VALU_DEP_2) | instskip(NEXT) | instid1(VALU_DEP_1)
	v_dot4_i32_iu8 v19, v19, v27, 0 neg_lo:[1,1,0]
	v_cvt_f32_i32_e32 v19, v19
	s_delay_alu instid0(VALU_DEP_1) | instskip(NEXT) | instid1(VALU_DEP_1)
	v_pk_fma_f32 v[18:19], v[2:3], v[18:19], v[42:43] neg_lo:[0,0,1] neg_hi:[0,0,1]
	v_pk_mul_f32 v[18:19], v[18:19], v[16:17] op_sel_hi:[1,0]
	s_delay_alu instid0(VALU_DEP_1) | instskip(SKIP_1) | instid1(VALU_DEP_2)
	v_dual_lshrrev_b32 v17, 4, v17 :: v_dual_add_f32 v11, v11, v18
	v_ashrrev_i32_e32 v18, v198, v204
	v_and_b32_e32 v17, 0xf0f0f0f, v17
	s_delay_alu instid0(VALU_DEP_2) | instskip(SKIP_1) | instid1(VALU_DEP_2)
	v_dual_add_f32 v11, v11, v19 :: v_dual_lshlrev_b32 v19, 4, v18
	v_dual_lshlrev_b32 v206, 11, v18 :: v_dual_lshlrev_b32 v207, 18, v18
	v_dual_lshlrev_b32 v18, 25, v18 :: v_dual_bitop2_b32 v19, 16, v19 bitop3:0x40
	s_delay_alu instid0(VALU_DEP_2) | instskip(NEXT) | instid1(VALU_DEP_3)
	v_and_b32_e32 v206, 0x1000, v206
	v_and_b32_e32 v207, 0x100000, v207
	s_delay_alu instid0(VALU_DEP_3) | instskip(NEXT) | instid1(VALU_DEP_1)
	v_and_b32_e32 v18, 0x10000000, v18
	v_or3_b32 v17, v18, v17, v207
	s_delay_alu instid0(VALU_DEP_1) | instskip(SKIP_1) | instid1(VALU_DEP_2)
	v_or3_b32 v17, v17, v19, v206
	v_dual_ashrrev_i32 v19, v199, v204 :: v_dual_lshrrev_b32 v18, 4, v205
	v_dot4_i32_iu8 v17, v17, v28, 0 neg_lo:[1,1,0]
	s_delay_alu instid0(VALU_DEP_2) | instskip(NEXT) | instid1(VALU_DEP_3)
	v_dual_lshlrev_b32 v204, 4, v19 :: v_dual_lshlrev_b32 v206, 18, v19
	v_and_b32_e32 v18, 0xf0f0f0f, v18
	v_dual_lshlrev_b32 v205, 11, v19 :: v_dual_lshlrev_b32 v19, 25, v19
	s_delay_alu instid0(VALU_DEP_3) | instskip(NEXT) | instid1(VALU_DEP_4)
	v_and_b32_e32 v204, 16, v204
	v_and_b32_e32 v206, 0x100000, v206
	s_delay_alu instid0(VALU_DEP_3) | instskip(NEXT) | instid1(VALU_DEP_4)
	v_and_b32_e32 v205, 0x1000, v205
	v_and_b32_e32 v19, 0x10000000, v19
	s_delay_alu instid0(VALU_DEP_1) | instskip(NEXT) | instid1(VALU_DEP_1)
	v_or3_b32 v19, v206, v19, v204
	v_or3_b32 v18, v19, v205, v18
	s_delay_alu instid0(VALU_DEP_1) | instskip(NEXT) | instid1(VALU_DEP_1)
	v_dot4_i32_iu8 v18, v18, v29, 0 neg_lo:[1,1,0]
	v_cvt_f32_i32_e32 v19, v18
	v_cvt_f32_i32_e32 v18, v17
	s_delay_alu instid0(VALU_DEP_1) | instskip(NEXT) | instid1(VALU_DEP_1)
	v_pk_fma_f32 v[18:19], v[2:3], v[18:19], v[42:43] neg_lo:[0,0,1] neg_hi:[0,0,1]
	v_pk_mul_f32 v[16:17], v[18:19], v[16:17] op_sel_hi:[1,0]
	s_delay_alu instid0(VALU_DEP_1) | instskip(NEXT) | instid1(VALU_DEP_1)
	v_add_f32_e32 v11, v16, v11
	v_add_f32_e32 v11, v11, v17
	global_load_b32 v17, v[14:15], off offset:50
	global_load_b32 v204, v[12:13], off offset:46
	s_wait_loadcnt 0x1
	v_and_b32_e32 v19, 0xf0f0f0f, v17
	s_wait_loadcnt 0x0
	v_ashrrev_i32_e32 v16, v20, v204
	s_delay_alu instid0(VALU_DEP_1) | instskip(SKIP_1) | instid1(VALU_DEP_2)
	v_dual_lshlrev_b32 v18, 4, v16 :: v_dual_lshlrev_b32 v206, 18, v16
	v_dual_lshlrev_b32 v205, 11, v16 :: v_dual_lshlrev_b32 v16, 25, v16
	v_and_b32_e32 v18, 16, v18
	s_delay_alu instid0(VALU_DEP_3) | instskip(NEXT) | instid1(VALU_DEP_3)
	v_and_b32_e32 v206, 0x100000, v206
	v_and_b32_e32 v205, 0x1000, v205
	s_delay_alu instid0(VALU_DEP_4) | instskip(NEXT) | instid1(VALU_DEP_1)
	v_and_b32_e32 v16, 0x10000000, v16
	v_or3_b32 v16, v16, v19, v206
	v_ashrrev_i32_e32 v19, v197, v204
	s_delay_alu instid0(VALU_DEP_2)
	v_or3_b32 v16, v16, v18, v205
	global_load_b32 v205, v[14:15], off offset:58
	v_lshlrev_b32_e32 v206, 4, v19
	v_dot4_i32_iu8 v18, v16, v30, 0 neg_lo:[1,1,0]
	global_load_u16 v16, v[12:13], off offset:44
	v_dual_lshlrev_b32 v208, 11, v19 :: v_dual_bitop2_b32 v206, 16, v206 bitop3:0x40
	v_dual_lshlrev_b32 v209, 18, v19 :: v_dual_lshlrev_b32 v19, 25, v19
	v_cvt_f32_i32_e32 v18, v18
	s_delay_alu instid0(VALU_DEP_3) | instskip(NEXT) | instid1(VALU_DEP_3)
	v_and_b32_e32 v208, 0x1000, v208
	v_and_b32_e32 v209, 0x100000, v209
	s_delay_alu instid0(VALU_DEP_4) | instskip(NEXT) | instid1(VALU_DEP_1)
	v_and_b32_e32 v19, 0x10000000, v19
	v_or3_b32 v19, v209, v19, v206
	s_wait_loadcnt 0x1
	v_and_b32_e32 v207, 0xf0f0f0f, v205
	s_delay_alu instid0(VALU_DEP_1) | instskip(SKIP_2) | instid1(VALU_DEP_2)
	v_or3_b32 v19, v19, v208, v207
	s_wait_loadcnt 0x0
	v_cvt_f32_f16_e32 v16, v16
	v_dot4_i32_iu8 v19, v19, v31, 0 neg_lo:[1,1,0]
	s_delay_alu instid0(VALU_DEP_1) | instskip(NEXT) | instid1(VALU_DEP_1)
	v_cvt_f32_i32_e32 v19, v19
	v_pk_fma_f32 v[18:19], v[4:5], v[18:19], v[40:41] neg_lo:[0,0,1] neg_hi:[0,0,1]
	s_delay_alu instid0(VALU_DEP_1) | instskip(NEXT) | instid1(VALU_DEP_1)
	v_pk_mul_f32 v[18:19], v[18:19], v[16:17] op_sel_hi:[1,0]
	v_dual_lshrrev_b32 v17, 4, v17 :: v_dual_add_f32 v11, v11, v18
	v_ashrrev_i32_e32 v18, v198, v204
	s_delay_alu instid0(VALU_DEP_2) | instskip(NEXT) | instid1(VALU_DEP_2)
	v_and_b32_e32 v17, 0xf0f0f0f, v17
	v_dual_add_f32 v11, v11, v19 :: v_dual_lshlrev_b32 v19, 4, v18
	v_dual_lshlrev_b32 v206, 11, v18 :: v_dual_lshlrev_b32 v207, 18, v18
	s_delay_alu instid0(VALU_DEP_2) | instskip(NEXT) | instid1(VALU_DEP_2)
	v_dual_lshlrev_b32 v18, 25, v18 :: v_dual_bitop2_b32 v19, 16, v19 bitop3:0x40
	v_and_b32_e32 v206, 0x1000, v206
	s_delay_alu instid0(VALU_DEP_3) | instskip(NEXT) | instid1(VALU_DEP_3)
	v_and_b32_e32 v207, 0x100000, v207
	v_and_b32_e32 v18, 0x10000000, v18
	s_delay_alu instid0(VALU_DEP_1) | instskip(NEXT) | instid1(VALU_DEP_1)
	v_or3_b32 v17, v18, v17, v207
	v_or3_b32 v17, v17, v19, v206
	v_dual_ashrrev_i32 v19, v199, v204 :: v_dual_lshrrev_b32 v18, 4, v205
	s_delay_alu instid0(VALU_DEP_2) | instskip(NEXT) | instid1(VALU_DEP_2)
	v_dot4_i32_iu8 v17, v17, v32, 0 neg_lo:[1,1,0]
	v_dual_lshlrev_b32 v204, 4, v19 :: v_dual_lshlrev_b32 v206, 18, v19
	s_delay_alu instid0(VALU_DEP_3) | instskip(SKIP_1) | instid1(VALU_DEP_3)
	v_and_b32_e32 v18, 0xf0f0f0f, v18
	v_dual_lshlrev_b32 v205, 11, v19 :: v_dual_lshlrev_b32 v19, 25, v19
	v_and_b32_e32 v204, 16, v204
	s_delay_alu instid0(VALU_DEP_4) | instskip(NEXT) | instid1(VALU_DEP_3)
	v_and_b32_e32 v206, 0x100000, v206
	v_and_b32_e32 v205, 0x1000, v205
	s_delay_alu instid0(VALU_DEP_4) | instskip(NEXT) | instid1(VALU_DEP_1)
	v_and_b32_e32 v19, 0x10000000, v19
	v_or3_b32 v19, v206, v19, v204
	s_delay_alu instid0(VALU_DEP_1) | instskip(NEXT) | instid1(VALU_DEP_1)
	v_or3_b32 v18, v19, v205, v18
	v_dot4_i32_iu8 v18, v18, v33, 0 neg_lo:[1,1,0]
	s_delay_alu instid0(VALU_DEP_1) | instskip(SKIP_1) | instid1(VALU_DEP_1)
	v_cvt_f32_i32_e32 v19, v18
	v_cvt_f32_i32_e32 v18, v17
	v_pk_fma_f32 v[18:19], v[4:5], v[18:19], v[40:41] neg_lo:[0,0,1] neg_hi:[0,0,1]
	s_delay_alu instid0(VALU_DEP_1) | instskip(NEXT) | instid1(VALU_DEP_1)
	v_pk_mul_f32 v[16:17], v[18:19], v[16:17] op_sel_hi:[1,0]
	v_add_f32_e32 v11, v16, v11
	s_delay_alu instid0(VALU_DEP_1)
	v_add_f32_e32 v11, v11, v17
	global_load_b32 v16, v[14:15], off offset:72
	s_clause 0x1
	global_load_b32 v17, v[12:13], off offset:68
	global_load_u16 v12, v[12:13], off offset:66
	global_load_b32 v13, v[14:15], off offset:80
	s_wait_loadcnt 0x3
	v_and_b32_e32 v204, 0xf0f0f0f, v16
	s_wait_loadcnt 0x2
	s_wait_xcnt 0x0
	v_dual_ashrrev_i32 v18, v20, v17 :: v_dual_ashrrev_i32 v14, v197, v17
	s_wait_loadcnt 0x1
	v_cvt_f32_f16_e32 v12, v12
	s_delay_alu instid0(VALU_DEP_2) | instskip(NEXT) | instid1(VALU_DEP_3)
	v_dual_lshlrev_b32 v19, 4, v18 :: v_dual_lshlrev_b32 v206, 18, v18
	v_lshlrev_b32_e32 v15, 4, v14
	v_dual_lshlrev_b32 v205, 11, v18 :: v_dual_lshlrev_b32 v18, 25, v18
	s_delay_alu instid0(VALU_DEP_3) | instskip(NEXT) | instid1(VALU_DEP_4)
	v_and_b32_e32 v19, 16, v19
	v_and_b32_e32 v206, 0x100000, v206
	s_delay_alu instid0(VALU_DEP_4) | instskip(NEXT) | instid1(VALU_DEP_4)
	v_and_b32_e32 v15, 16, v15
	v_and_b32_e32 v205, 0x1000, v205
	;; [unrolled: 1-line block ×3, first 2 shown]
	s_delay_alu instid0(VALU_DEP_1) | instskip(SKIP_1) | instid1(VALU_DEP_2)
	v_or3_b32 v18, v18, v204, v206
	v_lshlrev_b32_e32 v204, 11, v14
	v_or3_b32 v18, v18, v19, v205
	v_dual_lshlrev_b32 v205, 18, v14 :: v_dual_lshlrev_b32 v14, 25, v14
	s_wait_loadcnt 0x0
	v_and_b32_e32 v19, 0xf0f0f0f, v13
	v_and_b32_e32 v204, 0x1000, v204
	v_dot4_i32_iu8 v18, v18, v34, 0 neg_lo:[1,1,0]
	v_and_b32_e32 v205, 0x100000, v205
	v_and_b32_e32 v14, 0x10000000, v14
	s_delay_alu instid0(VALU_DEP_1) | instskip(NEXT) | instid1(VALU_DEP_1)
	v_or3_b32 v14, v205, v14, v15
	v_or3_b32 v14, v14, v204, v19
	s_delay_alu instid0(VALU_DEP_1) | instskip(NEXT) | instid1(VALU_DEP_1)
	v_dot4_i32_iu8 v14, v14, v35, 0 neg_lo:[1,1,0]
	v_cvt_f32_i32_e32 v15, v14
	v_cvt_f32_i32_e32 v14, v18
	s_delay_alu instid0(VALU_DEP_1) | instskip(NEXT) | instid1(VALU_DEP_1)
	v_pk_fma_f32 v[14:15], v[6:7], v[14:15], v[38:39] neg_lo:[0,0,1] neg_hi:[0,0,1]
	v_pk_mul_f32 v[14:15], v[14:15], v[12:13] op_sel_hi:[1,0]
	s_delay_alu instid0(VALU_DEP_1) | instskip(SKIP_1) | instid1(VALU_DEP_2)
	v_dual_lshrrev_b32 v13, 4, v13 :: v_dual_add_f32 v11, v11, v14
	v_lshrrev_b32_e32 v14, 4, v16
	v_and_b32_e32 v13, 0xf0f0f0f, v13
	s_delay_alu instid0(VALU_DEP_3) | instskip(NEXT) | instid1(VALU_DEP_3)
	v_dual_add_f32 v11, v11, v15 :: v_dual_ashrrev_i32 v15, v198, v17
	v_and_b32_e32 v14, 0xf0f0f0f, v14
	s_delay_alu instid0(VALU_DEP_2) | instskip(SKIP_1) | instid1(VALU_DEP_2)
	v_dual_lshlrev_b32 v16, 4, v15 :: v_dual_lshlrev_b32 v18, 11, v15
	v_dual_lshlrev_b32 v19, 18, v15 :: v_dual_lshlrev_b32 v15, 25, v15
	v_and_b32_e32 v16, 16, v16
	s_delay_alu instid0(VALU_DEP_3) | instskip(NEXT) | instid1(VALU_DEP_3)
	v_and_b32_e32 v18, 0x1000, v18
	v_and_b32_e32 v19, 0x100000, v19
	s_delay_alu instid0(VALU_DEP_4) | instskip(NEXT) | instid1(VALU_DEP_1)
	v_and_b32_e32 v15, 0x10000000, v15
	v_or3_b32 v14, v15, v14, v19
	v_ashrrev_i32_e32 v15, v199, v17
	s_delay_alu instid0(VALU_DEP_2) | instskip(NEXT) | instid1(VALU_DEP_2)
	v_or3_b32 v14, v14, v16, v18
	v_lshlrev_b32_e32 v16, 4, v15
	s_delay_alu instid0(VALU_DEP_2) | instskip(NEXT) | instid1(VALU_DEP_2)
	v_dot4_i32_iu8 v14, v14, v36, 0 neg_lo:[1,1,0]
	v_dual_lshlrev_b32 v17, 11, v15 :: v_dual_bitop2_b32 v16, 16, v16 bitop3:0x40
	v_dual_lshlrev_b32 v18, 18, v15 :: v_dual_lshlrev_b32 v15, 25, v15
	s_delay_alu instid0(VALU_DEP_3) | instskip(NEXT) | instid1(VALU_DEP_3)
	v_cvt_f32_i32_e32 v14, v14
	v_and_b32_e32 v17, 0x1000, v17
	s_delay_alu instid0(VALU_DEP_3) | instskip(NEXT) | instid1(VALU_DEP_4)
	v_and_b32_e32 v18, 0x100000, v18
	v_and_b32_e32 v15, 0x10000000, v15
	s_delay_alu instid0(VALU_DEP_1) | instskip(NEXT) | instid1(VALU_DEP_1)
	v_or3_b32 v15, v18, v15, v16
	v_or3_b32 v13, v15, v17, v13
	s_delay_alu instid0(VALU_DEP_1) | instskip(NEXT) | instid1(VALU_DEP_1)
	v_dot4_i32_iu8 v13, v13, v37, 0 neg_lo:[1,1,0]
	v_cvt_f32_i32_e32 v15, v13
	s_delay_alu instid0(VALU_DEP_1) | instskip(NEXT) | instid1(VALU_DEP_1)
	v_pk_fma_f32 v[14:15], v[6:7], v[14:15], v[38:39] neg_lo:[0,0,1] neg_hi:[0,0,1]
	v_pk_mul_f32 v[12:13], v[14:15], v[12:13] op_sel_hi:[1,0]
	s_delay_alu instid0(VALU_DEP_1) | instskip(NEXT) | instid1(VALU_DEP_1)
	v_add_f32_e32 v11, v12, v11
	v_add_f32_e32 v11, v11, v13
	ds_bpermute_b32 v12, v190, v11
	s_wait_dscnt 0x0
	v_add_f32_e32 v11, v11, v12
	s_cbranch_vccnz .LBB14_15
; %bb.14:                               ;   in Loop: Header=BB14_11 Depth=1
	global_load_u16 v12, v[48:49], off
	s_wait_loadcnt 0x0
	v_fma_mix_f32 v11, v185, v12, v11 op_sel_hi:[0,1,0]
.LBB14_15:                              ;   in Loop: Header=BB14_11 Depth=1
	s_delay_alu instid0(VALU_DEP_1)
	v_dual_add_f32 v12, 0x40051340, v10 :: v_dual_add_f32 v13, 0x40051340, v11
	v_add_nc_u64_e32 v[210:211], s[4:5], v[50:51]
	v_add_nc_u64_e32 v[212:213], s[4:5], v[52:53]
	v_add_nc_u64_e32 v[44:45], s[34:35], v[44:45]
	v_add_nc_u64_e32 v[46:47], s[34:35], v[46:47]
	v_max3_num_f32 v12, v9, v12, v13
	v_add_nc_u64_e32 v[48:49], s[6:7], v[48:49]
	v_add_nc_u64_e32 v[50:51], s[22:23], v[50:51]
	;; [unrolled: 1-line block ×4, first 2 shown]
	ds_bpermute_b32 v13, v191, v12
	v_add_nc_u64_e32 v[62:63], s[34:35], v[62:63]
	s_add_co_i32 s46, s46, s20
	v_cndmask_b32_e64 v10, v11, v10, s3
	s_cmp_ge_i32 s46, s30
	s_wait_dscnt 0x0
	v_max_num_f32_e32 v13, v13, v13
	s_delay_alu instid0(VALU_DEP_1) | instskip(SKIP_3) | instid1(VALU_DEP_1)
	v_max_num_f32_e32 v12, v12, v13
	ds_bpermute_b32 v13, v192, v12
	s_wait_dscnt 0x0
	v_max_num_f32_e32 v13, v13, v13
	v_max_num_f32_e32 v12, v12, v13
	ds_bpermute_b32 v13, v193, v12
	s_wait_dscnt 0x0
	v_max_num_f32_e32 v13, v13, v13
	s_delay_alu instid0(VALU_DEP_1) | instskip(SKIP_3) | instid1(VALU_DEP_1)
	v_max_num_f32_e32 v12, v12, v13
	ds_bpermute_b32 v13, v194, v12
	s_wait_dscnt 0x0
	v_max_num_f32_e32 v13, v13, v13
	v_max_num_f32_e32 v204, v12, v13
	s_delay_alu instid0(VALU_DEP_1) | instskip(NEXT) | instid1(VALU_DEP_1)
	v_sub_f32_e32 v9, v9, v204
	v_mul_f32_e32 v11, 0x3fb8aa3b, v9
	v_cmp_ngt_f32_e32 vcc_lo, 0xc2ce8ed0, v9
	s_delay_alu instid0(VALU_DEP_2) | instskip(SKIP_1) | instid1(VALU_DEP_2)
	v_fma_f32 v12, 0x3fb8aa3b, v9, -v11
	v_rndne_f32_e32 v13, v11
	v_fmac_f32_e32 v12, 0x32a5705f, v9
	s_delay_alu instid0(VALU_DEP_2) | instskip(NEXT) | instid1(VALU_DEP_1)
	v_dual_sub_f32 v11, v11, v13 :: v_dual_sub_f32 v10, v10, v204
	v_add_f32_e32 v11, v11, v12
	v_cvt_i32_f32_e32 v12, v13
	s_delay_alu instid0(VALU_DEP_2) | instskip(SKIP_1) | instid1(TRANS32_DEP_1)
	v_exp_f32_e32 v11, v11
	v_nop
	v_ldexp_f32 v11, v11, v12
	s_delay_alu instid0(VALU_DEP_1) | instskip(SKIP_1) | instid1(VALU_DEP_2)
	v_cndmask_b32_e32 v11, 0, v11, vcc_lo
	v_cmp_nlt_f32_e32 vcc_lo, 0x42b17218, v9
	v_cndmask_b32_e32 v9, 0x7f800000, v11, vcc_lo
	v_mul_f32_e32 v11, 0x3fb8aa3b, v10
	v_cmp_ngt_f32_e32 vcc_lo, 0xc2ce8ed0, v10
	s_delay_alu instid0(VALU_DEP_2) | instskip(SKIP_1) | instid1(VALU_DEP_1)
	v_fma_f32 v12, 0x3fb8aa3b, v10, -v11
	v_rndne_f32_e32 v13, v11
	v_dual_fmac_f32 v12, 0x32a5705f, v10 :: v_dual_sub_f32 v11, v11, v13
	s_delay_alu instid0(VALU_DEP_1) | instskip(SKIP_1) | instid1(VALU_DEP_2)
	v_add_f32_e32 v11, v11, v12
	v_cvt_i32_f32_e32 v12, v13
	v_exp_f32_e32 v11, v11
	v_nop
	s_delay_alu instid0(TRANS32_DEP_1) | instskip(NEXT) | instid1(VALU_DEP_1)
	v_ldexp_f32 v11, v11, v12
	v_cndmask_b32_e32 v11, 0, v11, vcc_lo
	v_cmp_nlt_f32_e32 vcc_lo, 0x42b17218, v10
	s_delay_alu instid0(VALU_DEP_2) | instskip(NEXT) | instid1(VALU_DEP_1)
	v_cndmask_b32_e32 v10, 0x7f800000, v11, vcc_lo
	v_fma_f32 v189, v189, v9, v10
	v_cvt_f16_f32_e32 v9, v9
	s_delay_alu instid0(VALU_DEP_1) | instskip(NEXT) | instid1(VALU_DEP_1)
	v_and_b32_e32 v9, 0xffff, v9
	v_mul_u32_u24_e32 v9, 0x10001, v9
	s_delay_alu instid0(VALU_DEP_1)
	v_pk_mul_f16 v205, v8, v9
	v_cvt_f16_f32_e32 v8, v10
	v_pk_mul_f16 v21, v21, v9
	ds_store_b16 v187, v8
	ds_load_b128 v[206:209], v195
	ds_load_b128 v[16:19], v195 offset:16
	ds_load_b128 v[12:15], v195 offset:32
	;; [unrolled: 1-line block ×3, first 2 shown]
	global_load_b32 v212, v[212:213], off
	s_clause 0x1
	global_load_b32 v213, v[210:211], off offset:2
	global_load_u16 v210, v[210:211], off
	s_wait_dscnt 0x3
	v_lshrrev_b32_e32 v214, 16, v206
	v_and_b32_e32 v206, 0xffff, v206
	v_dual_lshrrev_b32 v215, 16, v207 :: v_dual_lshrrev_b32 v216, 16, v208
	v_lshrrev_b32_e32 v217, 16, v209
	s_delay_alu instid0(VALU_DEP_3)
	v_mul_u32_u24_e32 v206, 0x10001, v206
	s_wait_loadcnt 0x1
	v_dual_lshrrev_b32 v218, v196, v213 :: v_dual_lshrrev_b32 v219, v201, v213
	v_ashrrev_i32_e32 v212, v200, v212
	s_wait_loadcnt 0x0
	v_mul_u32_u24_e32 v210, 0x10001, v210
	s_delay_alu instid0(VALU_DEP_3) | instskip(NEXT) | instid1(VALU_DEP_3)
	v_dual_lshlrev_b32 v218, 4, v218 :: v_dual_lshlrev_b32 v219, 12, v219
	v_and_b32_e32 v212, 0xf0f0f0f, v212
	s_delay_alu instid0(VALU_DEP_2) | instskip(NEXT) | instid1(VALU_DEP_3)
	v_and_b32_e32 v218, 16, v218
	v_and_b32_e32 v219, 0x1000, v219
	s_delay_alu instid0(VALU_DEP_1) | instskip(SKIP_1) | instid1(VALU_DEP_1)
	v_or3_b32 v218, v218, v212, v219
	v_dual_lshrrev_b32 v219, v202, v213 :: v_dual_lshrrev_b32 v213, v203, v213
	v_dual_lshlrev_b32 v219, 20, v219 :: v_dual_lshlrev_b32 v213, 28, v213
	s_delay_alu instid0(VALU_DEP_1) | instskip(NEXT) | instid1(VALU_DEP_2)
	v_and_b32_e32 v219, 0x100000, v219
	v_and_b32_e32 v213, 0x10000000, v213
	s_delay_alu instid0(VALU_DEP_1) | instskip(SKIP_1) | instid1(VALU_DEP_1)
	v_or3_b32 v212, v212, v219, v213
	v_lshlrev_b16 v213, 8, v218
	v_add_nc_u16 v213, 0xf000, v213
	s_delay_alu instid0(VALU_DEP_1) | instskip(NEXT) | instid1(VALU_DEP_1)
	v_lshrrev_b16 v213, 8, v213
	v_bitop3_b16 v213, v218, v213, 0x1f00 bitop3:0xec
	s_delay_alu instid0(VALU_DEP_1) | instskip(NEXT) | instid1(VALU_DEP_1)
	v_add_nc_u16 v213, 0xf000, v213
	v_dual_lshrrev_b32 v212, 16, v212 :: v_dual_lshrrev_b32 v211, 8, v213
	s_delay_alu instid0(VALU_DEP_1) | instskip(SKIP_2) | instid1(VALU_DEP_4)
	v_lshlrev_b16 v218, 8, v212
	v_and_b32_e32 v212, 0x1f00, v212
	v_bfe_i32 v213, v213, 0, 8
	v_bfe_i32 v211, v211, 0, 8
	s_delay_alu instid0(VALU_DEP_4) | instskip(NEXT) | instid1(VALU_DEP_4)
	v_add_nc_u16 v218, 0xf000, v218
	v_add_nc_u16 v212, 0xf000, v212
	s_delay_alu instid0(VALU_DEP_4) | instskip(NEXT) | instid1(VALU_DEP_4)
	v_cvt_f16_i16_e64 v213, v213
	v_cvt_f16_i16_e64 v211, v211
	s_delay_alu instid0(VALU_DEP_3) | instskip(NEXT) | instid1(VALU_DEP_2)
	v_lshrrev_b32_e32 v212, 8, v212
	v_pack_b32_f16 v211, v213, v211
	v_ashrrev_i16 v213, 8, v218
	s_delay_alu instid0(VALU_DEP_3) | instskip(NEXT) | instid1(VALU_DEP_3)
	v_bfe_i32 v212, v212, 0, 8
	v_pk_mul_f16 v211, v211, v210
	s_delay_alu instid0(VALU_DEP_3) | instskip(NEXT) | instid1(VALU_DEP_3)
	v_cvt_f16_i16_e64 v213, v213
	v_cvt_f16_i16_e64 v212, v212
	s_delay_alu instid0(VALU_DEP_3) | instskip(NEXT) | instid1(VALU_DEP_2)
	v_pk_fma_f16 v205, v211, v206, v205
	v_pack_b32_f16 v212, v213, v212
	s_delay_alu instid0(VALU_DEP_1) | instskip(SKIP_2) | instid1(VALU_DEP_3)
	v_pk_mul_f16 v210, v212, v210
	v_add_nc_u64_e32 v[212:213], s[4:5], v[58:59]
	v_add_nc_u64_e32 v[58:59], s[22:23], v[58:59]
	v_pk_fma_f16 v21, v210, v206, v21
	v_add_nc_u64_e32 v[210:211], s[4:5], v[54:55]
	v_mul_u32_u24_e32 v206, 0x10001, v214
	global_load_b32 v212, v[212:213], off
	v_add_nc_u64_e32 v[54:55], s[22:23], v[54:55]
	s_clause 0x1
	global_load_b32 v213, v[210:211], off offset:2
	global_load_u16 v210, v[210:211], off
	s_wait_loadcnt 0x1
	v_lshrrev_b32_e32 v214, v196, v213
	v_dual_ashrrev_i32 v212, v200, v212 :: v_dual_lshrrev_b32 v218, v201, v213
	s_wait_loadcnt 0x0
	v_mul_u32_u24_e32 v210, 0x10001, v210
	s_delay_alu instid0(VALU_DEP_3) | instskip(NEXT) | instid1(VALU_DEP_3)
	v_lshlrev_b32_e32 v214, 4, v214
	v_and_b32_e32 v212, 0xf0f0f0f, v212
	v_lshlrev_b32_e32 v218, 12, v218
	s_delay_alu instid0(VALU_DEP_3) | instskip(NEXT) | instid1(VALU_DEP_2)
	v_and_b32_e32 v214, 16, v214
	v_and_b32_e32 v218, 0x1000, v218
	s_delay_alu instid0(VALU_DEP_1) | instskip(SKIP_1) | instid1(VALU_DEP_1)
	v_or3_b32 v214, v214, v212, v218
	v_dual_lshrrev_b32 v218, v202, v213 :: v_dual_lshrrev_b32 v213, v203, v213
	v_dual_lshlrev_b32 v213, 28, v213 :: v_dual_lshlrev_b32 v218, 20, v218
	s_delay_alu instid0(VALU_DEP_1) | instskip(NEXT) | instid1(VALU_DEP_2)
	v_and_b32_e32 v213, 0x10000000, v213
	v_and_b32_e32 v218, 0x100000, v218
	s_delay_alu instid0(VALU_DEP_1) | instskip(SKIP_1) | instid1(VALU_DEP_2)
	v_or3_b32 v212, v212, v218, v213
	v_lshlrev_b16 v213, 8, v214
	v_lshrrev_b32_e32 v212, 16, v212
	s_delay_alu instid0(VALU_DEP_2) | instskip(NEXT) | instid1(VALU_DEP_1)
	v_add_nc_u16 v213, 0xf000, v213
	v_lshrrev_b16 v213, 8, v213
	s_delay_alu instid0(VALU_DEP_1) | instskip(NEXT) | instid1(VALU_DEP_4)
	v_bitop3_b16 v213, v214, v213, 0x1f00 bitop3:0xec
	v_lshlrev_b16 v214, 8, v212
	v_and_b32_e32 v212, 0x1f00, v212
	s_delay_alu instid0(VALU_DEP_3) | instskip(NEXT) | instid1(VALU_DEP_3)
	v_add_nc_u16 v213, 0xf000, v213
	v_add_nc_u16 v214, 0xf000, v214
	s_delay_alu instid0(VALU_DEP_3) | instskip(NEXT) | instid1(VALU_DEP_3)
	v_add_nc_u16 v212, 0xf000, v212
	v_lshrrev_b32_e32 v211, 8, v213
	v_bfe_i32 v213, v213, 0, 8
	s_delay_alu instid0(VALU_DEP_3) | instskip(NEXT) | instid1(VALU_DEP_3)
	v_lshrrev_b32_e32 v212, 8, v212
	v_bfe_i32 v211, v211, 0, 8
	s_delay_alu instid0(VALU_DEP_3) | instskip(NEXT) | instid1(VALU_DEP_3)
	v_cvt_f16_i16_e64 v213, v213
	v_bfe_i32 v212, v212, 0, 8
	s_delay_alu instid0(VALU_DEP_3) | instskip(NEXT) | instid1(VALU_DEP_2)
	v_cvt_f16_i16_e64 v211, v211
	v_cvt_f16_i16_e64 v212, v212
	s_delay_alu instid0(VALU_DEP_2) | instskip(SKIP_1) | instid1(VALU_DEP_2)
	v_pack_b32_f16 v211, v213, v211
	v_ashrrev_i16 v213, 8, v214
	v_pk_mul_f16 v211, v211, v210
	s_delay_alu instid0(VALU_DEP_2) | instskip(NEXT) | instid1(VALU_DEP_2)
	v_cvt_f16_i16_e64 v213, v213
	v_pk_fma_f16 v205, v211, v206, v205
	s_delay_alu instid0(VALU_DEP_2) | instskip(NEXT) | instid1(VALU_DEP_1)
	v_pack_b32_f16 v212, v213, v212
	v_pk_mul_f16 v210, v212, v210
	s_delay_alu instid0(VALU_DEP_1) | instskip(SKIP_3) | instid1(VALU_DEP_3)
	v_pk_fma_f16 v21, v210, v206, v21
	v_and_b32_e32 v206, 0xffff, v207
	v_add_nc_u64_e32 v[210:211], s[4:5], v[180:181]
	v_add_nc_u64_e32 v[180:181], s[22:23], v[180:181]
	v_mul_u32_u24_e32 v212, 0x10001, v206
	v_add_nc_u64_e32 v[206:207], s[4:5], v[60:61]
	v_add_nc_u64_e32 v[60:61], s[22:23], v[60:61]
	global_load_b32 v210, v[210:211], off
	s_clause 0x1
	global_load_b32 v211, v[206:207], off offset:2
	global_load_u16 v206, v[206:207], off
	s_wait_loadcnt 0x1
	v_dual_lshrrev_b32 v213, v196, v211 :: v_dual_lshrrev_b32 v214, v201, v211
	v_ashrrev_i32_e32 v210, v200, v210
	s_wait_loadcnt 0x0
	v_mul_u32_u24_e32 v206, 0x10001, v206
	s_delay_alu instid0(VALU_DEP_3) | instskip(NEXT) | instid1(VALU_DEP_3)
	v_dual_lshlrev_b32 v213, 4, v213 :: v_dual_lshlrev_b32 v214, 12, v214
	v_and_b32_e32 v210, 0xf0f0f0f, v210
	s_delay_alu instid0(VALU_DEP_2) | instskip(NEXT) | instid1(VALU_DEP_3)
	v_and_b32_e32 v213, 16, v213
	v_and_b32_e32 v214, 0x1000, v214
	s_delay_alu instid0(VALU_DEP_1) | instskip(SKIP_1) | instid1(VALU_DEP_1)
	v_or3_b32 v213, v213, v210, v214
	v_dual_lshrrev_b32 v214, v202, v211 :: v_dual_lshrrev_b32 v211, v203, v211
	v_dual_lshlrev_b32 v214, 20, v214 :: v_dual_lshlrev_b32 v211, 28, v211
	s_delay_alu instid0(VALU_DEP_1) | instskip(NEXT) | instid1(VALU_DEP_2)
	v_and_b32_e32 v214, 0x100000, v214
	v_and_b32_e32 v211, 0x10000000, v211
	s_delay_alu instid0(VALU_DEP_1) | instskip(SKIP_1) | instid1(VALU_DEP_1)
	v_or3_b32 v210, v210, v214, v211
	v_lshlrev_b16 v211, 8, v213
	v_add_nc_u16 v211, 0xf000, v211
	s_delay_alu instid0(VALU_DEP_1) | instskip(NEXT) | instid1(VALU_DEP_1)
	v_lshrrev_b16 v211, 8, v211
	v_bitop3_b16 v211, v213, v211, 0x1f00 bitop3:0xec
	s_delay_alu instid0(VALU_DEP_1) | instskip(NEXT) | instid1(VALU_DEP_1)
	v_add_nc_u16 v211, 0xf000, v211
	v_dual_lshrrev_b32 v210, 16, v210 :: v_dual_lshrrev_b32 v207, 8, v211
	s_delay_alu instid0(VALU_DEP_1) | instskip(SKIP_2) | instid1(VALU_DEP_4)
	v_lshlrev_b16 v213, 8, v210
	v_and_b32_e32 v210, 0x1f00, v210
	v_bfe_i32 v211, v211, 0, 8
	v_bfe_i32 v207, v207, 0, 8
	s_delay_alu instid0(VALU_DEP_4) | instskip(NEXT) | instid1(VALU_DEP_4)
	v_add_nc_u16 v213, 0xf000, v213
	v_add_nc_u16 v210, 0xf000, v210
	s_delay_alu instid0(VALU_DEP_4) | instskip(NEXT) | instid1(VALU_DEP_4)
	v_cvt_f16_i16_e64 v211, v211
	v_cvt_f16_i16_e64 v207, v207
	s_delay_alu instid0(VALU_DEP_3) | instskip(NEXT) | instid1(VALU_DEP_2)
	v_lshrrev_b32_e32 v210, 8, v210
	v_pack_b32_f16 v207, v211, v207
	v_ashrrev_i16 v211, 8, v213
	s_delay_alu instid0(VALU_DEP_3) | instskip(NEXT) | instid1(VALU_DEP_3)
	v_bfe_i32 v210, v210, 0, 8
	v_pk_mul_f16 v207, v207, v206
	s_delay_alu instid0(VALU_DEP_3) | instskip(NEXT) | instid1(VALU_DEP_3)
	v_cvt_f16_i16_e64 v211, v211
	v_cvt_f16_i16_e64 v210, v210
	s_delay_alu instid0(VALU_DEP_3) | instskip(NEXT) | instid1(VALU_DEP_2)
	v_pk_fma_f16 v205, v207, v212, v205
	v_pack_b32_f16 v210, v211, v210
	s_delay_alu instid0(VALU_DEP_1) | instskip(SKIP_2) | instid1(VALU_DEP_3)
	v_pk_mul_f16 v206, v210, v206
	v_add_nc_u64_e32 v[210:211], s[4:5], v[176:177]
	v_add_nc_u64_e32 v[176:177], s[22:23], v[176:177]
	v_pk_fma_f16 v21, v206, v212, v21
	v_add_nc_u64_e32 v[206:207], s[4:5], v[178:179]
	v_mul_u32_u24_e32 v212, 0x10001, v215
	global_load_b32 v210, v[210:211], off
	v_add_nc_u64_e32 v[178:179], s[22:23], v[178:179]
	s_clause 0x1
	global_load_b32 v211, v[206:207], off offset:2
	global_load_u16 v206, v[206:207], off
	s_wait_loadcnt 0x1
	v_lshrrev_b32_e32 v213, v196, v211
	v_dual_ashrrev_i32 v210, v200, v210 :: v_dual_lshrrev_b32 v214, v201, v211
	s_wait_loadcnt 0x0
	v_mul_u32_u24_e32 v206, 0x10001, v206
	s_delay_alu instid0(VALU_DEP_3) | instskip(NEXT) | instid1(VALU_DEP_3)
	v_lshlrev_b32_e32 v213, 4, v213
	v_and_b32_e32 v210, 0xf0f0f0f, v210
	s_delay_alu instid0(VALU_DEP_2) | instskip(NEXT) | instid1(VALU_DEP_1)
	v_dual_lshlrev_b32 v214, 12, v214 :: v_dual_bitop2_b32 v213, 16, v213 bitop3:0x40
	v_and_b32_e32 v214, 0x1000, v214
	s_delay_alu instid0(VALU_DEP_1) | instskip(SKIP_1) | instid1(VALU_DEP_1)
	v_or3_b32 v213, v213, v210, v214
	v_dual_lshrrev_b32 v214, v202, v211 :: v_dual_lshrrev_b32 v211, v203, v211
	v_dual_lshlrev_b32 v211, 28, v211 :: v_dual_lshlrev_b32 v214, 20, v214
	s_delay_alu instid0(VALU_DEP_1) | instskip(NEXT) | instid1(VALU_DEP_2)
	v_and_b32_e32 v211, 0x10000000, v211
	v_and_b32_e32 v214, 0x100000, v214
	s_delay_alu instid0(VALU_DEP_1) | instskip(SKIP_1) | instid1(VALU_DEP_2)
	v_or3_b32 v210, v210, v214, v211
	v_lshlrev_b16 v211, 8, v213
	v_lshrrev_b32_e32 v210, 16, v210
	s_delay_alu instid0(VALU_DEP_2) | instskip(NEXT) | instid1(VALU_DEP_1)
	v_add_nc_u16 v211, 0xf000, v211
	v_lshrrev_b16 v211, 8, v211
	s_delay_alu instid0(VALU_DEP_1) | instskip(NEXT) | instid1(VALU_DEP_4)
	v_bitop3_b16 v211, v213, v211, 0x1f00 bitop3:0xec
	v_lshlrev_b16 v213, 8, v210
	v_and_b32_e32 v210, 0x1f00, v210
	s_delay_alu instid0(VALU_DEP_3) | instskip(NEXT) | instid1(VALU_DEP_3)
	v_add_nc_u16 v211, 0xf000, v211
	v_add_nc_u16 v213, 0xf000, v213
	s_delay_alu instid0(VALU_DEP_3) | instskip(NEXT) | instid1(VALU_DEP_3)
	v_add_nc_u16 v210, 0xf000, v210
	v_lshrrev_b32_e32 v207, 8, v211
	v_bfe_i32 v211, v211, 0, 8
	s_delay_alu instid0(VALU_DEP_3) | instskip(NEXT) | instid1(VALU_DEP_3)
	v_lshrrev_b32_e32 v210, 8, v210
	v_bfe_i32 v207, v207, 0, 8
	s_delay_alu instid0(VALU_DEP_3) | instskip(NEXT) | instid1(VALU_DEP_3)
	v_cvt_f16_i16_e64 v211, v211
	v_bfe_i32 v210, v210, 0, 8
	s_delay_alu instid0(VALU_DEP_3) | instskip(NEXT) | instid1(VALU_DEP_2)
	v_cvt_f16_i16_e64 v207, v207
	v_cvt_f16_i16_e64 v210, v210
	s_delay_alu instid0(VALU_DEP_2) | instskip(SKIP_1) | instid1(VALU_DEP_2)
	v_pack_b32_f16 v207, v211, v207
	v_ashrrev_i16 v211, 8, v213
	v_pk_mul_f16 v207, v207, v206
	s_delay_alu instid0(VALU_DEP_2) | instskip(NEXT) | instid1(VALU_DEP_2)
	v_cvt_f16_i16_e64 v211, v211
	v_pk_fma_f16 v205, v207, v212, v205
	s_delay_alu instid0(VALU_DEP_2) | instskip(NEXT) | instid1(VALU_DEP_1)
	v_pack_b32_f16 v210, v211, v210
	v_pk_mul_f16 v206, v210, v206
	v_add_nc_u64_e32 v[210:211], s[4:5], v[172:173]
	v_add_nc_u64_e32 v[172:173], s[22:23], v[172:173]
	s_delay_alu instid0(VALU_DEP_3)
	v_pk_fma_f16 v21, v206, v212, v21
	v_and_b32_e32 v206, 0xffff, v208
	global_load_b32 v210, v[210:211], off
	v_mul_u32_u24_e32 v208, 0x10001, v206
	v_add_nc_u64_e32 v[206:207], s[4:5], v[174:175]
	v_add_nc_u64_e32 v[174:175], s[22:23], v[174:175]
	s_clause 0x1
	global_load_b32 v211, v[206:207], off offset:2
	global_load_u16 v206, v[206:207], off
	s_wait_loadcnt 0x1
	v_dual_lshrrev_b32 v212, v196, v211 :: v_dual_lshrrev_b32 v213, v201, v211
	s_wait_loadcnt 0x0
	v_mul_u32_u24_e32 v206, 0x10001, v206
	s_delay_alu instid0(VALU_DEP_2) | instskip(NEXT) | instid1(VALU_DEP_1)
	v_dual_lshlrev_b32 v212, 4, v212 :: v_dual_ashrrev_i32 v210, v200, v210
	v_dual_lshlrev_b32 v213, 12, v213 :: v_dual_bitop2_b32 v212, 16, v212 bitop3:0x40
	s_delay_alu instid0(VALU_DEP_2) | instskip(NEXT) | instid1(VALU_DEP_2)
	v_and_b32_e32 v210, 0xf0f0f0f, v210
	v_and_b32_e32 v213, 0x1000, v213
	s_delay_alu instid0(VALU_DEP_1) | instskip(SKIP_1) | instid1(VALU_DEP_1)
	v_or3_b32 v212, v212, v210, v213
	v_dual_lshrrev_b32 v213, v202, v211 :: v_dual_lshrrev_b32 v211, v203, v211
	v_dual_lshlrev_b32 v213, 20, v213 :: v_dual_lshlrev_b32 v211, 28, v211
	s_delay_alu instid0(VALU_DEP_1) | instskip(NEXT) | instid1(VALU_DEP_2)
	v_and_b32_e32 v213, 0x100000, v213
	v_and_b32_e32 v211, 0x10000000, v211
	s_delay_alu instid0(VALU_DEP_1) | instskip(SKIP_1) | instid1(VALU_DEP_2)
	v_or3_b32 v210, v210, v213, v211
	v_lshlrev_b16 v211, 8, v212
	v_lshrrev_b32_e32 v210, 16, v210
	s_delay_alu instid0(VALU_DEP_2) | instskip(NEXT) | instid1(VALU_DEP_1)
	v_add_nc_u16 v211, 0xf000, v211
	v_lshrrev_b16 v211, 8, v211
	s_delay_alu instid0(VALU_DEP_1) | instskip(NEXT) | instid1(VALU_DEP_4)
	v_bitop3_b16 v211, v212, v211, 0x1f00 bitop3:0xec
	v_lshlrev_b16 v212, 8, v210
	v_and_b32_e32 v210, 0x1f00, v210
	s_delay_alu instid0(VALU_DEP_3) | instskip(NEXT) | instid1(VALU_DEP_3)
	v_add_nc_u16 v211, 0xf000, v211
	v_add_nc_u16 v212, 0xf000, v212
	s_delay_alu instid0(VALU_DEP_3) | instskip(NEXT) | instid1(VALU_DEP_3)
	v_add_nc_u16 v210, 0xf000, v210
	v_lshrrev_b32_e32 v207, 8, v211
	v_bfe_i32 v211, v211, 0, 8
	s_delay_alu instid0(VALU_DEP_3) | instskip(NEXT) | instid1(VALU_DEP_3)
	v_lshrrev_b32_e32 v210, 8, v210
	v_bfe_i32 v207, v207, 0, 8
	s_delay_alu instid0(VALU_DEP_3) | instskip(NEXT) | instid1(VALU_DEP_3)
	v_cvt_f16_i16_e64 v211, v211
	v_bfe_i32 v210, v210, 0, 8
	s_delay_alu instid0(VALU_DEP_3) | instskip(NEXT) | instid1(VALU_DEP_2)
	v_cvt_f16_i16_e64 v207, v207
	v_cvt_f16_i16_e64 v210, v210
	s_delay_alu instid0(VALU_DEP_2) | instskip(SKIP_1) | instid1(VALU_DEP_2)
	v_pack_b32_f16 v207, v211, v207
	v_ashrrev_i16 v211, 8, v212
	v_pk_mul_f16 v207, v207, v206
	s_delay_alu instid0(VALU_DEP_2) | instskip(NEXT) | instid1(VALU_DEP_2)
	v_cvt_f16_i16_e64 v211, v211
	v_pk_fma_f16 v205, v207, v208, v205
	s_delay_alu instid0(VALU_DEP_2) | instskip(NEXT) | instid1(VALU_DEP_1)
	v_pack_b32_f16 v210, v211, v210
	v_pk_mul_f16 v206, v210, v206
	v_add_nc_u64_e32 v[210:211], s[4:5], v[168:169]
	v_add_nc_u64_e32 v[168:169], s[22:23], v[168:169]
	s_delay_alu instid0(VALU_DEP_3)
	v_pk_fma_f16 v21, v206, v208, v21
	v_add_nc_u64_e32 v[206:207], s[4:5], v[170:171]
	v_mul_u32_u24_e32 v208, 0x10001, v216
	global_load_b32 v210, v[210:211], off
	v_add_nc_u64_e32 v[170:171], s[22:23], v[170:171]
	s_clause 0x1
	global_load_b32 v211, v[206:207], off offset:2
	global_load_u16 v206, v[206:207], off
	s_wait_loadcnt 0x1
	v_lshrrev_b32_e32 v212, v196, v211
	v_dual_ashrrev_i32 v210, v200, v210 :: v_dual_lshrrev_b32 v213, v201, v211
	s_wait_loadcnt 0x0
	v_mul_u32_u24_e32 v206, 0x10001, v206
	s_delay_alu instid0(VALU_DEP_3) | instskip(NEXT) | instid1(VALU_DEP_3)
	v_lshlrev_b32_e32 v212, 4, v212
	v_and_b32_e32 v210, 0xf0f0f0f, v210
	s_delay_alu instid0(VALU_DEP_2) | instskip(NEXT) | instid1(VALU_DEP_1)
	v_dual_lshlrev_b32 v213, 12, v213 :: v_dual_bitop2_b32 v212, 16, v212 bitop3:0x40
	v_and_b32_e32 v213, 0x1000, v213
	s_delay_alu instid0(VALU_DEP_1) | instskip(SKIP_1) | instid1(VALU_DEP_1)
	v_or3_b32 v212, v212, v210, v213
	v_dual_lshrrev_b32 v213, v202, v211 :: v_dual_lshrrev_b32 v211, v203, v211
	v_dual_lshlrev_b32 v211, 28, v211 :: v_dual_lshlrev_b32 v213, 20, v213
	s_delay_alu instid0(VALU_DEP_1) | instskip(NEXT) | instid1(VALU_DEP_2)
	v_and_b32_e32 v211, 0x10000000, v211
	v_and_b32_e32 v213, 0x100000, v213
	s_delay_alu instid0(VALU_DEP_1) | instskip(SKIP_2) | instid1(VALU_DEP_2)
	v_or3_b32 v210, v210, v213, v211
	v_lshlrev_b16 v211, 8, v212
	s_wait_dscnt 0x2
	v_dual_lshrrev_b32 v213, 16, v19 :: v_dual_lshrrev_b32 v210, 16, v210
	s_delay_alu instid0(VALU_DEP_2) | instskip(NEXT) | instid1(VALU_DEP_1)
	v_add_nc_u16 v211, 0xf000, v211
	v_lshrrev_b16 v211, 8, v211
	s_delay_alu instid0(VALU_DEP_1) | instskip(NEXT) | instid1(VALU_DEP_4)
	v_bitop3_b16 v211, v212, v211, 0x1f00 bitop3:0xec
	v_lshlrev_b16 v212, 8, v210
	v_and_b32_e32 v210, 0x1f00, v210
	s_delay_alu instid0(VALU_DEP_3) | instskip(NEXT) | instid1(VALU_DEP_3)
	v_add_nc_u16 v211, 0xf000, v211
	v_add_nc_u16 v212, 0xf000, v212
	s_delay_alu instid0(VALU_DEP_3) | instskip(NEXT) | instid1(VALU_DEP_3)
	v_add_nc_u16 v210, 0xf000, v210
	v_lshrrev_b32_e32 v207, 8, v211
	v_bfe_i32 v211, v211, 0, 8
	s_delay_alu instid0(VALU_DEP_3) | instskip(NEXT) | instid1(VALU_DEP_3)
	v_lshrrev_b32_e32 v210, 8, v210
	v_bfe_i32 v207, v207, 0, 8
	s_delay_alu instid0(VALU_DEP_3) | instskip(NEXT) | instid1(VALU_DEP_3)
	v_cvt_f16_i16_e64 v211, v211
	v_bfe_i32 v210, v210, 0, 8
	s_delay_alu instid0(VALU_DEP_3) | instskip(NEXT) | instid1(VALU_DEP_2)
	v_cvt_f16_i16_e64 v207, v207
	v_cvt_f16_i16_e64 v210, v210
	s_delay_alu instid0(VALU_DEP_2) | instskip(SKIP_1) | instid1(VALU_DEP_2)
	v_pack_b32_f16 v207, v211, v207
	v_ashrrev_i16 v211, 8, v212
	v_pk_mul_f16 v207, v207, v206
	s_delay_alu instid0(VALU_DEP_2) | instskip(NEXT) | instid1(VALU_DEP_2)
	v_cvt_f16_i16_e64 v211, v211
	v_pk_fma_f16 v205, v207, v208, v205
	s_delay_alu instid0(VALU_DEP_2) | instskip(NEXT) | instid1(VALU_DEP_1)
	v_pack_b32_f16 v210, v211, v210
	v_pk_mul_f16 v206, v210, v206
	s_delay_alu instid0(VALU_DEP_1) | instskip(SKIP_3) | instid1(VALU_DEP_3)
	v_pk_fma_f16 v21, v206, v208, v21
	v_and_b32_e32 v206, 0xffff, v209
	v_add_nc_u64_e32 v[208:209], s[4:5], v[164:165]
	v_add_nc_u64_e32 v[164:165], s[22:23], v[164:165]
	v_mul_u32_u24_e32 v210, 0x10001, v206
	v_add_nc_u64_e32 v[206:207], s[4:5], v[166:167]
	v_add_nc_u64_e32 v[166:167], s[22:23], v[166:167]
	global_load_b32 v208, v[208:209], off
	s_clause 0x1
	global_load_b32 v209, v[206:207], off offset:2
	global_load_u16 v206, v[206:207], off
	s_wait_loadcnt 0x1
	v_dual_lshrrev_b32 v211, v196, v209 :: v_dual_lshrrev_b32 v212, v201, v209
	v_ashrrev_i32_e32 v208, v200, v208
	s_wait_loadcnt 0x0
	v_mul_u32_u24_e32 v206, 0x10001, v206
	s_delay_alu instid0(VALU_DEP_3) | instskip(NEXT) | instid1(VALU_DEP_3)
	v_dual_lshlrev_b32 v211, 4, v211 :: v_dual_lshlrev_b32 v212, 12, v212
	v_and_b32_e32 v208, 0xf0f0f0f, v208
	s_delay_alu instid0(VALU_DEP_2) | instskip(NEXT) | instid1(VALU_DEP_3)
	v_and_b32_e32 v211, 16, v211
	v_and_b32_e32 v212, 0x1000, v212
	s_delay_alu instid0(VALU_DEP_1) | instskip(SKIP_1) | instid1(VALU_DEP_1)
	v_or3_b32 v211, v211, v208, v212
	v_dual_lshrrev_b32 v212, v202, v209 :: v_dual_lshrrev_b32 v209, v203, v209
	v_dual_lshlrev_b32 v212, 20, v212 :: v_dual_lshlrev_b32 v209, 28, v209
	s_delay_alu instid0(VALU_DEP_1) | instskip(NEXT) | instid1(VALU_DEP_2)
	v_and_b32_e32 v212, 0x100000, v212
	v_and_b32_e32 v209, 0x10000000, v209
	s_delay_alu instid0(VALU_DEP_1) | instskip(SKIP_1) | instid1(VALU_DEP_1)
	v_or3_b32 v208, v208, v212, v209
	v_lshlrev_b16 v209, 8, v211
	v_add_nc_u16 v209, 0xf000, v209
	s_delay_alu instid0(VALU_DEP_1) | instskip(NEXT) | instid1(VALU_DEP_1)
	v_lshrrev_b16 v209, 8, v209
	v_bitop3_b16 v209, v211, v209, 0x1f00 bitop3:0xec
	s_delay_alu instid0(VALU_DEP_1) | instskip(NEXT) | instid1(VALU_DEP_1)
	v_add_nc_u16 v209, 0xf000, v209
	v_dual_lshrrev_b32 v208, 16, v208 :: v_dual_lshrrev_b32 v207, 8, v209
	s_delay_alu instid0(VALU_DEP_1) | instskip(SKIP_2) | instid1(VALU_DEP_4)
	v_lshlrev_b16 v211, 8, v208
	v_and_b32_e32 v208, 0x1f00, v208
	v_bfe_i32 v209, v209, 0, 8
	v_bfe_i32 v207, v207, 0, 8
	s_delay_alu instid0(VALU_DEP_4) | instskip(NEXT) | instid1(VALU_DEP_4)
	v_add_nc_u16 v211, 0xf000, v211
	v_add_nc_u16 v208, 0xf000, v208
	s_delay_alu instid0(VALU_DEP_4) | instskip(NEXT) | instid1(VALU_DEP_4)
	v_cvt_f16_i16_e64 v209, v209
	v_cvt_f16_i16_e64 v207, v207
	s_delay_alu instid0(VALU_DEP_3) | instskip(NEXT) | instid1(VALU_DEP_2)
	v_lshrrev_b32_e32 v208, 8, v208
	v_pack_b32_f16 v207, v209, v207
	v_ashrrev_i16 v209, 8, v211
	s_delay_alu instid0(VALU_DEP_3) | instskip(NEXT) | instid1(VALU_DEP_3)
	v_bfe_i32 v208, v208, 0, 8
	v_pk_mul_f16 v207, v207, v206
	s_delay_alu instid0(VALU_DEP_3) | instskip(NEXT) | instid1(VALU_DEP_3)
	v_cvt_f16_i16_e64 v209, v209
	v_cvt_f16_i16_e64 v208, v208
	s_delay_alu instid0(VALU_DEP_3) | instskip(NEXT) | instid1(VALU_DEP_2)
	v_pk_fma_f16 v205, v207, v210, v205
	v_pack_b32_f16 v208, v209, v208
	s_delay_alu instid0(VALU_DEP_1) | instskip(SKIP_2) | instid1(VALU_DEP_3)
	v_pk_mul_f16 v206, v208, v206
	v_add_nc_u64_e32 v[208:209], s[4:5], v[160:161]
	v_add_nc_u64_e32 v[160:161], s[22:23], v[160:161]
	v_pk_fma_f16 v21, v206, v210, v21
	v_add_nc_u64_e32 v[206:207], s[4:5], v[162:163]
	v_mul_u32_u24_e32 v210, 0x10001, v217
	global_load_b32 v208, v[208:209], off
	v_add_nc_u64_e32 v[162:163], s[22:23], v[162:163]
	s_clause 0x1
	global_load_b32 v209, v[206:207], off offset:2
	global_load_u16 v206, v[206:207], off
	s_wait_loadcnt 0x1
	v_lshrrev_b32_e32 v211, v196, v209
	v_dual_ashrrev_i32 v208, v200, v208 :: v_dual_lshrrev_b32 v212, v201, v209
	s_wait_loadcnt 0x0
	v_mul_u32_u24_e32 v206, 0x10001, v206
	s_delay_alu instid0(VALU_DEP_3) | instskip(NEXT) | instid1(VALU_DEP_3)
	v_lshlrev_b32_e32 v211, 4, v211
	v_and_b32_e32 v208, 0xf0f0f0f, v208
	s_delay_alu instid0(VALU_DEP_2) | instskip(NEXT) | instid1(VALU_DEP_1)
	v_dual_lshlrev_b32 v212, 12, v212 :: v_dual_bitop2_b32 v211, 16, v211 bitop3:0x40
	v_and_b32_e32 v212, 0x1000, v212
	s_delay_alu instid0(VALU_DEP_1) | instskip(SKIP_1) | instid1(VALU_DEP_1)
	v_or3_b32 v211, v211, v208, v212
	v_dual_lshrrev_b32 v212, v202, v209 :: v_dual_lshrrev_b32 v209, v203, v209
	v_dual_lshlrev_b32 v209, 28, v209 :: v_dual_lshlrev_b32 v212, 20, v212
	s_delay_alu instid0(VALU_DEP_1) | instskip(NEXT) | instid1(VALU_DEP_2)
	v_and_b32_e32 v209, 0x10000000, v209
	v_and_b32_e32 v212, 0x100000, v212
	s_delay_alu instid0(VALU_DEP_1) | instskip(SKIP_1) | instid1(VALU_DEP_2)
	v_or3_b32 v208, v208, v212, v209
	v_lshlrev_b16 v209, 8, v211
	v_dual_lshrrev_b32 v212, 16, v18 :: v_dual_lshrrev_b32 v208, 16, v208
	s_delay_alu instid0(VALU_DEP_2) | instskip(NEXT) | instid1(VALU_DEP_1)
	v_add_nc_u16 v209, 0xf000, v209
	v_lshrrev_b16 v209, 8, v209
	s_delay_alu instid0(VALU_DEP_1) | instskip(NEXT) | instid1(VALU_DEP_4)
	v_bitop3_b16 v209, v211, v209, 0x1f00 bitop3:0xec
	v_lshlrev_b16 v211, 8, v208
	s_delay_alu instid0(VALU_DEP_2) | instskip(NEXT) | instid1(VALU_DEP_2)
	v_add_nc_u16 v209, 0xf000, v209
	v_add_nc_u16 v211, 0xf000, v211
	s_delay_alu instid0(VALU_DEP_2) | instskip(SKIP_1) | instid1(VALU_DEP_2)
	v_lshrrev_b32_e32 v207, 8, v209
	v_bfe_i32 v209, v209, 0, 8
	v_bfe_i32 v207, v207, 0, 8
	s_delay_alu instid0(VALU_DEP_2) | instskip(NEXT) | instid1(VALU_DEP_2)
	v_cvt_f16_i16_e64 v209, v209
	v_cvt_f16_i16_e64 v207, v207
	s_delay_alu instid0(VALU_DEP_1) | instskip(SKIP_3) | instid1(VALU_DEP_4)
	v_pack_b32_f16 v207, v209, v207
	v_ashrrev_i16 v209, 8, v211
	v_lshrrev_b32_e32 v211, 16, v17
	v_and_b32_e32 v208, 0x1f00, v208
	v_pk_mul_f16 v207, v207, v206
	s_delay_alu instid0(VALU_DEP_4) | instskip(NEXT) | instid1(VALU_DEP_3)
	v_cvt_f16_i16_e64 v209, v209
	v_add_nc_u16 v208, 0xf000, v208
	s_delay_alu instid0(VALU_DEP_3) | instskip(NEXT) | instid1(VALU_DEP_2)
	v_pk_fma_f16 v205, v207, v210, v205
	v_lshrrev_b32_e32 v208, 8, v208
	s_delay_alu instid0(VALU_DEP_1) | instskip(NEXT) | instid1(VALU_DEP_1)
	v_bfe_i32 v208, v208, 0, 8
	v_cvt_f16_i16_e64 v208, v208
	s_delay_alu instid0(VALU_DEP_1) | instskip(NEXT) | instid1(VALU_DEP_1)
	v_pack_b32_f16 v208, v209, v208
	v_pk_mul_f16 v206, v208, v206
	v_add_nc_u64_e32 v[208:209], s[4:5], v[156:157]
	v_add_nc_u64_e32 v[156:157], s[22:23], v[156:157]
	s_delay_alu instid0(VALU_DEP_3)
	v_pk_fma_f16 v21, v206, v210, v21
	v_add_nc_u64_e32 v[206:207], s[4:5], v[158:159]
	v_lshrrev_b32_e32 v210, 16, v16
	global_load_b32 v208, v[208:209], off
	v_and_b32_e32 v16, 0xffff, v16
	v_add_nc_u64_e32 v[158:159], s[22:23], v[158:159]
	s_clause 0x1
	global_load_b32 v209, v[206:207], off offset:2
	global_load_u16 v206, v[206:207], off
	v_mul_u32_u24_e32 v16, 0x10001, v16
	s_wait_loadcnt 0x1
	v_dual_lshrrev_b32 v214, v196, v209 :: v_dual_lshrrev_b32 v215, v201, v209
	v_ashrrev_i32_e32 v208, v200, v208
	s_wait_loadcnt 0x0
	v_mul_u32_u24_e32 v206, 0x10001, v206
	s_delay_alu instid0(VALU_DEP_3) | instskip(NEXT) | instid1(VALU_DEP_3)
	v_dual_lshlrev_b32 v214, 4, v214 :: v_dual_lshlrev_b32 v215, 12, v215
	v_and_b32_e32 v208, 0xf0f0f0f, v208
	s_delay_alu instid0(VALU_DEP_2) | instskip(NEXT) | instid1(VALU_DEP_3)
	v_and_b32_e32 v214, 16, v214
	v_and_b32_e32 v215, 0x1000, v215
	s_delay_alu instid0(VALU_DEP_1) | instskip(SKIP_1) | instid1(VALU_DEP_1)
	v_or3_b32 v214, v214, v208, v215
	v_dual_lshrrev_b32 v215, v202, v209 :: v_dual_lshrrev_b32 v209, v203, v209
	v_dual_lshlrev_b32 v215, 20, v215 :: v_dual_lshlrev_b32 v209, 28, v209
	s_delay_alu instid0(VALU_DEP_1) | instskip(NEXT) | instid1(VALU_DEP_2)
	v_and_b32_e32 v215, 0x100000, v215
	v_and_b32_e32 v209, 0x10000000, v209
	s_delay_alu instid0(VALU_DEP_1) | instskip(SKIP_1) | instid1(VALU_DEP_1)
	v_or3_b32 v208, v208, v215, v209
	v_lshlrev_b16 v209, 8, v214
	v_add_nc_u16 v209, 0xf000, v209
	s_delay_alu instid0(VALU_DEP_1) | instskip(NEXT) | instid1(VALU_DEP_1)
	v_lshrrev_b16 v209, 8, v209
	v_bitop3_b16 v209, v214, v209, 0x1f00 bitop3:0xec
	s_delay_alu instid0(VALU_DEP_1) | instskip(NEXT) | instid1(VALU_DEP_1)
	v_add_nc_u16 v209, 0xf000, v209
	v_dual_lshrrev_b32 v208, 16, v208 :: v_dual_lshrrev_b32 v207, 8, v209
	s_delay_alu instid0(VALU_DEP_1) | instskip(SKIP_2) | instid1(VALU_DEP_4)
	v_lshlrev_b16 v214, 8, v208
	v_and_b32_e32 v208, 0x1f00, v208
	v_bfe_i32 v209, v209, 0, 8
	v_bfe_i32 v207, v207, 0, 8
	s_delay_alu instid0(VALU_DEP_4) | instskip(NEXT) | instid1(VALU_DEP_4)
	v_add_nc_u16 v214, 0xf000, v214
	v_add_nc_u16 v208, 0xf000, v208
	s_delay_alu instid0(VALU_DEP_4) | instskip(NEXT) | instid1(VALU_DEP_4)
	v_cvt_f16_i16_e64 v209, v209
	v_cvt_f16_i16_e64 v207, v207
	s_delay_alu instid0(VALU_DEP_3) | instskip(NEXT) | instid1(VALU_DEP_2)
	v_lshrrev_b32_e32 v208, 8, v208
	v_pack_b32_f16 v207, v209, v207
	v_ashrrev_i16 v209, 8, v214
	s_delay_alu instid0(VALU_DEP_3) | instskip(NEXT) | instid1(VALU_DEP_3)
	v_bfe_i32 v208, v208, 0, 8
	v_pk_mul_f16 v207, v207, v206
	s_delay_alu instid0(VALU_DEP_3) | instskip(NEXT) | instid1(VALU_DEP_3)
	v_cvt_f16_i16_e64 v209, v209
	v_cvt_f16_i16_e64 v208, v208
	s_delay_alu instid0(VALU_DEP_3) | instskip(NEXT) | instid1(VALU_DEP_2)
	v_pk_fma_f16 v205, v207, v16, v205
	v_pack_b32_f16 v208, v209, v208
	s_delay_alu instid0(VALU_DEP_1) | instskip(SKIP_2) | instid1(VALU_DEP_3)
	v_pk_mul_f16 v206, v208, v206
	v_add_nc_u64_e32 v[208:209], s[4:5], v[152:153]
	v_add_nc_u64_e32 v[152:153], s[22:23], v[152:153]
	v_pk_fma_f16 v16, v206, v16, v21
	v_add_nc_u64_e32 v[206:207], s[4:5], v[154:155]
	v_mul_u32_u24_e32 v21, 0x10001, v210
	global_load_b32 v208, v[208:209], off
	v_add_nc_u64_e32 v[154:155], s[22:23], v[154:155]
	s_clause 0x1
	global_load_b32 v209, v[206:207], off offset:2
	global_load_u16 v206, v[206:207], off
	s_wait_loadcnt 0x1
	v_lshrrev_b32_e32 v210, v196, v209
	v_dual_ashrrev_i32 v208, v200, v208 :: v_dual_lshrrev_b32 v214, v201, v209
	s_wait_loadcnt 0x0
	v_mul_u32_u24_e32 v206, 0x10001, v206
	s_delay_alu instid0(VALU_DEP_3) | instskip(NEXT) | instid1(VALU_DEP_3)
	v_lshlrev_b32_e32 v210, 4, v210
	v_and_b32_e32 v208, 0xf0f0f0f, v208
	v_lshlrev_b32_e32 v214, 12, v214
	s_delay_alu instid0(VALU_DEP_3) | instskip(NEXT) | instid1(VALU_DEP_2)
	v_and_b32_e32 v210, 16, v210
	v_and_b32_e32 v214, 0x1000, v214
	s_delay_alu instid0(VALU_DEP_1) | instskip(SKIP_1) | instid1(VALU_DEP_1)
	v_or3_b32 v210, v210, v208, v214
	v_dual_lshrrev_b32 v214, v202, v209 :: v_dual_lshrrev_b32 v209, v203, v209
	v_dual_lshlrev_b32 v209, 28, v209 :: v_dual_lshlrev_b32 v214, 20, v214
	s_delay_alu instid0(VALU_DEP_1) | instskip(NEXT) | instid1(VALU_DEP_2)
	v_and_b32_e32 v209, 0x10000000, v209
	v_and_b32_e32 v214, 0x100000, v214
	s_delay_alu instid0(VALU_DEP_1) | instskip(SKIP_1) | instid1(VALU_DEP_2)
	v_or3_b32 v208, v208, v214, v209
	v_lshlrev_b16 v209, 8, v210
	v_lshrrev_b32_e32 v208, 16, v208
	s_delay_alu instid0(VALU_DEP_2) | instskip(NEXT) | instid1(VALU_DEP_1)
	v_add_nc_u16 v209, 0xf000, v209
	v_lshrrev_b16 v209, 8, v209
	s_delay_alu instid0(VALU_DEP_1) | instskip(NEXT) | instid1(VALU_DEP_4)
	v_bitop3_b16 v209, v210, v209, 0x1f00 bitop3:0xec
	v_lshlrev_b16 v210, 8, v208
	v_and_b32_e32 v208, 0x1f00, v208
	s_delay_alu instid0(VALU_DEP_3) | instskip(NEXT) | instid1(VALU_DEP_3)
	v_add_nc_u16 v209, 0xf000, v209
	v_add_nc_u16 v210, 0xf000, v210
	s_delay_alu instid0(VALU_DEP_3) | instskip(NEXT) | instid1(VALU_DEP_3)
	v_add_nc_u16 v208, 0xf000, v208
	v_lshrrev_b32_e32 v207, 8, v209
	v_bfe_i32 v209, v209, 0, 8
	s_delay_alu instid0(VALU_DEP_3) | instskip(NEXT) | instid1(VALU_DEP_3)
	v_lshrrev_b32_e32 v208, 8, v208
	v_bfe_i32 v207, v207, 0, 8
	s_delay_alu instid0(VALU_DEP_3) | instskip(NEXT) | instid1(VALU_DEP_3)
	v_cvt_f16_i16_e64 v209, v209
	v_bfe_i32 v208, v208, 0, 8
	s_delay_alu instid0(VALU_DEP_3) | instskip(NEXT) | instid1(VALU_DEP_2)
	v_cvt_f16_i16_e64 v207, v207
	v_cvt_f16_i16_e64 v208, v208
	s_delay_alu instid0(VALU_DEP_2) | instskip(SKIP_1) | instid1(VALU_DEP_2)
	v_pack_b32_f16 v207, v209, v207
	v_ashrrev_i16 v209, 8, v210
	v_pk_mul_f16 v207, v207, v206
	s_delay_alu instid0(VALU_DEP_2) | instskip(NEXT) | instid1(VALU_DEP_2)
	v_cvt_f16_i16_e64 v209, v209
	v_pk_fma_f16 v205, v207, v21, v205
	s_delay_alu instid0(VALU_DEP_2) | instskip(NEXT) | instid1(VALU_DEP_1)
	v_pack_b32_f16 v208, v209, v208
	v_pk_mul_f16 v206, v208, v206
	s_delay_alu instid0(VALU_DEP_1) | instskip(SKIP_3) | instid1(VALU_DEP_3)
	v_pk_fma_f16 v21, v206, v21, v16
	v_and_b32_e32 v16, 0xffff, v17
	v_add_nc_u64_e32 v[206:207], s[4:5], v[148:149]
	v_add_nc_u64_e32 v[148:149], s[22:23], v[148:149]
	v_mul_u32_u24_e32 v208, 0x10001, v16
	v_add_nc_u64_e32 v[16:17], s[4:5], v[150:151]
	v_add_nc_u64_e32 v[150:151], s[22:23], v[150:151]
	global_load_b32 v206, v[206:207], off
	s_clause 0x1
	global_load_b32 v207, v[16:17], off offset:2
	global_load_u16 v16, v[16:17], off
	s_wait_loadcnt 0x1
	v_dual_lshrrev_b32 v209, v196, v207 :: v_dual_lshrrev_b32 v210, v201, v207
	v_ashrrev_i32_e32 v206, v200, v206
	s_wait_loadcnt 0x0
	v_mul_u32_u24_e32 v16, 0x10001, v16
	s_delay_alu instid0(VALU_DEP_3) | instskip(NEXT) | instid1(VALU_DEP_3)
	v_dual_lshlrev_b32 v209, 4, v209 :: v_dual_lshlrev_b32 v210, 12, v210
	v_and_b32_e32 v206, 0xf0f0f0f, v206
	s_delay_alu instid0(VALU_DEP_2) | instskip(NEXT) | instid1(VALU_DEP_3)
	v_and_b32_e32 v209, 16, v209
	v_and_b32_e32 v210, 0x1000, v210
	s_delay_alu instid0(VALU_DEP_1) | instskip(SKIP_1) | instid1(VALU_DEP_1)
	v_or3_b32 v209, v209, v206, v210
	v_dual_lshrrev_b32 v210, v202, v207 :: v_dual_lshrrev_b32 v207, v203, v207
	v_dual_lshlrev_b32 v210, 20, v210 :: v_dual_lshlrev_b32 v207, 28, v207
	s_delay_alu instid0(VALU_DEP_1) | instskip(NEXT) | instid1(VALU_DEP_2)
	v_and_b32_e32 v210, 0x100000, v210
	v_and_b32_e32 v207, 0x10000000, v207
	s_delay_alu instid0(VALU_DEP_1) | instskip(SKIP_1) | instid1(VALU_DEP_1)
	v_or3_b32 v206, v206, v210, v207
	v_lshlrev_b16 v207, 8, v209
	v_add_nc_u16 v207, 0xf000, v207
	s_delay_alu instid0(VALU_DEP_1) | instskip(NEXT) | instid1(VALU_DEP_1)
	v_lshrrev_b16 v207, 8, v207
	v_bitop3_b16 v207, v209, v207, 0x1f00 bitop3:0xec
	s_delay_alu instid0(VALU_DEP_1) | instskip(NEXT) | instid1(VALU_DEP_1)
	v_add_nc_u16 v207, 0xf000, v207
	v_dual_lshrrev_b32 v206, 16, v206 :: v_dual_lshrrev_b32 v17, 8, v207
	s_delay_alu instid0(VALU_DEP_1) | instskip(SKIP_2) | instid1(VALU_DEP_4)
	v_lshlrev_b16 v209, 8, v206
	v_and_b32_e32 v206, 0x1f00, v206
	v_bfe_i32 v207, v207, 0, 8
	v_bfe_i32 v17, v17, 0, 8
	s_delay_alu instid0(VALU_DEP_4) | instskip(NEXT) | instid1(VALU_DEP_4)
	v_add_nc_u16 v209, 0xf000, v209
	v_add_nc_u16 v206, 0xf000, v206
	s_delay_alu instid0(VALU_DEP_4) | instskip(NEXT) | instid1(VALU_DEP_4)
	v_cvt_f16_i16_e64 v207, v207
	v_cvt_f16_i16_e32 v17, v17
	s_delay_alu instid0(VALU_DEP_3) | instskip(NEXT) | instid1(VALU_DEP_2)
	v_lshrrev_b32_e32 v206, 8, v206
	v_pack_b32_f16 v17, v207, v17
	v_ashrrev_i16 v207, 8, v209
	s_delay_alu instid0(VALU_DEP_3) | instskip(NEXT) | instid1(VALU_DEP_3)
	v_bfe_i32 v206, v206, 0, 8
	v_pk_mul_f16 v17, v17, v16
	s_delay_alu instid0(VALU_DEP_3) | instskip(NEXT) | instid1(VALU_DEP_3)
	v_cvt_f16_i16_e64 v207, v207
	v_cvt_f16_i16_e64 v206, v206
	s_delay_alu instid0(VALU_DEP_3) | instskip(NEXT) | instid1(VALU_DEP_2)
	v_pk_fma_f16 v205, v17, v208, v205
	v_pack_b32_f16 v206, v207, v206
	s_delay_alu instid0(VALU_DEP_1) | instskip(SKIP_2) | instid1(VALU_DEP_3)
	v_pk_mul_f16 v16, v206, v16
	v_add_nc_u64_e32 v[206:207], s[4:5], v[144:145]
	v_add_nc_u64_e32 v[144:145], s[22:23], v[144:145]
	v_pk_fma_f16 v21, v16, v208, v21
	v_add_nc_u64_e32 v[16:17], s[4:5], v[146:147]
	v_mul_u32_u24_e32 v208, 0x10001, v211
	global_load_b32 v206, v[206:207], off
	v_add_nc_u64_e32 v[146:147], s[22:23], v[146:147]
	s_clause 0x1
	global_load_b32 v207, v[16:17], off offset:2
	global_load_u16 v16, v[16:17], off
	s_wait_loadcnt 0x1
	v_lshrrev_b32_e32 v209, v196, v207
	v_dual_ashrrev_i32 v206, v200, v206 :: v_dual_lshrrev_b32 v210, v201, v207
	s_wait_loadcnt 0x0
	v_mul_u32_u24_e32 v16, 0x10001, v16
	s_delay_alu instid0(VALU_DEP_3) | instskip(NEXT) | instid1(VALU_DEP_3)
	v_lshlrev_b32_e32 v209, 4, v209
	v_and_b32_e32 v206, 0xf0f0f0f, v206
	s_delay_alu instid0(VALU_DEP_2) | instskip(NEXT) | instid1(VALU_DEP_1)
	v_dual_lshlrev_b32 v210, 12, v210 :: v_dual_bitop2_b32 v209, 16, v209 bitop3:0x40
	v_and_b32_e32 v210, 0x1000, v210
	s_delay_alu instid0(VALU_DEP_1) | instskip(SKIP_1) | instid1(VALU_DEP_1)
	v_or3_b32 v209, v209, v206, v210
	v_dual_lshrrev_b32 v210, v202, v207 :: v_dual_lshrrev_b32 v207, v203, v207
	v_dual_lshlrev_b32 v207, 28, v207 :: v_dual_lshlrev_b32 v210, 20, v210
	s_delay_alu instid0(VALU_DEP_1) | instskip(NEXT) | instid1(VALU_DEP_2)
	v_and_b32_e32 v207, 0x10000000, v207
	v_and_b32_e32 v210, 0x100000, v210
	s_delay_alu instid0(VALU_DEP_1) | instskip(SKIP_1) | instid1(VALU_DEP_2)
	v_or3_b32 v206, v206, v210, v207
	v_lshlrev_b16 v207, 8, v209
	v_lshrrev_b32_e32 v206, 16, v206
	s_delay_alu instid0(VALU_DEP_2) | instskip(NEXT) | instid1(VALU_DEP_1)
	v_add_nc_u16 v207, 0xf000, v207
	v_lshrrev_b16 v207, 8, v207
	s_delay_alu instid0(VALU_DEP_1) | instskip(NEXT) | instid1(VALU_DEP_4)
	v_bitop3_b16 v207, v209, v207, 0x1f00 bitop3:0xec
	v_lshlrev_b16 v209, 8, v206
	v_and_b32_e32 v206, 0x1f00, v206
	s_delay_alu instid0(VALU_DEP_3) | instskip(NEXT) | instid1(VALU_DEP_3)
	v_add_nc_u16 v207, 0xf000, v207
	v_add_nc_u16 v209, 0xf000, v209
	s_delay_alu instid0(VALU_DEP_3) | instskip(NEXT) | instid1(VALU_DEP_3)
	v_add_nc_u16 v206, 0xf000, v206
	v_lshrrev_b32_e32 v17, 8, v207
	v_bfe_i32 v207, v207, 0, 8
	s_delay_alu instid0(VALU_DEP_3) | instskip(NEXT) | instid1(VALU_DEP_3)
	v_lshrrev_b32_e32 v206, 8, v206
	v_bfe_i32 v17, v17, 0, 8
	s_delay_alu instid0(VALU_DEP_3) | instskip(NEXT) | instid1(VALU_DEP_3)
	v_cvt_f16_i16_e64 v207, v207
	v_bfe_i32 v206, v206, 0, 8
	s_delay_alu instid0(VALU_DEP_3) | instskip(NEXT) | instid1(VALU_DEP_2)
	v_cvt_f16_i16_e32 v17, v17
	v_cvt_f16_i16_e64 v206, v206
	s_delay_alu instid0(VALU_DEP_2) | instskip(SKIP_1) | instid1(VALU_DEP_2)
	v_pack_b32_f16 v17, v207, v17
	v_ashrrev_i16 v207, 8, v209
	v_pk_mul_f16 v17, v17, v16
	s_delay_alu instid0(VALU_DEP_2) | instskip(NEXT) | instid1(VALU_DEP_2)
	v_cvt_f16_i16_e64 v207, v207
	v_pk_fma_f16 v205, v17, v208, v205
	s_delay_alu instid0(VALU_DEP_2) | instskip(NEXT) | instid1(VALU_DEP_1)
	v_pack_b32_f16 v206, v207, v206
	v_pk_mul_f16 v16, v206, v16
	v_add_nc_u64_e32 v[206:207], s[4:5], v[140:141]
	v_add_nc_u64_e32 v[140:141], s[22:23], v[140:141]
	s_delay_alu instid0(VALU_DEP_3)
	v_pk_fma_f16 v21, v16, v208, v21
	v_and_b32_e32 v16, 0xffff, v18
	global_load_b32 v206, v[206:207], off
	v_mul_u32_u24_e32 v18, 0x10001, v16
	v_add_nc_u64_e32 v[16:17], s[4:5], v[142:143]
	v_add_nc_u64_e32 v[142:143], s[22:23], v[142:143]
	s_clause 0x1
	global_load_b32 v207, v[16:17], off offset:2
	global_load_u16 v16, v[16:17], off
	s_wait_loadcnt 0x1
	v_dual_lshrrev_b32 v208, v196, v207 :: v_dual_lshrrev_b32 v209, v201, v207
	s_wait_loadcnt 0x0
	v_mul_u32_u24_e32 v16, 0x10001, v16
	s_delay_alu instid0(VALU_DEP_2) | instskip(NEXT) | instid1(VALU_DEP_1)
	v_dual_lshlrev_b32 v208, 4, v208 :: v_dual_ashrrev_i32 v206, v200, v206
	v_dual_lshlrev_b32 v209, 12, v209 :: v_dual_bitop2_b32 v208, 16, v208 bitop3:0x40
	s_delay_alu instid0(VALU_DEP_2) | instskip(NEXT) | instid1(VALU_DEP_2)
	v_and_b32_e32 v206, 0xf0f0f0f, v206
	v_and_b32_e32 v209, 0x1000, v209
	s_delay_alu instid0(VALU_DEP_1) | instskip(SKIP_1) | instid1(VALU_DEP_1)
	v_or3_b32 v208, v208, v206, v209
	v_dual_lshrrev_b32 v209, v202, v207 :: v_dual_lshrrev_b32 v207, v203, v207
	v_dual_lshlrev_b32 v209, 20, v209 :: v_dual_lshlrev_b32 v207, 28, v207
	s_delay_alu instid0(VALU_DEP_1) | instskip(NEXT) | instid1(VALU_DEP_2)
	v_and_b32_e32 v209, 0x100000, v209
	v_and_b32_e32 v207, 0x10000000, v207
	s_delay_alu instid0(VALU_DEP_1) | instskip(SKIP_1) | instid1(VALU_DEP_2)
	v_or3_b32 v206, v206, v209, v207
	v_lshlrev_b16 v207, 8, v208
	v_lshrrev_b32_e32 v206, 16, v206
	s_delay_alu instid0(VALU_DEP_2) | instskip(NEXT) | instid1(VALU_DEP_1)
	v_add_nc_u16 v207, 0xf000, v207
	v_lshrrev_b16 v207, 8, v207
	s_delay_alu instid0(VALU_DEP_1) | instskip(NEXT) | instid1(VALU_DEP_4)
	v_bitop3_b16 v207, v208, v207, 0x1f00 bitop3:0xec
	v_lshlrev_b16 v208, 8, v206
	v_and_b32_e32 v206, 0x1f00, v206
	s_delay_alu instid0(VALU_DEP_3) | instskip(NEXT) | instid1(VALU_DEP_3)
	v_add_nc_u16 v207, 0xf000, v207
	v_add_nc_u16 v208, 0xf000, v208
	s_delay_alu instid0(VALU_DEP_3) | instskip(NEXT) | instid1(VALU_DEP_3)
	v_add_nc_u16 v206, 0xf000, v206
	v_lshrrev_b32_e32 v17, 8, v207
	v_bfe_i32 v207, v207, 0, 8
	s_delay_alu instid0(VALU_DEP_3) | instskip(NEXT) | instid1(VALU_DEP_3)
	v_lshrrev_b32_e32 v206, 8, v206
	v_bfe_i32 v17, v17, 0, 8
	s_delay_alu instid0(VALU_DEP_3) | instskip(NEXT) | instid1(VALU_DEP_3)
	v_cvt_f16_i16_e64 v207, v207
	v_bfe_i32 v206, v206, 0, 8
	s_delay_alu instid0(VALU_DEP_3) | instskip(NEXT) | instid1(VALU_DEP_2)
	v_cvt_f16_i16_e32 v17, v17
	v_cvt_f16_i16_e64 v206, v206
	s_delay_alu instid0(VALU_DEP_2) | instskip(SKIP_1) | instid1(VALU_DEP_2)
	v_pack_b32_f16 v17, v207, v17
	v_ashrrev_i16 v207, 8, v208
	v_pk_mul_f16 v17, v17, v16
	s_delay_alu instid0(VALU_DEP_2) | instskip(NEXT) | instid1(VALU_DEP_2)
	v_cvt_f16_i16_e64 v207, v207
	v_pk_fma_f16 v205, v17, v18, v205
	s_delay_alu instid0(VALU_DEP_2) | instskip(NEXT) | instid1(VALU_DEP_1)
	v_pack_b32_f16 v206, v207, v206
	v_pk_mul_f16 v16, v206, v16
	v_add_nc_u64_e32 v[206:207], s[4:5], v[136:137]
	v_add_nc_u64_e32 v[136:137], s[22:23], v[136:137]
	s_delay_alu instid0(VALU_DEP_3)
	v_pk_fma_f16 v18, v16, v18, v21
	v_add_nc_u64_e32 v[16:17], s[4:5], v[138:139]
	v_mul_u32_u24_e32 v21, 0x10001, v212
	global_load_b32 v206, v[206:207], off
	v_add_nc_u64_e32 v[138:139], s[22:23], v[138:139]
	s_clause 0x1
	global_load_b32 v207, v[16:17], off offset:2
	global_load_u16 v16, v[16:17], off
	s_wait_loadcnt 0x1
	v_lshrrev_b32_e32 v208, v196, v207
	v_dual_ashrrev_i32 v206, v200, v206 :: v_dual_lshrrev_b32 v209, v201, v207
	s_wait_loadcnt 0x0
	v_mul_u32_u24_e32 v16, 0x10001, v16
	s_delay_alu instid0(VALU_DEP_3) | instskip(NEXT) | instid1(VALU_DEP_3)
	v_lshlrev_b32_e32 v208, 4, v208
	v_and_b32_e32 v206, 0xf0f0f0f, v206
	s_delay_alu instid0(VALU_DEP_2) | instskip(NEXT) | instid1(VALU_DEP_1)
	v_dual_lshlrev_b32 v209, 12, v209 :: v_dual_bitop2_b32 v208, 16, v208 bitop3:0x40
	v_and_b32_e32 v209, 0x1000, v209
	s_delay_alu instid0(VALU_DEP_1) | instskip(SKIP_1) | instid1(VALU_DEP_1)
	v_or3_b32 v208, v208, v206, v209
	v_dual_lshrrev_b32 v209, v202, v207 :: v_dual_lshrrev_b32 v207, v203, v207
	v_dual_lshlrev_b32 v207, 28, v207 :: v_dual_lshlrev_b32 v209, 20, v209
	s_delay_alu instid0(VALU_DEP_1) | instskip(NEXT) | instid1(VALU_DEP_2)
	v_and_b32_e32 v207, 0x10000000, v207
	v_and_b32_e32 v209, 0x100000, v209
	s_delay_alu instid0(VALU_DEP_1) | instskip(SKIP_2) | instid1(VALU_DEP_2)
	v_or3_b32 v206, v206, v209, v207
	v_lshlrev_b16 v207, 8, v208
	s_wait_dscnt 0x1
	v_dual_lshrrev_b32 v209, 16, v15 :: v_dual_lshrrev_b32 v206, 16, v206
	s_delay_alu instid0(VALU_DEP_2) | instskip(NEXT) | instid1(VALU_DEP_1)
	v_add_nc_u16 v207, 0xf000, v207
	v_lshrrev_b16 v207, 8, v207
	s_delay_alu instid0(VALU_DEP_1) | instskip(NEXT) | instid1(VALU_DEP_4)
	v_bitop3_b16 v207, v208, v207, 0x1f00 bitop3:0xec
	v_lshlrev_b16 v208, 8, v206
	v_and_b32_e32 v206, 0x1f00, v206
	s_delay_alu instid0(VALU_DEP_3) | instskip(NEXT) | instid1(VALU_DEP_3)
	v_add_nc_u16 v207, 0xf000, v207
	v_add_nc_u16 v208, 0xf000, v208
	s_delay_alu instid0(VALU_DEP_3) | instskip(NEXT) | instid1(VALU_DEP_3)
	v_add_nc_u16 v206, 0xf000, v206
	v_lshrrev_b32_e32 v17, 8, v207
	v_bfe_i32 v207, v207, 0, 8
	s_delay_alu instid0(VALU_DEP_3) | instskip(NEXT) | instid1(VALU_DEP_3)
	v_lshrrev_b32_e32 v206, 8, v206
	v_bfe_i32 v17, v17, 0, 8
	s_delay_alu instid0(VALU_DEP_3) | instskip(NEXT) | instid1(VALU_DEP_3)
	v_cvt_f16_i16_e64 v207, v207
	v_bfe_i32 v206, v206, 0, 8
	s_delay_alu instid0(VALU_DEP_3) | instskip(NEXT) | instid1(VALU_DEP_2)
	v_cvt_f16_i16_e32 v17, v17
	v_cvt_f16_i16_e64 v206, v206
	s_delay_alu instid0(VALU_DEP_2) | instskip(SKIP_1) | instid1(VALU_DEP_2)
	v_pack_b32_f16 v17, v207, v17
	v_ashrrev_i16 v207, 8, v208
	v_pk_mul_f16 v17, v17, v16
	s_delay_alu instid0(VALU_DEP_2) | instskip(NEXT) | instid1(VALU_DEP_2)
	v_cvt_f16_i16_e64 v207, v207
	v_pk_fma_f16 v205, v17, v21, v205
	s_delay_alu instid0(VALU_DEP_2) | instskip(NEXT) | instid1(VALU_DEP_1)
	v_pack_b32_f16 v206, v207, v206
	v_pk_mul_f16 v16, v206, v16
	s_delay_alu instid0(VALU_DEP_1) | instskip(SKIP_3) | instid1(VALU_DEP_3)
	v_pk_fma_f16 v21, v16, v21, v18
	v_and_b32_e32 v16, 0xffff, v19
	v_add_nc_u64_e32 v[18:19], s[4:5], v[132:133]
	v_add_nc_u64_e32 v[132:133], s[22:23], v[132:133]
	v_mul_u32_u24_e32 v206, 0x10001, v16
	v_add_nc_u64_e32 v[16:17], s[4:5], v[134:135]
	v_add_nc_u64_e32 v[134:135], s[22:23], v[134:135]
	global_load_b32 v18, v[18:19], off
	s_clause 0x1
	global_load_b32 v19, v[16:17], off offset:2
	global_load_u16 v16, v[16:17], off
	s_wait_loadcnt 0x1
	v_dual_lshrrev_b32 v207, v196, v19 :: v_dual_lshrrev_b32 v208, v201, v19
	v_ashrrev_i32_e32 v18, v200, v18
	s_wait_loadcnt 0x0
	v_mul_u32_u24_e32 v16, 0x10001, v16
	s_delay_alu instid0(VALU_DEP_3) | instskip(NEXT) | instid1(VALU_DEP_3)
	v_dual_lshlrev_b32 v207, 4, v207 :: v_dual_lshlrev_b32 v208, 12, v208
	v_and_b32_e32 v18, 0xf0f0f0f, v18
	s_delay_alu instid0(VALU_DEP_2) | instskip(NEXT) | instid1(VALU_DEP_3)
	v_and_b32_e32 v207, 16, v207
	v_and_b32_e32 v208, 0x1000, v208
	s_delay_alu instid0(VALU_DEP_1) | instskip(SKIP_1) | instid1(VALU_DEP_1)
	v_or3_b32 v207, v207, v18, v208
	v_dual_lshrrev_b32 v208, v202, v19 :: v_dual_lshrrev_b32 v19, v203, v19
	v_dual_lshlrev_b32 v208, 20, v208 :: v_dual_lshlrev_b32 v19, 28, v19
	s_delay_alu instid0(VALU_DEP_1) | instskip(NEXT) | instid1(VALU_DEP_2)
	v_and_b32_e32 v208, 0x100000, v208
	v_and_b32_e32 v19, 0x10000000, v19
	s_delay_alu instid0(VALU_DEP_1) | instskip(SKIP_1) | instid1(VALU_DEP_1)
	v_or3_b32 v18, v18, v208, v19
	v_lshlrev_b16 v19, 8, v207
	v_add_nc_u16 v19, 0xf000, v19
	s_delay_alu instid0(VALU_DEP_1) | instskip(NEXT) | instid1(VALU_DEP_1)
	v_lshrrev_b16 v19, 8, v19
	v_bitop3_b16 v19, v207, v19, 0x1f00 bitop3:0xec
	s_delay_alu instid0(VALU_DEP_1) | instskip(NEXT) | instid1(VALU_DEP_1)
	v_add_nc_u16 v19, 0xf000, v19
	v_dual_lshrrev_b32 v18, 16, v18 :: v_dual_lshrrev_b32 v17, 8, v19
	s_delay_alu instid0(VALU_DEP_1) | instskip(SKIP_2) | instid1(VALU_DEP_4)
	v_lshlrev_b16 v207, 8, v18
	v_and_b32_e32 v18, 0x1f00, v18
	v_bfe_i32 v19, v19, 0, 8
	v_bfe_i32 v17, v17, 0, 8
	s_delay_alu instid0(VALU_DEP_4) | instskip(NEXT) | instid1(VALU_DEP_4)
	v_add_nc_u16 v207, 0xf000, v207
	v_add_nc_u16 v18, 0xf000, v18
	s_delay_alu instid0(VALU_DEP_4) | instskip(NEXT) | instid1(VALU_DEP_4)
	v_cvt_f16_i16_e32 v19, v19
	v_cvt_f16_i16_e32 v17, v17
	s_delay_alu instid0(VALU_DEP_3) | instskip(NEXT) | instid1(VALU_DEP_2)
	v_lshrrev_b32_e32 v18, 8, v18
	v_pack_b32_f16 v17, v19, v17
	v_ashrrev_i16 v19, 8, v207
	s_delay_alu instid0(VALU_DEP_3) | instskip(NEXT) | instid1(VALU_DEP_3)
	v_bfe_i32 v18, v18, 0, 8
	v_pk_mul_f16 v17, v17, v16
	s_delay_alu instid0(VALU_DEP_3) | instskip(NEXT) | instid1(VALU_DEP_3)
	v_cvt_f16_i16_e32 v19, v19
	v_cvt_f16_i16_e32 v18, v18
	s_delay_alu instid0(VALU_DEP_3) | instskip(NEXT) | instid1(VALU_DEP_2)
	v_pk_fma_f16 v205, v17, v206, v205
	v_pack_b32_f16 v18, v19, v18
	s_delay_alu instid0(VALU_DEP_1) | instskip(SKIP_2) | instid1(VALU_DEP_3)
	v_pk_mul_f16 v16, v18, v16
	v_add_nc_u64_e32 v[18:19], s[4:5], v[128:129]
	v_add_nc_u64_e32 v[128:129], s[22:23], v[128:129]
	v_pk_fma_f16 v21, v16, v206, v21
	v_add_nc_u64_e32 v[16:17], s[4:5], v[130:131]
	v_mul_u32_u24_e32 v206, 0x10001, v213
	global_load_b32 v18, v[18:19], off
	v_add_nc_u64_e32 v[130:131], s[22:23], v[130:131]
	s_clause 0x1
	global_load_b32 v19, v[16:17], off offset:2
	global_load_u16 v16, v[16:17], off
	s_wait_loadcnt 0x1
	v_lshrrev_b32_e32 v207, v196, v19
	v_dual_ashrrev_i32 v18, v200, v18 :: v_dual_lshrrev_b32 v208, v201, v19
	s_wait_loadcnt 0x0
	v_mul_u32_u24_e32 v16, 0x10001, v16
	s_delay_alu instid0(VALU_DEP_3) | instskip(NEXT) | instid1(VALU_DEP_3)
	v_lshlrev_b32_e32 v207, 4, v207
	v_and_b32_e32 v18, 0xf0f0f0f, v18
	s_delay_alu instid0(VALU_DEP_2) | instskip(NEXT) | instid1(VALU_DEP_1)
	v_dual_lshlrev_b32 v208, 12, v208 :: v_dual_bitop2_b32 v207, 16, v207 bitop3:0x40
	v_and_b32_e32 v208, 0x1000, v208
	s_delay_alu instid0(VALU_DEP_1) | instskip(SKIP_1) | instid1(VALU_DEP_1)
	v_or3_b32 v207, v207, v18, v208
	v_dual_lshrrev_b32 v208, v202, v19 :: v_dual_lshrrev_b32 v19, v203, v19
	v_dual_lshlrev_b32 v19, 28, v19 :: v_dual_lshlrev_b32 v208, 20, v208
	s_delay_alu instid0(VALU_DEP_1) | instskip(NEXT) | instid1(VALU_DEP_2)
	v_and_b32_e32 v19, 0x10000000, v19
	v_and_b32_e32 v208, 0x100000, v208
	s_delay_alu instid0(VALU_DEP_1) | instskip(SKIP_2) | instid1(VALU_DEP_3)
	v_or3_b32 v18, v18, v208, v19
	v_lshlrev_b16 v19, 8, v207
	v_lshrrev_b32_e32 v208, 16, v14
	v_lshrrev_b32_e32 v18, 16, v18
	s_delay_alu instid0(VALU_DEP_3) | instskip(NEXT) | instid1(VALU_DEP_1)
	v_add_nc_u16 v19, 0xf000, v19
	v_lshrrev_b16 v19, 8, v19
	s_delay_alu instid0(VALU_DEP_1) | instskip(NEXT) | instid1(VALU_DEP_4)
	v_bitop3_b16 v19, v207, v19, 0x1f00 bitop3:0xec
	v_lshlrev_b16 v207, 8, v18
	v_and_b32_e32 v18, 0x1f00, v18
	s_delay_alu instid0(VALU_DEP_3) | instskip(NEXT) | instid1(VALU_DEP_3)
	v_add_nc_u16 v19, 0xf000, v19
	v_add_nc_u16 v207, 0xf000, v207
	s_delay_alu instid0(VALU_DEP_3) | instskip(NEXT) | instid1(VALU_DEP_3)
	v_add_nc_u16 v18, 0xf000, v18
	v_lshrrev_b32_e32 v17, 8, v19
	v_bfe_i32 v19, v19, 0, 8
	s_delay_alu instid0(VALU_DEP_3) | instskip(NEXT) | instid1(VALU_DEP_3)
	v_lshrrev_b32_e32 v18, 8, v18
	v_bfe_i32 v17, v17, 0, 8
	s_delay_alu instid0(VALU_DEP_3) | instskip(NEXT) | instid1(VALU_DEP_3)
	v_cvt_f16_i16_e32 v19, v19
	v_bfe_i32 v18, v18, 0, 8
	s_delay_alu instid0(VALU_DEP_3) | instskip(NEXT) | instid1(VALU_DEP_2)
	v_cvt_f16_i16_e32 v17, v17
	v_cvt_f16_i16_e32 v18, v18
	s_delay_alu instid0(VALU_DEP_2) | instskip(SKIP_2) | instid1(VALU_DEP_3)
	v_pack_b32_f16 v17, v19, v17
	v_ashrrev_i16 v19, 8, v207
	v_lshrrev_b32_e32 v207, 16, v13
	v_pk_mul_f16 v17, v17, v16
	s_delay_alu instid0(VALU_DEP_3) | instskip(NEXT) | instid1(VALU_DEP_2)
	v_cvt_f16_i16_e32 v19, v19
	v_pk_fma_f16 v205, v17, v206, v205
	s_delay_alu instid0(VALU_DEP_2) | instskip(NEXT) | instid1(VALU_DEP_1)
	v_pack_b32_f16 v18, v19, v18
	v_pk_mul_f16 v16, v18, v16
	v_add_nc_u64_e32 v[18:19], s[4:5], v[124:125]
	v_add_nc_u64_e32 v[124:125], s[22:23], v[124:125]
	s_delay_alu instid0(VALU_DEP_3)
	v_pk_fma_f16 v21, v16, v206, v21
	v_add_nc_u64_e32 v[16:17], s[4:5], v[126:127]
	v_lshrrev_b32_e32 v206, 16, v12
	global_load_b32 v18, v[18:19], off
	v_and_b32_e32 v12, 0xffff, v12
	v_add_nc_u64_e32 v[126:127], s[22:23], v[126:127]
	s_clause 0x1
	global_load_b32 v19, v[16:17], off offset:2
	global_load_u16 v16, v[16:17], off
	v_mul_u32_u24_e32 v12, 0x10001, v12
	s_wait_loadcnt 0x1
	v_dual_ashrrev_i32 v18, v200, v18 :: v_dual_lshrrev_b32 v211, v201, v19
	v_lshrrev_b32_e32 v210, v196, v19
	s_delay_alu instid0(VALU_DEP_2) | instskip(SKIP_2) | instid1(VALU_DEP_3)
	v_and_b32_e32 v18, 0xf0f0f0f, v18
	s_wait_loadcnt 0x0
	v_mul_u32_u24_e32 v16, 0x10001, v16
	v_dual_lshlrev_b32 v211, 12, v211 :: v_dual_lshlrev_b32 v210, 4, v210
	s_delay_alu instid0(VALU_DEP_1) | instskip(NEXT) | instid1(VALU_DEP_2)
	v_and_b32_e32 v211, 0x1000, v211
	v_and_b32_e32 v210, 16, v210
	s_delay_alu instid0(VALU_DEP_1) | instskip(SKIP_1) | instid1(VALU_DEP_1)
	v_or3_b32 v210, v210, v18, v211
	v_dual_lshrrev_b32 v211, v202, v19 :: v_dual_lshrrev_b32 v19, v203, v19
	v_lshlrev_b32_e32 v211, 20, v211
	s_delay_alu instid0(VALU_DEP_2) | instskip(NEXT) | instid1(VALU_DEP_2)
	v_lshlrev_b32_e32 v19, 28, v19
	v_and_b32_e32 v211, 0x100000, v211
	s_delay_alu instid0(VALU_DEP_2) | instskip(NEXT) | instid1(VALU_DEP_1)
	v_and_b32_e32 v19, 0x10000000, v19
	v_or3_b32 v18, v18, v211, v19
	v_lshlrev_b16 v19, 8, v210
	s_delay_alu instid0(VALU_DEP_2) | instskip(NEXT) | instid1(VALU_DEP_2)
	v_lshrrev_b32_e32 v18, 16, v18
	v_add_nc_u16 v19, 0xf000, v19
	s_delay_alu instid0(VALU_DEP_1) | instskip(NEXT) | instid1(VALU_DEP_1)
	v_lshrrev_b16 v19, 8, v19
	v_bitop3_b16 v19, v210, v19, 0x1f00 bitop3:0xec
	s_delay_alu instid0(VALU_DEP_4) | instskip(SKIP_1) | instid1(VALU_DEP_3)
	v_lshlrev_b16 v210, 8, v18
	v_and_b32_e32 v18, 0x1f00, v18
	v_add_nc_u16 v19, 0xf000, v19
	s_delay_alu instid0(VALU_DEP_3) | instskip(NEXT) | instid1(VALU_DEP_3)
	v_add_nc_u16 v210, 0xf000, v210
	v_add_nc_u16 v18, 0xf000, v18
	s_delay_alu instid0(VALU_DEP_3) | instskip(SKIP_1) | instid1(VALU_DEP_3)
	v_lshrrev_b32_e32 v17, 8, v19
	v_bfe_i32 v19, v19, 0, 8
	v_lshrrev_b32_e32 v18, 8, v18
	s_delay_alu instid0(VALU_DEP_3) | instskip(NEXT) | instid1(VALU_DEP_3)
	v_bfe_i32 v17, v17, 0, 8
	v_cvt_f16_i16_e32 v19, v19
	s_delay_alu instid0(VALU_DEP_3) | instskip(NEXT) | instid1(VALU_DEP_3)
	v_bfe_i32 v18, v18, 0, 8
	v_cvt_f16_i16_e32 v17, v17
	s_delay_alu instid0(VALU_DEP_2) | instskip(NEXT) | instid1(VALU_DEP_2)
	v_cvt_f16_i16_e32 v18, v18
	v_pack_b32_f16 v17, v19, v17
	v_ashrrev_i16 v19, 8, v210
	s_delay_alu instid0(VALU_DEP_2) | instskip(NEXT) | instid1(VALU_DEP_2)
	v_pk_mul_f16 v17, v17, v16
	v_cvt_f16_i16_e32 v19, v19
	s_delay_alu instid0(VALU_DEP_2) | instskip(NEXT) | instid1(VALU_DEP_2)
	v_pk_fma_f16 v205, v17, v12, v205
	v_pack_b32_f16 v18, v19, v18
	s_delay_alu instid0(VALU_DEP_1) | instskip(SKIP_2) | instid1(VALU_DEP_3)
	v_pk_mul_f16 v16, v18, v16
	v_add_nc_u64_e32 v[18:19], s[4:5], v[120:121]
	v_add_nc_u64_e32 v[120:121], s[22:23], v[120:121]
	v_pk_fma_f16 v12, v16, v12, v21
	v_add_nc_u64_e32 v[16:17], s[4:5], v[122:123]
	v_mul_u32_u24_e32 v21, 0x10001, v206
	global_load_b32 v18, v[18:19], off
	v_add_nc_u64_e32 v[122:123], s[22:23], v[122:123]
	s_clause 0x1
	global_load_b32 v19, v[16:17], off offset:2
	global_load_u16 v16, v[16:17], off
	s_wait_loadcnt 0x2
	v_ashrrev_i32_e32 v18, v200, v18
	s_wait_loadcnt 0x1
	v_dual_lshrrev_b32 v206, v196, v19 :: v_dual_lshrrev_b32 v210, v201, v19
	s_delay_alu instid0(VALU_DEP_2) | instskip(SKIP_2) | instid1(VALU_DEP_3)
	v_and_b32_e32 v18, 0xf0f0f0f, v18
	s_wait_loadcnt 0x0
	v_mul_u32_u24_e32 v16, 0x10001, v16
	v_lshlrev_b32_e32 v206, 4, v206
	v_lshlrev_b32_e32 v210, 12, v210
	s_delay_alu instid0(VALU_DEP_2) | instskip(NEXT) | instid1(VALU_DEP_2)
	v_and_b32_e32 v206, 16, v206
	v_and_b32_e32 v210, 0x1000, v210
	s_delay_alu instid0(VALU_DEP_1) | instskip(SKIP_1) | instid1(VALU_DEP_1)
	v_or3_b32 v206, v206, v18, v210
	v_dual_lshrrev_b32 v210, v202, v19 :: v_dual_lshrrev_b32 v19, v203, v19
	v_dual_lshlrev_b32 v210, 20, v210 :: v_dual_lshlrev_b32 v19, 28, v19
	s_delay_alu instid0(VALU_DEP_1) | instskip(NEXT) | instid1(VALU_DEP_2)
	v_and_b32_e32 v210, 0x100000, v210
	v_and_b32_e32 v19, 0x10000000, v19
	s_delay_alu instid0(VALU_DEP_1) | instskip(SKIP_1) | instid1(VALU_DEP_2)
	v_or3_b32 v18, v18, v210, v19
	v_lshlrev_b16 v19, 8, v206
	v_lshrrev_b32_e32 v18, 16, v18
	s_delay_alu instid0(VALU_DEP_2) | instskip(NEXT) | instid1(VALU_DEP_1)
	v_add_nc_u16 v19, 0xf000, v19
	v_lshrrev_b16 v19, 8, v19
	s_delay_alu instid0(VALU_DEP_1) | instskip(NEXT) | instid1(VALU_DEP_4)
	v_bitop3_b16 v19, v206, v19, 0x1f00 bitop3:0xec
	v_lshlrev_b16 v206, 8, v18
	v_and_b32_e32 v18, 0x1f00, v18
	s_delay_alu instid0(VALU_DEP_3) | instskip(NEXT) | instid1(VALU_DEP_3)
	v_add_nc_u16 v19, 0xf000, v19
	v_add_nc_u16 v206, 0xf000, v206
	s_delay_alu instid0(VALU_DEP_3) | instskip(NEXT) | instid1(VALU_DEP_3)
	v_add_nc_u16 v18, 0xf000, v18
	v_lshrrev_b32_e32 v17, 8, v19
	v_bfe_i32 v19, v19, 0, 8
	s_delay_alu instid0(VALU_DEP_3) | instskip(NEXT) | instid1(VALU_DEP_3)
	v_lshrrev_b32_e32 v18, 8, v18
	v_bfe_i32 v17, v17, 0, 8
	s_delay_alu instid0(VALU_DEP_3) | instskip(NEXT) | instid1(VALU_DEP_3)
	v_cvt_f16_i16_e32 v19, v19
	v_bfe_i32 v18, v18, 0, 8
	s_delay_alu instid0(VALU_DEP_3) | instskip(NEXT) | instid1(VALU_DEP_2)
	v_cvt_f16_i16_e32 v17, v17
	v_cvt_f16_i16_e32 v18, v18
	s_delay_alu instid0(VALU_DEP_2) | instskip(SKIP_1) | instid1(VALU_DEP_2)
	v_pack_b32_f16 v17, v19, v17
	v_ashrrev_i16 v19, 8, v206
	v_pk_mul_f16 v17, v17, v16
	s_delay_alu instid0(VALU_DEP_2) | instskip(NEXT) | instid1(VALU_DEP_1)
	v_cvt_f16_i16_e32 v19, v19
	v_pack_b32_f16 v18, v19, v18
	s_delay_alu instid0(VALU_DEP_1) | instskip(NEXT) | instid1(VALU_DEP_4)
	v_pk_mul_f16 v16, v18, v16
	v_pk_fma_f16 v18, v17, v21, v205
	s_delay_alu instid0(VALU_DEP_2) | instskip(SKIP_3) | instid1(VALU_DEP_3)
	v_pk_fma_f16 v19, v16, v21, v12
	v_and_b32_e32 v12, 0xffff, v13
	v_add_nc_u64_e32 v[16:17], s[4:5], v[116:117]
	v_add_nc_u64_e32 v[116:117], s[22:23], v[116:117]
	v_mul_u32_u24_e32 v21, 0x10001, v12
	v_add_nc_u64_e32 v[12:13], s[4:5], v[118:119]
	v_add_nc_u64_e32 v[118:119], s[22:23], v[118:119]
	global_load_b32 v16, v[16:17], off
	s_clause 0x1
	global_load_b32 v17, v[12:13], off offset:2
	global_load_u16 v12, v[12:13], off
	s_wait_loadcnt 0x2
	v_ashrrev_i32_e32 v16, v200, v16
	s_wait_loadcnt 0x1
	v_dual_lshrrev_b32 v205, v196, v17 :: v_dual_lshrrev_b32 v206, v201, v17
	s_delay_alu instid0(VALU_DEP_2) | instskip(SKIP_2) | instid1(VALU_DEP_3)
	v_and_b32_e32 v16, 0xf0f0f0f, v16
	s_wait_loadcnt 0x0
	v_mul_u32_u24_e32 v12, 0x10001, v12
	v_dual_lshlrev_b32 v205, 4, v205 :: v_dual_lshlrev_b32 v206, 12, v206
	s_delay_alu instid0(VALU_DEP_1) | instskip(NEXT) | instid1(VALU_DEP_2)
	v_and_b32_e32 v205, 16, v205
	v_and_b32_e32 v206, 0x1000, v206
	s_delay_alu instid0(VALU_DEP_1) | instskip(SKIP_1) | instid1(VALU_DEP_1)
	v_or3_b32 v205, v205, v16, v206
	v_dual_lshrrev_b32 v206, v202, v17 :: v_dual_lshrrev_b32 v17, v203, v17
	v_dual_lshlrev_b32 v17, 28, v17 :: v_dual_lshlrev_b32 v206, 20, v206
	s_delay_alu instid0(VALU_DEP_1) | instskip(NEXT) | instid1(VALU_DEP_2)
	v_and_b32_e32 v17, 0x10000000, v17
	v_and_b32_e32 v206, 0x100000, v206
	s_delay_alu instid0(VALU_DEP_1) | instskip(SKIP_1) | instid1(VALU_DEP_1)
	v_or3_b32 v16, v16, v206, v17
	v_lshlrev_b16 v17, 8, v205
	v_add_nc_u16 v17, 0xf000, v17
	s_delay_alu instid0(VALU_DEP_1) | instskip(NEXT) | instid1(VALU_DEP_1)
	v_lshrrev_b16 v17, 8, v17
	v_bitop3_b16 v17, v205, v17, 0x1f00 bitop3:0xec
	s_delay_alu instid0(VALU_DEP_1) | instskip(NEXT) | instid1(VALU_DEP_1)
	v_add_nc_u16 v17, 0xf000, v17
	v_dual_lshrrev_b32 v16, 16, v16 :: v_dual_lshrrev_b32 v13, 8, v17
	s_delay_alu instid0(VALU_DEP_1) | instskip(SKIP_2) | instid1(VALU_DEP_4)
	v_lshlrev_b16 v205, 8, v16
	v_and_b32_e32 v16, 0x1f00, v16
	v_bfe_i32 v17, v17, 0, 8
	v_bfe_i32 v13, v13, 0, 8
	s_delay_alu instid0(VALU_DEP_4) | instskip(NEXT) | instid1(VALU_DEP_4)
	v_add_nc_u16 v205, 0xf000, v205
	v_add_nc_u16 v16, 0xf000, v16
	s_delay_alu instid0(VALU_DEP_4) | instskip(NEXT) | instid1(VALU_DEP_4)
	v_cvt_f16_i16_e32 v17, v17
	v_cvt_f16_i16_e32 v13, v13
	s_delay_alu instid0(VALU_DEP_3) | instskip(NEXT) | instid1(VALU_DEP_2)
	v_lshrrev_b32_e32 v16, 8, v16
	v_pack_b32_f16 v13, v17, v13
	v_ashrrev_i16 v17, 8, v205
	s_delay_alu instid0(VALU_DEP_3) | instskip(NEXT) | instid1(VALU_DEP_3)
	v_bfe_i32 v16, v16, 0, 8
	v_pk_mul_f16 v13, v13, v12
	s_delay_alu instid0(VALU_DEP_3) | instskip(NEXT) | instid1(VALU_DEP_3)
	v_cvt_f16_i16_e32 v17, v17
	v_cvt_f16_i16_e32 v16, v16
	s_delay_alu instid0(VALU_DEP_3) | instskip(NEXT) | instid1(VALU_DEP_2)
	v_pk_fma_f16 v18, v13, v21, v18
	v_pack_b32_f16 v16, v17, v16
	s_delay_alu instid0(VALU_DEP_1) | instskip(SKIP_2) | instid1(VALU_DEP_3)
	v_pk_mul_f16 v12, v16, v12
	v_add_nc_u64_e32 v[16:17], s[4:5], v[112:113]
	v_add_nc_u64_e32 v[112:113], s[22:23], v[112:113]
	v_pk_fma_f16 v19, v12, v21, v19
	v_add_nc_u64_e32 v[12:13], s[4:5], v[114:115]
	v_mul_u32_u24_e32 v21, 0x10001, v207
	global_load_b32 v16, v[16:17], off
	v_add_nc_u64_e32 v[114:115], s[22:23], v[114:115]
	s_clause 0x1
	global_load_b32 v17, v[12:13], off offset:2
	global_load_u16 v12, v[12:13], off
	s_wait_loadcnt 0x1
	v_lshrrev_b32_e32 v205, v196, v17
	v_dual_ashrrev_i32 v16, v200, v16 :: v_dual_lshrrev_b32 v206, v201, v17
	s_wait_loadcnt 0x0
	v_mul_u32_u24_e32 v12, 0x10001, v12
	s_delay_alu instid0(VALU_DEP_3) | instskip(NEXT) | instid1(VALU_DEP_3)
	v_lshlrev_b32_e32 v205, 4, v205
	v_and_b32_e32 v16, 0xf0f0f0f, v16
	s_delay_alu instid0(VALU_DEP_2) | instskip(NEXT) | instid1(VALU_DEP_1)
	v_dual_lshlrev_b32 v206, 12, v206 :: v_dual_bitop2_b32 v205, 16, v205 bitop3:0x40
	v_and_b32_e32 v206, 0x1000, v206
	s_delay_alu instid0(VALU_DEP_1) | instskip(SKIP_1) | instid1(VALU_DEP_1)
	v_or3_b32 v205, v205, v16, v206
	v_dual_lshrrev_b32 v206, v202, v17 :: v_dual_lshrrev_b32 v17, v203, v17
	v_dual_lshlrev_b32 v17, 28, v17 :: v_dual_lshlrev_b32 v206, 20, v206
	s_delay_alu instid0(VALU_DEP_1) | instskip(NEXT) | instid1(VALU_DEP_2)
	v_and_b32_e32 v17, 0x10000000, v17
	v_and_b32_e32 v206, 0x100000, v206
	s_delay_alu instid0(VALU_DEP_1) | instskip(SKIP_1) | instid1(VALU_DEP_2)
	v_or3_b32 v16, v16, v206, v17
	v_lshlrev_b16 v17, 8, v205
	v_lshrrev_b32_e32 v16, 16, v16
	s_delay_alu instid0(VALU_DEP_2) | instskip(NEXT) | instid1(VALU_DEP_1)
	v_add_nc_u16 v17, 0xf000, v17
	v_lshrrev_b16 v17, 8, v17
	s_delay_alu instid0(VALU_DEP_1) | instskip(NEXT) | instid1(VALU_DEP_4)
	v_bitop3_b16 v17, v205, v17, 0x1f00 bitop3:0xec
	v_lshlrev_b16 v205, 8, v16
	v_and_b32_e32 v16, 0x1f00, v16
	s_delay_alu instid0(VALU_DEP_3) | instskip(NEXT) | instid1(VALU_DEP_3)
	v_add_nc_u16 v17, 0xf000, v17
	v_add_nc_u16 v205, 0xf000, v205
	s_delay_alu instid0(VALU_DEP_3) | instskip(NEXT) | instid1(VALU_DEP_3)
	v_add_nc_u16 v16, 0xf000, v16
	v_lshrrev_b32_e32 v13, 8, v17
	v_bfe_i32 v17, v17, 0, 8
	s_delay_alu instid0(VALU_DEP_3) | instskip(NEXT) | instid1(VALU_DEP_3)
	v_lshrrev_b32_e32 v16, 8, v16
	v_bfe_i32 v13, v13, 0, 8
	s_delay_alu instid0(VALU_DEP_3) | instskip(NEXT) | instid1(VALU_DEP_3)
	v_cvt_f16_i16_e32 v17, v17
	v_bfe_i32 v16, v16, 0, 8
	s_delay_alu instid0(VALU_DEP_3) | instskip(NEXT) | instid1(VALU_DEP_2)
	v_cvt_f16_i16_e32 v13, v13
	v_cvt_f16_i16_e32 v16, v16
	s_delay_alu instid0(VALU_DEP_2) | instskip(SKIP_1) | instid1(VALU_DEP_2)
	v_pack_b32_f16 v13, v17, v13
	v_ashrrev_i16 v17, 8, v205
	v_pk_mul_f16 v13, v13, v12
	s_delay_alu instid0(VALU_DEP_2) | instskip(NEXT) | instid1(VALU_DEP_2)
	v_cvt_f16_i16_e32 v17, v17
	v_pk_fma_f16 v18, v13, v21, v18
	s_delay_alu instid0(VALU_DEP_2) | instskip(NEXT) | instid1(VALU_DEP_1)
	v_pack_b32_f16 v16, v17, v16
	v_pk_mul_f16 v12, v16, v12
	v_add_nc_u64_e32 v[16:17], s[4:5], v[108:109]
	v_add_nc_u64_e32 v[108:109], s[22:23], v[108:109]
	s_delay_alu instid0(VALU_DEP_3)
	v_pk_fma_f16 v19, v12, v21, v19
	v_and_b32_e32 v12, 0xffff, v14
	global_load_b32 v16, v[16:17], off
	v_mul_u32_u24_e32 v14, 0x10001, v12
	v_add_nc_u64_e32 v[12:13], s[4:5], v[110:111]
	v_add_nc_u64_e32 v[110:111], s[22:23], v[110:111]
	s_clause 0x1
	global_load_b32 v17, v[12:13], off offset:2
	global_load_u16 v12, v[12:13], off
	s_wait_loadcnt 0x1
	v_dual_lshrrev_b32 v21, v196, v17 :: v_dual_lshrrev_b32 v205, v201, v17
	v_ashrrev_i32_e32 v16, v200, v16
	s_wait_loadcnt 0x0
	v_mul_u32_u24_e32 v12, 0x10001, v12
	s_delay_alu instid0(VALU_DEP_3) | instskip(SKIP_2) | instid1(VALU_DEP_3)
	v_lshlrev_b32_e32 v21, 4, v21
	v_lshlrev_b32_e32 v205, 12, v205
	v_and_b32_e32 v16, 0xf0f0f0f, v16
	v_and_b32_e32 v21, 16, v21
	s_delay_alu instid0(VALU_DEP_3) | instskip(NEXT) | instid1(VALU_DEP_1)
	v_and_b32_e32 v205, 0x1000, v205
	v_or3_b32 v21, v21, v16, v205
	v_dual_lshrrev_b32 v205, v202, v17 :: v_dual_lshrrev_b32 v17, v203, v17
	s_delay_alu instid0(VALU_DEP_1) | instskip(NEXT) | instid1(VALU_DEP_2)
	v_lshlrev_b32_e32 v205, 20, v205
	v_lshlrev_b32_e32 v17, 28, v17
	s_delay_alu instid0(VALU_DEP_2) | instskip(NEXT) | instid1(VALU_DEP_2)
	v_and_b32_e32 v205, 0x100000, v205
	v_and_b32_e32 v17, 0x10000000, v17
	s_delay_alu instid0(VALU_DEP_1) | instskip(SKIP_1) | instid1(VALU_DEP_2)
	v_or3_b32 v16, v16, v205, v17
	v_lshlrev_b16 v17, 8, v21
	v_lshrrev_b32_e32 v16, 16, v16
	s_delay_alu instid0(VALU_DEP_2) | instskip(NEXT) | instid1(VALU_DEP_1)
	v_add_nc_u16 v17, 0xf000, v17
	v_lshrrev_b16 v17, 8, v17
	s_delay_alu instid0(VALU_DEP_1) | instskip(NEXT) | instid1(VALU_DEP_4)
	v_bitop3_b16 v17, v21, v17, 0x1f00 bitop3:0xec
	v_lshlrev_b16 v21, 8, v16
	v_and_b32_e32 v16, 0x1f00, v16
	s_delay_alu instid0(VALU_DEP_3) | instskip(NEXT) | instid1(VALU_DEP_3)
	v_add_nc_u16 v17, 0xf000, v17
	v_add_nc_u16 v21, 0xf000, v21
	s_delay_alu instid0(VALU_DEP_3) | instskip(NEXT) | instid1(VALU_DEP_3)
	v_add_nc_u16 v16, 0xf000, v16
	v_lshrrev_b32_e32 v13, 8, v17
	v_bfe_i32 v17, v17, 0, 8
	s_delay_alu instid0(VALU_DEP_3) | instskip(NEXT) | instid1(VALU_DEP_3)
	v_lshrrev_b32_e32 v16, 8, v16
	v_bfe_i32 v13, v13, 0, 8
	s_delay_alu instid0(VALU_DEP_3) | instskip(NEXT) | instid1(VALU_DEP_3)
	v_cvt_f16_i16_e32 v17, v17
	v_bfe_i32 v16, v16, 0, 8
	s_delay_alu instid0(VALU_DEP_3) | instskip(NEXT) | instid1(VALU_DEP_2)
	v_cvt_f16_i16_e32 v13, v13
	v_cvt_f16_i16_e32 v16, v16
	s_delay_alu instid0(VALU_DEP_2) | instskip(SKIP_1) | instid1(VALU_DEP_2)
	v_pack_b32_f16 v13, v17, v13
	v_ashrrev_i16 v17, 8, v21
	v_pk_mul_f16 v13, v13, v12
	s_delay_alu instid0(VALU_DEP_2) | instskip(NEXT) | instid1(VALU_DEP_2)
	v_cvt_f16_i16_e32 v17, v17
	v_pk_fma_f16 v18, v13, v14, v18
	s_delay_alu instid0(VALU_DEP_2) | instskip(NEXT) | instid1(VALU_DEP_1)
	v_pack_b32_f16 v16, v17, v16
	v_pk_mul_f16 v12, v16, v12
	v_add_nc_u64_e32 v[16:17], s[4:5], v[104:105]
	v_add_nc_u64_e32 v[104:105], s[22:23], v[104:105]
	s_delay_alu instid0(VALU_DEP_3)
	v_pk_fma_f16 v14, v12, v14, v19
	v_add_nc_u64_e32 v[12:13], s[4:5], v[106:107]
	v_mul_u32_u24_e32 v19, 0x10001, v208
	global_load_b32 v16, v[16:17], off
	v_add_nc_u64_e32 v[106:107], s[22:23], v[106:107]
	s_clause 0x1
	global_load_b32 v17, v[12:13], off offset:2
	global_load_u16 v12, v[12:13], off
	s_wait_loadcnt 0x2
	v_ashrrev_i32_e32 v16, v200, v16
	s_wait_loadcnt 0x1
	v_dual_lshrrev_b32 v21, v196, v17 :: v_dual_lshrrev_b32 v205, v201, v17
	s_delay_alu instid0(VALU_DEP_2) | instskip(SKIP_2) | instid1(VALU_DEP_3)
	v_and_b32_e32 v16, 0xf0f0f0f, v16
	s_wait_loadcnt 0x0
	v_mul_u32_u24_e32 v12, 0x10001, v12
	v_lshlrev_b32_e32 v21, 4, v21
	v_lshlrev_b32_e32 v205, 12, v205
	s_delay_alu instid0(VALU_DEP_2) | instskip(NEXT) | instid1(VALU_DEP_2)
	v_and_b32_e32 v21, 16, v21
	v_and_b32_e32 v205, 0x1000, v205
	s_delay_alu instid0(VALU_DEP_1) | instskip(SKIP_1) | instid1(VALU_DEP_1)
	v_or3_b32 v21, v21, v16, v205
	v_dual_lshrrev_b32 v205, v202, v17 :: v_dual_lshrrev_b32 v17, v203, v17
	v_lshlrev_b32_e32 v17, 28, v17
	s_delay_alu instid0(VALU_DEP_2) | instskip(NEXT) | instid1(VALU_DEP_2)
	v_lshlrev_b32_e32 v205, 20, v205
	v_and_b32_e32 v17, 0x10000000, v17
	s_delay_alu instid0(VALU_DEP_2) | instskip(NEXT) | instid1(VALU_DEP_1)
	v_and_b32_e32 v205, 0x100000, v205
	v_or3_b32 v16, v16, v205, v17
	v_lshlrev_b16 v17, 8, v21
	s_wait_dscnt 0x0
	s_delay_alu instid0(VALU_DEP_2) | instskip(NEXT) | instid1(VALU_DEP_2)
	v_dual_lshrrev_b32 v205, 16, v11 :: v_dual_lshrrev_b32 v16, 16, v16
	v_add_nc_u16 v17, 0xf000, v17
	s_delay_alu instid0(VALU_DEP_1) | instskip(NEXT) | instid1(VALU_DEP_1)
	v_lshrrev_b16 v17, 8, v17
	v_bitop3_b16 v17, v21, v17, 0x1f00 bitop3:0xec
	s_delay_alu instid0(VALU_DEP_4) | instskip(SKIP_1) | instid1(VALU_DEP_3)
	v_lshlrev_b16 v21, 8, v16
	v_and_b32_e32 v16, 0x1f00, v16
	v_add_nc_u16 v17, 0xf000, v17
	s_delay_alu instid0(VALU_DEP_3) | instskip(NEXT) | instid1(VALU_DEP_3)
	v_add_nc_u16 v21, 0xf000, v21
	v_add_nc_u16 v16, 0xf000, v16
	s_delay_alu instid0(VALU_DEP_3) | instskip(SKIP_1) | instid1(VALU_DEP_3)
	v_lshrrev_b32_e32 v13, 8, v17
	v_bfe_i32 v17, v17, 0, 8
	v_lshrrev_b32_e32 v16, 8, v16
	s_delay_alu instid0(VALU_DEP_3) | instskip(NEXT) | instid1(VALU_DEP_3)
	v_bfe_i32 v13, v13, 0, 8
	v_cvt_f16_i16_e32 v17, v17
	s_delay_alu instid0(VALU_DEP_3) | instskip(NEXT) | instid1(VALU_DEP_3)
	v_bfe_i32 v16, v16, 0, 8
	v_cvt_f16_i16_e32 v13, v13
	s_delay_alu instid0(VALU_DEP_2) | instskip(NEXT) | instid1(VALU_DEP_2)
	v_cvt_f16_i16_e32 v16, v16
	v_pack_b32_f16 v13, v17, v13
	v_ashrrev_i16 v17, 8, v21
	s_delay_alu instid0(VALU_DEP_2) | instskip(NEXT) | instid1(VALU_DEP_2)
	v_pk_mul_f16 v13, v13, v12
	v_cvt_f16_i16_e32 v17, v17
	s_delay_alu instid0(VALU_DEP_1) | instskip(NEXT) | instid1(VALU_DEP_1)
	v_pack_b32_f16 v16, v17, v16
	v_pk_mul_f16 v12, v16, v12
	s_delay_alu instid0(VALU_DEP_4) | instskip(NEXT) | instid1(VALU_DEP_2)
	v_pk_fma_f16 v16, v13, v19, v18
	v_pk_fma_f16 v17, v12, v19, v14
	v_and_b32_e32 v12, 0xffff, v15
	v_add_nc_u64_e32 v[14:15], s[4:5], v[100:101]
	v_add_nc_u64_e32 v[100:101], s[22:23], v[100:101]
	s_delay_alu instid0(VALU_DEP_3)
	v_mul_u32_u24_e32 v18, 0x10001, v12
	v_add_nc_u64_e32 v[12:13], s[4:5], v[102:103]
	v_add_nc_u64_e32 v[102:103], s[22:23], v[102:103]
	global_load_b32 v14, v[14:15], off
	s_clause 0x1
	global_load_b32 v15, v[12:13], off offset:2
	global_load_u16 v12, v[12:13], off
	s_wait_loadcnt 0x2
	v_ashrrev_i32_e32 v14, v200, v14
	s_wait_loadcnt 0x1
	v_dual_lshrrev_b32 v19, v196, v15 :: v_dual_lshrrev_b32 v21, v201, v15
	s_delay_alu instid0(VALU_DEP_2) | instskip(SKIP_2) | instid1(VALU_DEP_3)
	v_and_b32_e32 v14, 0xf0f0f0f, v14
	s_wait_loadcnt 0x0
	v_mul_u32_u24_e32 v12, 0x10001, v12
	v_dual_lshlrev_b32 v19, 4, v19 :: v_dual_lshlrev_b32 v21, 12, v21
	s_delay_alu instid0(VALU_DEP_1) | instskip(NEXT) | instid1(VALU_DEP_2)
	v_and_b32_e32 v19, 16, v19
	v_and_b32_e32 v21, 0x1000, v21
	s_delay_alu instid0(VALU_DEP_1) | instskip(SKIP_1) | instid1(VALU_DEP_1)
	v_or3_b32 v19, v19, v14, v21
	v_dual_lshrrev_b32 v21, v202, v15 :: v_dual_lshrrev_b32 v15, v203, v15
	v_dual_lshlrev_b32 v21, 20, v21 :: v_dual_lshlrev_b32 v15, 28, v15
	s_delay_alu instid0(VALU_DEP_1) | instskip(NEXT) | instid1(VALU_DEP_2)
	v_and_b32_e32 v21, 0x100000, v21
	v_and_b32_e32 v15, 0x10000000, v15
	s_delay_alu instid0(VALU_DEP_1) | instskip(SKIP_1) | instid1(VALU_DEP_2)
	v_or3_b32 v14, v14, v21, v15
	v_lshlrev_b16 v15, 8, v19
	v_lshrrev_b32_e32 v14, 16, v14
	s_delay_alu instid0(VALU_DEP_2) | instskip(NEXT) | instid1(VALU_DEP_1)
	v_add_nc_u16 v15, 0xf000, v15
	v_lshrrev_b16 v15, 8, v15
	s_delay_alu instid0(VALU_DEP_1) | instskip(NEXT) | instid1(VALU_DEP_4)
	v_bitop3_b16 v15, v19, v15, 0x1f00 bitop3:0xec
	v_lshlrev_b16 v19, 8, v14
	v_and_b32_e32 v14, 0x1f00, v14
	s_delay_alu instid0(VALU_DEP_3) | instskip(NEXT) | instid1(VALU_DEP_3)
	v_add_nc_u16 v15, 0xf000, v15
	v_add_nc_u16 v19, 0xf000, v19
	s_delay_alu instid0(VALU_DEP_3) | instskip(NEXT) | instid1(VALU_DEP_3)
	v_add_nc_u16 v14, 0xf000, v14
	v_lshrrev_b32_e32 v13, 8, v15
	v_bfe_i32 v15, v15, 0, 8
	s_delay_alu instid0(VALU_DEP_3) | instskip(NEXT) | instid1(VALU_DEP_3)
	v_lshrrev_b32_e32 v14, 8, v14
	v_bfe_i32 v13, v13, 0, 8
	s_delay_alu instid0(VALU_DEP_3) | instskip(NEXT) | instid1(VALU_DEP_3)
	v_cvt_f16_i16_e32 v15, v15
	v_bfe_i32 v14, v14, 0, 8
	s_delay_alu instid0(VALU_DEP_3) | instskip(NEXT) | instid1(VALU_DEP_2)
	v_cvt_f16_i16_e32 v13, v13
	v_cvt_f16_i16_e32 v14, v14
	s_delay_alu instid0(VALU_DEP_2) | instskip(SKIP_1) | instid1(VALU_DEP_2)
	v_pack_b32_f16 v13, v15, v13
	v_ashrrev_i16 v15, 8, v19
	v_pk_mul_f16 v13, v13, v12
	s_delay_alu instid0(VALU_DEP_2) | instskip(NEXT) | instid1(VALU_DEP_2)
	v_cvt_f16_i16_e32 v15, v15
	v_pk_fma_f16 v16, v13, v18, v16
	s_delay_alu instid0(VALU_DEP_2) | instskip(NEXT) | instid1(VALU_DEP_1)
	v_pack_b32_f16 v14, v15, v14
	v_pk_mul_f16 v12, v14, v12
	v_add_nc_u64_e32 v[14:15], s[4:5], v[96:97]
	v_add_nc_u64_e32 v[96:97], s[22:23], v[96:97]
	s_delay_alu instid0(VALU_DEP_3)
	v_pk_fma_f16 v17, v12, v18, v17
	v_add_nc_u64_e32 v[12:13], s[4:5], v[98:99]
	v_mul_u32_u24_e32 v18, 0x10001, v209
	global_load_b32 v14, v[14:15], off
	v_add_nc_u64_e32 v[98:99], s[22:23], v[98:99]
	s_clause 0x1
	global_load_b32 v15, v[12:13], off offset:2
	global_load_u16 v12, v[12:13], off
	s_wait_loadcnt 0x1
	v_lshrrev_b32_e32 v19, v196, v15
	v_dual_ashrrev_i32 v14, v200, v14 :: v_dual_lshrrev_b32 v21, v201, v15
	s_wait_loadcnt 0x0
	v_mul_u32_u24_e32 v12, 0x10001, v12
	s_delay_alu instid0(VALU_DEP_3) | instskip(NEXT) | instid1(VALU_DEP_3)
	v_lshlrev_b32_e32 v19, 4, v19
	v_and_b32_e32 v14, 0xf0f0f0f, v14
	s_delay_alu instid0(VALU_DEP_2) | instskip(NEXT) | instid1(VALU_DEP_1)
	v_dual_lshlrev_b32 v21, 12, v21 :: v_dual_bitop2_b32 v19, 16, v19 bitop3:0x40
	v_and_b32_e32 v21, 0x1000, v21
	s_delay_alu instid0(VALU_DEP_1) | instskip(SKIP_1) | instid1(VALU_DEP_1)
	v_or3_b32 v19, v19, v14, v21
	v_dual_lshrrev_b32 v21, v202, v15 :: v_dual_lshrrev_b32 v15, v203, v15
	v_dual_lshlrev_b32 v15, 28, v15 :: v_dual_lshlrev_b32 v21, 20, v21
	s_delay_alu instid0(VALU_DEP_1) | instskip(NEXT) | instid1(VALU_DEP_2)
	v_and_b32_e32 v15, 0x10000000, v15
	v_and_b32_e32 v21, 0x100000, v21
	s_delay_alu instid0(VALU_DEP_1) | instskip(SKIP_2) | instid1(VALU_DEP_3)
	v_or3_b32 v14, v14, v21, v15
	v_lshlrev_b16 v15, 8, v19
	v_lshrrev_b32_e32 v21, 16, v10
	v_lshrrev_b32_e32 v14, 16, v14
	s_delay_alu instid0(VALU_DEP_3) | instskip(NEXT) | instid1(VALU_DEP_1)
	v_add_nc_u16 v15, 0xf000, v15
	v_lshrrev_b16 v15, 8, v15
	s_delay_alu instid0(VALU_DEP_1) | instskip(NEXT) | instid1(VALU_DEP_4)
	v_bitop3_b16 v15, v19, v15, 0x1f00 bitop3:0xec
	v_lshlrev_b16 v19, 8, v14
	v_and_b32_e32 v14, 0x1f00, v14
	s_delay_alu instid0(VALU_DEP_3) | instskip(NEXT) | instid1(VALU_DEP_3)
	v_add_nc_u16 v15, 0xf000, v15
	v_add_nc_u16 v19, 0xf000, v19
	s_delay_alu instid0(VALU_DEP_3) | instskip(NEXT) | instid1(VALU_DEP_3)
	v_add_nc_u16 v14, 0xf000, v14
	v_lshrrev_b32_e32 v13, 8, v15
	v_bfe_i32 v15, v15, 0, 8
	s_delay_alu instid0(VALU_DEP_3) | instskip(NEXT) | instid1(VALU_DEP_3)
	v_lshrrev_b32_e32 v14, 8, v14
	v_bfe_i32 v13, v13, 0, 8
	s_delay_alu instid0(VALU_DEP_3) | instskip(NEXT) | instid1(VALU_DEP_3)
	v_cvt_f16_i16_e32 v15, v15
	v_bfe_i32 v14, v14, 0, 8
	s_delay_alu instid0(VALU_DEP_3) | instskip(NEXT) | instid1(VALU_DEP_2)
	v_cvt_f16_i16_e32 v13, v13
	v_cvt_f16_i16_e32 v14, v14
	s_delay_alu instid0(VALU_DEP_2) | instskip(SKIP_2) | instid1(VALU_DEP_3)
	v_pack_b32_f16 v13, v15, v13
	v_ashrrev_i16 v15, 8, v19
	v_lshrrev_b32_e32 v19, 16, v9
	v_pk_mul_f16 v13, v13, v12
	s_delay_alu instid0(VALU_DEP_3) | instskip(NEXT) | instid1(VALU_DEP_2)
	v_cvt_f16_i16_e32 v15, v15
	v_pk_fma_f16 v16, v13, v18, v16
	s_delay_alu instid0(VALU_DEP_2) | instskip(NEXT) | instid1(VALU_DEP_1)
	v_pack_b32_f16 v14, v15, v14
	v_pk_mul_f16 v12, v14, v12
	v_add_nc_u64_e32 v[14:15], s[4:5], v[92:93]
	v_add_nc_u64_e32 v[92:93], s[22:23], v[92:93]
	s_delay_alu instid0(VALU_DEP_3)
	v_pk_fma_f16 v17, v12, v18, v17
	v_add_nc_u64_e32 v[12:13], s[4:5], v[94:95]
	v_lshrrev_b32_e32 v18, 16, v8
	global_load_b32 v14, v[14:15], off
	v_and_b32_e32 v8, 0xffff, v8
	v_add_nc_u64_e32 v[94:95], s[22:23], v[94:95]
	s_clause 0x1
	global_load_b32 v15, v[12:13], off offset:2
	global_load_u16 v12, v[12:13], off
	v_mul_u32_u24_e32 v8, 0x10001, v8
	s_wait_loadcnt 0x1
	v_dual_ashrrev_i32 v14, v200, v14 :: v_dual_lshrrev_b32 v207, v201, v15
	v_lshrrev_b32_e32 v206, v196, v15
	s_delay_alu instid0(VALU_DEP_2) | instskip(SKIP_2) | instid1(VALU_DEP_3)
	v_and_b32_e32 v14, 0xf0f0f0f, v14
	s_wait_loadcnt 0x0
	v_mul_u32_u24_e32 v12, 0x10001, v12
	v_dual_lshlrev_b32 v207, 12, v207 :: v_dual_lshlrev_b32 v206, 4, v206
	s_delay_alu instid0(VALU_DEP_1) | instskip(NEXT) | instid1(VALU_DEP_2)
	v_and_b32_e32 v207, 0x1000, v207
	v_and_b32_e32 v206, 16, v206
	s_delay_alu instid0(VALU_DEP_1) | instskip(SKIP_1) | instid1(VALU_DEP_1)
	v_or3_b32 v206, v206, v14, v207
	v_dual_lshrrev_b32 v207, v202, v15 :: v_dual_lshrrev_b32 v15, v203, v15
	v_lshlrev_b32_e32 v207, 20, v207
	s_delay_alu instid0(VALU_DEP_2) | instskip(NEXT) | instid1(VALU_DEP_2)
	v_lshlrev_b32_e32 v15, 28, v15
	v_and_b32_e32 v207, 0x100000, v207
	s_delay_alu instid0(VALU_DEP_2) | instskip(NEXT) | instid1(VALU_DEP_1)
	v_and_b32_e32 v15, 0x10000000, v15
	v_or3_b32 v14, v14, v207, v15
	v_lshlrev_b16 v15, 8, v206
	s_delay_alu instid0(VALU_DEP_2) | instskip(NEXT) | instid1(VALU_DEP_2)
	v_lshrrev_b32_e32 v14, 16, v14
	v_add_nc_u16 v15, 0xf000, v15
	s_delay_alu instid0(VALU_DEP_1) | instskip(NEXT) | instid1(VALU_DEP_1)
	v_lshrrev_b16 v15, 8, v15
	v_bitop3_b16 v15, v206, v15, 0x1f00 bitop3:0xec
	s_delay_alu instid0(VALU_DEP_4) | instskip(SKIP_1) | instid1(VALU_DEP_3)
	v_lshlrev_b16 v206, 8, v14
	v_and_b32_e32 v14, 0x1f00, v14
	v_add_nc_u16 v15, 0xf000, v15
	s_delay_alu instid0(VALU_DEP_3) | instskip(NEXT) | instid1(VALU_DEP_3)
	v_add_nc_u16 v206, 0xf000, v206
	v_add_nc_u16 v14, 0xf000, v14
	s_delay_alu instid0(VALU_DEP_3) | instskip(SKIP_1) | instid1(VALU_DEP_3)
	v_lshrrev_b32_e32 v13, 8, v15
	v_bfe_i32 v15, v15, 0, 8
	v_lshrrev_b32_e32 v14, 8, v14
	s_delay_alu instid0(VALU_DEP_3) | instskip(NEXT) | instid1(VALU_DEP_3)
	v_bfe_i32 v13, v13, 0, 8
	v_cvt_f16_i16_e32 v15, v15
	s_delay_alu instid0(VALU_DEP_3) | instskip(NEXT) | instid1(VALU_DEP_3)
	v_bfe_i32 v14, v14, 0, 8
	v_cvt_f16_i16_e32 v13, v13
	s_delay_alu instid0(VALU_DEP_2) | instskip(NEXT) | instid1(VALU_DEP_2)
	v_cvt_f16_i16_e32 v14, v14
	v_pack_b32_f16 v13, v15, v13
	v_ashrrev_i16 v15, 8, v206
	s_delay_alu instid0(VALU_DEP_2) | instskip(NEXT) | instid1(VALU_DEP_2)
	v_pk_mul_f16 v13, v13, v12
	v_cvt_f16_i16_e32 v15, v15
	s_delay_alu instid0(VALU_DEP_2) | instskip(NEXT) | instid1(VALU_DEP_2)
	v_pk_fma_f16 v16, v13, v8, v16
	v_pack_b32_f16 v14, v15, v14
	s_delay_alu instid0(VALU_DEP_1) | instskip(SKIP_2) | instid1(VALU_DEP_3)
	v_pk_mul_f16 v12, v14, v12
	v_add_nc_u64_e32 v[14:15], s[4:5], v[88:89]
	v_add_nc_u64_e32 v[88:89], s[22:23], v[88:89]
	v_pk_fma_f16 v8, v12, v8, v17
	v_add_nc_u64_e32 v[12:13], s[4:5], v[90:91]
	v_mul_u32_u24_e32 v17, 0x10001, v18
	global_load_b32 v14, v[14:15], off
	v_add_nc_u64_e32 v[90:91], s[22:23], v[90:91]
	s_clause 0x1
	global_load_b32 v15, v[12:13], off offset:2
	global_load_u16 v12, v[12:13], off
	s_wait_loadcnt 0x2
	v_ashrrev_i32_e32 v14, v200, v14
	s_wait_loadcnt 0x1
	v_dual_lshrrev_b32 v18, v196, v15 :: v_dual_lshrrev_b32 v206, v201, v15
	s_delay_alu instid0(VALU_DEP_2) | instskip(SKIP_2) | instid1(VALU_DEP_3)
	v_and_b32_e32 v14, 0xf0f0f0f, v14
	s_wait_loadcnt 0x0
	v_mul_u32_u24_e32 v12, 0x10001, v12
	v_lshlrev_b32_e32 v18, 4, v18
	v_lshlrev_b32_e32 v206, 12, v206
	s_delay_alu instid0(VALU_DEP_2) | instskip(NEXT) | instid1(VALU_DEP_2)
	v_and_b32_e32 v18, 16, v18
	v_and_b32_e32 v206, 0x1000, v206
	s_delay_alu instid0(VALU_DEP_1) | instskip(SKIP_1) | instid1(VALU_DEP_1)
	v_or3_b32 v18, v18, v14, v206
	v_dual_lshrrev_b32 v206, v202, v15 :: v_dual_lshrrev_b32 v15, v203, v15
	v_dual_lshlrev_b32 v206, 20, v206 :: v_dual_lshlrev_b32 v15, 28, v15
	s_delay_alu instid0(VALU_DEP_1) | instskip(NEXT) | instid1(VALU_DEP_2)
	v_and_b32_e32 v206, 0x100000, v206
	v_and_b32_e32 v15, 0x10000000, v15
	s_delay_alu instid0(VALU_DEP_1) | instskip(SKIP_1) | instid1(VALU_DEP_2)
	v_or3_b32 v14, v14, v206, v15
	v_lshlrev_b16 v15, 8, v18
	v_lshrrev_b32_e32 v14, 16, v14
	s_delay_alu instid0(VALU_DEP_2) | instskip(NEXT) | instid1(VALU_DEP_1)
	v_add_nc_u16 v15, 0xf000, v15
	v_lshrrev_b16 v15, 8, v15
	s_delay_alu instid0(VALU_DEP_1) | instskip(NEXT) | instid1(VALU_DEP_4)
	v_bitop3_b16 v15, v18, v15, 0x1f00 bitop3:0xec
	v_lshlrev_b16 v18, 8, v14
	v_and_b32_e32 v14, 0x1f00, v14
	s_delay_alu instid0(VALU_DEP_3) | instskip(NEXT) | instid1(VALU_DEP_3)
	v_add_nc_u16 v15, 0xf000, v15
	v_add_nc_u16 v18, 0xf000, v18
	s_delay_alu instid0(VALU_DEP_3) | instskip(NEXT) | instid1(VALU_DEP_3)
	v_add_nc_u16 v14, 0xf000, v14
	v_lshrrev_b32_e32 v13, 8, v15
	v_bfe_i32 v15, v15, 0, 8
	s_delay_alu instid0(VALU_DEP_3) | instskip(NEXT) | instid1(VALU_DEP_3)
	v_lshrrev_b32_e32 v14, 8, v14
	v_bfe_i32 v13, v13, 0, 8
	s_delay_alu instid0(VALU_DEP_3) | instskip(NEXT) | instid1(VALU_DEP_3)
	v_cvt_f16_i16_e32 v15, v15
	v_bfe_i32 v14, v14, 0, 8
	s_delay_alu instid0(VALU_DEP_3) | instskip(NEXT) | instid1(VALU_DEP_2)
	v_cvt_f16_i16_e32 v13, v13
	v_cvt_f16_i16_e32 v14, v14
	s_delay_alu instid0(VALU_DEP_2) | instskip(SKIP_1) | instid1(VALU_DEP_2)
	v_pack_b32_f16 v13, v15, v13
	v_ashrrev_i16 v15, 8, v18
	v_pk_mul_f16 v13, v13, v12
	s_delay_alu instid0(VALU_DEP_2) | instskip(NEXT) | instid1(VALU_DEP_1)
	v_cvt_f16_i16_e32 v15, v15
	v_pack_b32_f16 v14, v15, v14
	s_delay_alu instid0(VALU_DEP_1) | instskip(NEXT) | instid1(VALU_DEP_4)
	v_pk_mul_f16 v12, v14, v12
	v_pk_fma_f16 v14, v13, v17, v16
	s_delay_alu instid0(VALU_DEP_2) | instskip(SKIP_3) | instid1(VALU_DEP_3)
	v_pk_fma_f16 v15, v12, v17, v8
	v_and_b32_e32 v8, 0xffff, v9
	v_add_nc_u64_e32 v[12:13], s[4:5], v[84:85]
	v_add_nc_u64_e32 v[84:85], s[22:23], v[84:85]
	v_mul_u32_u24_e32 v16, 0x10001, v8
	v_add_nc_u64_e32 v[8:9], s[4:5], v[86:87]
	v_add_nc_u64_e32 v[86:87], s[22:23], v[86:87]
	global_load_b32 v12, v[12:13], off
	s_clause 0x1
	global_load_b32 v13, v[8:9], off offset:2
	global_load_u16 v8, v[8:9], off
	s_wait_loadcnt 0x2
	v_ashrrev_i32_e32 v12, v200, v12
	s_wait_loadcnt 0x1
	v_dual_lshrrev_b32 v17, v196, v13 :: v_dual_lshrrev_b32 v18, v201, v13
	s_delay_alu instid0(VALU_DEP_2) | instskip(SKIP_2) | instid1(VALU_DEP_3)
	v_and_b32_e32 v12, 0xf0f0f0f, v12
	s_wait_loadcnt 0x0
	v_mul_u32_u24_e32 v8, 0x10001, v8
	v_dual_lshlrev_b32 v17, 4, v17 :: v_dual_lshlrev_b32 v18, 12, v18
	s_delay_alu instid0(VALU_DEP_1) | instskip(NEXT) | instid1(VALU_DEP_2)
	v_and_b32_e32 v17, 16, v17
	v_and_b32_e32 v18, 0x1000, v18
	s_delay_alu instid0(VALU_DEP_1) | instskip(SKIP_1) | instid1(VALU_DEP_1)
	v_or3_b32 v17, v17, v12, v18
	v_dual_lshrrev_b32 v18, v202, v13 :: v_dual_lshrrev_b32 v13, v203, v13
	v_dual_lshlrev_b32 v13, 28, v13 :: v_dual_lshlrev_b32 v18, 20, v18
	s_delay_alu instid0(VALU_DEP_1) | instskip(NEXT) | instid1(VALU_DEP_2)
	v_and_b32_e32 v13, 0x10000000, v13
	v_and_b32_e32 v18, 0x100000, v18
	s_delay_alu instid0(VALU_DEP_1) | instskip(SKIP_1) | instid1(VALU_DEP_1)
	v_or3_b32 v12, v12, v18, v13
	v_lshlrev_b16 v13, 8, v17
	v_add_nc_u16 v13, 0xf000, v13
	s_delay_alu instid0(VALU_DEP_1) | instskip(NEXT) | instid1(VALU_DEP_1)
	v_lshrrev_b16 v13, 8, v13
	v_bitop3_b16 v13, v17, v13, 0x1f00 bitop3:0xec
	s_delay_alu instid0(VALU_DEP_1) | instskip(NEXT) | instid1(VALU_DEP_1)
	v_add_nc_u16 v13, 0xf000, v13
	v_dual_lshrrev_b32 v12, 16, v12 :: v_dual_lshrrev_b32 v9, 8, v13
	s_delay_alu instid0(VALU_DEP_1) | instskip(SKIP_2) | instid1(VALU_DEP_4)
	v_lshlrev_b16 v17, 8, v12
	v_and_b32_e32 v12, 0x1f00, v12
	v_bfe_i32 v13, v13, 0, 8
	v_bfe_i32 v9, v9, 0, 8
	s_delay_alu instid0(VALU_DEP_4) | instskip(NEXT) | instid1(VALU_DEP_4)
	v_add_nc_u16 v17, 0xf000, v17
	v_add_nc_u16 v12, 0xf000, v12
	s_delay_alu instid0(VALU_DEP_4) | instskip(NEXT) | instid1(VALU_DEP_4)
	v_cvt_f16_i16_e32 v13, v13
	v_cvt_f16_i16_e32 v9, v9
	s_delay_alu instid0(VALU_DEP_3) | instskip(NEXT) | instid1(VALU_DEP_2)
	v_lshrrev_b32_e32 v12, 8, v12
	v_pack_b32_f16 v9, v13, v9
	v_ashrrev_i16 v13, 8, v17
	s_delay_alu instid0(VALU_DEP_3) | instskip(NEXT) | instid1(VALU_DEP_3)
	v_bfe_i32 v12, v12, 0, 8
	v_pk_mul_f16 v9, v9, v8
	s_delay_alu instid0(VALU_DEP_3) | instskip(NEXT) | instid1(VALU_DEP_3)
	v_cvt_f16_i16_e32 v13, v13
	v_cvt_f16_i16_e32 v12, v12
	s_delay_alu instid0(VALU_DEP_3) | instskip(NEXT) | instid1(VALU_DEP_2)
	v_pk_fma_f16 v14, v9, v16, v14
	v_pack_b32_f16 v12, v13, v12
	s_delay_alu instid0(VALU_DEP_1) | instskip(SKIP_2) | instid1(VALU_DEP_3)
	v_pk_mul_f16 v8, v12, v8
	v_add_nc_u64_e32 v[12:13], s[4:5], v[80:81]
	v_add_nc_u64_e32 v[80:81], s[22:23], v[80:81]
	v_pk_fma_f16 v15, v8, v16, v15
	v_add_nc_u64_e32 v[8:9], s[4:5], v[82:83]
	v_mul_u32_u24_e32 v16, 0x10001, v19
	global_load_b32 v12, v[12:13], off
	v_add_nc_u64_e32 v[82:83], s[22:23], v[82:83]
	s_clause 0x1
	global_load_b32 v13, v[8:9], off offset:2
	global_load_u16 v8, v[8:9], off
	s_wait_loadcnt 0x1
	v_lshrrev_b32_e32 v17, v196, v13
	v_dual_ashrrev_i32 v12, v200, v12 :: v_dual_lshrrev_b32 v18, v201, v13
	s_wait_loadcnt 0x0
	v_mul_u32_u24_e32 v8, 0x10001, v8
	s_delay_alu instid0(VALU_DEP_3) | instskip(NEXT) | instid1(VALU_DEP_3)
	v_lshlrev_b32_e32 v17, 4, v17
	v_and_b32_e32 v12, 0xf0f0f0f, v12
	s_delay_alu instid0(VALU_DEP_2) | instskip(NEXT) | instid1(VALU_DEP_1)
	v_dual_lshlrev_b32 v18, 12, v18 :: v_dual_bitop2_b32 v17, 16, v17 bitop3:0x40
	v_and_b32_e32 v18, 0x1000, v18
	s_delay_alu instid0(VALU_DEP_1) | instskip(SKIP_1) | instid1(VALU_DEP_1)
	v_or3_b32 v17, v17, v12, v18
	v_dual_lshrrev_b32 v18, v202, v13 :: v_dual_lshrrev_b32 v13, v203, v13
	v_dual_lshlrev_b32 v13, 28, v13 :: v_dual_lshlrev_b32 v18, 20, v18
	s_delay_alu instid0(VALU_DEP_1) | instskip(NEXT) | instid1(VALU_DEP_2)
	v_and_b32_e32 v13, 0x10000000, v13
	v_and_b32_e32 v18, 0x100000, v18
	s_delay_alu instid0(VALU_DEP_1) | instskip(SKIP_1) | instid1(VALU_DEP_2)
	v_or3_b32 v12, v12, v18, v13
	v_lshlrev_b16 v13, 8, v17
	v_lshrrev_b32_e32 v12, 16, v12
	s_delay_alu instid0(VALU_DEP_2) | instskip(NEXT) | instid1(VALU_DEP_1)
	v_add_nc_u16 v13, 0xf000, v13
	v_lshrrev_b16 v13, 8, v13
	s_delay_alu instid0(VALU_DEP_1) | instskip(NEXT) | instid1(VALU_DEP_4)
	v_bitop3_b16 v13, v17, v13, 0x1f00 bitop3:0xec
	v_lshlrev_b16 v17, 8, v12
	v_and_b32_e32 v12, 0x1f00, v12
	s_delay_alu instid0(VALU_DEP_3) | instskip(NEXT) | instid1(VALU_DEP_3)
	v_add_nc_u16 v13, 0xf000, v13
	v_add_nc_u16 v17, 0xf000, v17
	s_delay_alu instid0(VALU_DEP_3) | instskip(NEXT) | instid1(VALU_DEP_3)
	v_add_nc_u16 v12, 0xf000, v12
	v_lshrrev_b32_e32 v9, 8, v13
	v_bfe_i32 v13, v13, 0, 8
	s_delay_alu instid0(VALU_DEP_3) | instskip(NEXT) | instid1(VALU_DEP_3)
	v_lshrrev_b32_e32 v12, 8, v12
	v_bfe_i32 v9, v9, 0, 8
	s_delay_alu instid0(VALU_DEP_3) | instskip(NEXT) | instid1(VALU_DEP_3)
	v_cvt_f16_i16_e32 v13, v13
	v_bfe_i32 v12, v12, 0, 8
	s_delay_alu instid0(VALU_DEP_3) | instskip(NEXT) | instid1(VALU_DEP_2)
	v_cvt_f16_i16_e32 v9, v9
	v_cvt_f16_i16_e32 v12, v12
	s_delay_alu instid0(VALU_DEP_2) | instskip(SKIP_1) | instid1(VALU_DEP_2)
	v_pack_b32_f16 v9, v13, v9
	v_ashrrev_i16 v13, 8, v17
	v_pk_mul_f16 v9, v9, v8
	s_delay_alu instid0(VALU_DEP_2) | instskip(NEXT) | instid1(VALU_DEP_2)
	v_cvt_f16_i16_e32 v13, v13
	v_pk_fma_f16 v14, v9, v16, v14
	s_delay_alu instid0(VALU_DEP_2) | instskip(NEXT) | instid1(VALU_DEP_1)
	v_pack_b32_f16 v12, v13, v12
	v_pk_mul_f16 v8, v12, v8
	v_add_nc_u64_e32 v[12:13], s[4:5], v[76:77]
	v_add_nc_u64_e32 v[76:77], s[22:23], v[76:77]
	s_delay_alu instid0(VALU_DEP_3)
	v_pk_fma_f16 v15, v8, v16, v15
	v_and_b32_e32 v8, 0xffff, v10
	global_load_b32 v12, v[12:13], off
	v_mul_u32_u24_e32 v10, 0x10001, v8
	v_add_nc_u64_e32 v[8:9], s[4:5], v[78:79]
	v_add_nc_u64_e32 v[78:79], s[22:23], v[78:79]
	s_clause 0x1
	global_load_b32 v13, v[8:9], off offset:2
	global_load_u16 v8, v[8:9], off
	s_wait_loadcnt 0x1
	v_dual_ashrrev_i32 v12, v200, v12 :: v_dual_lshrrev_b32 v17, v201, v13
	v_lshrrev_b32_e32 v16, v196, v13
	s_delay_alu instid0(VALU_DEP_2) | instskip(SKIP_2) | instid1(VALU_DEP_3)
	v_and_b32_e32 v12, 0xf0f0f0f, v12
	s_wait_loadcnt 0x0
	v_mul_u32_u24_e32 v8, 0x10001, v8
	v_dual_lshlrev_b32 v17, 12, v17 :: v_dual_lshlrev_b32 v16, 4, v16
	s_delay_alu instid0(VALU_DEP_1) | instskip(NEXT) | instid1(VALU_DEP_2)
	v_and_b32_e32 v17, 0x1000, v17
	v_and_b32_e32 v16, 16, v16
	s_delay_alu instid0(VALU_DEP_1) | instskip(SKIP_1) | instid1(VALU_DEP_1)
	v_or3_b32 v16, v16, v12, v17
	v_dual_lshrrev_b32 v17, v202, v13 :: v_dual_lshrrev_b32 v13, v203, v13
	v_lshlrev_b32_e32 v17, 20, v17
	s_delay_alu instid0(VALU_DEP_2) | instskip(NEXT) | instid1(VALU_DEP_2)
	v_lshlrev_b32_e32 v13, 28, v13
	v_and_b32_e32 v17, 0x100000, v17
	s_delay_alu instid0(VALU_DEP_2) | instskip(NEXT) | instid1(VALU_DEP_1)
	v_and_b32_e32 v13, 0x10000000, v13
	v_or3_b32 v12, v12, v17, v13
	v_lshlrev_b16 v13, 8, v16
	s_delay_alu instid0(VALU_DEP_2) | instskip(NEXT) | instid1(VALU_DEP_2)
	v_lshrrev_b32_e32 v12, 16, v12
	v_add_nc_u16 v13, 0xf000, v13
	s_delay_alu instid0(VALU_DEP_1) | instskip(NEXT) | instid1(VALU_DEP_1)
	v_lshrrev_b16 v13, 8, v13
	v_bitop3_b16 v13, v16, v13, 0x1f00 bitop3:0xec
	s_delay_alu instid0(VALU_DEP_4) | instskip(SKIP_1) | instid1(VALU_DEP_3)
	v_lshlrev_b16 v16, 8, v12
	v_and_b32_e32 v12, 0x1f00, v12
	v_add_nc_u16 v13, 0xf000, v13
	s_delay_alu instid0(VALU_DEP_3) | instskip(NEXT) | instid1(VALU_DEP_3)
	v_add_nc_u16 v16, 0xf000, v16
	v_add_nc_u16 v12, 0xf000, v12
	s_delay_alu instid0(VALU_DEP_3) | instskip(SKIP_1) | instid1(VALU_DEP_3)
	v_lshrrev_b32_e32 v9, 8, v13
	v_bfe_i32 v13, v13, 0, 8
	v_lshrrev_b32_e32 v12, 8, v12
	s_delay_alu instid0(VALU_DEP_3) | instskip(NEXT) | instid1(VALU_DEP_3)
	v_bfe_i32 v9, v9, 0, 8
	v_cvt_f16_i16_e32 v13, v13
	s_delay_alu instid0(VALU_DEP_3) | instskip(NEXT) | instid1(VALU_DEP_3)
	v_bfe_i32 v12, v12, 0, 8
	v_cvt_f16_i16_e32 v9, v9
	s_delay_alu instid0(VALU_DEP_2) | instskip(NEXT) | instid1(VALU_DEP_2)
	v_cvt_f16_i16_e32 v12, v12
	v_pack_b32_f16 v9, v13, v9
	v_ashrrev_i16 v13, 8, v16
	s_delay_alu instid0(VALU_DEP_2) | instskip(NEXT) | instid1(VALU_DEP_2)
	v_pk_mul_f16 v9, v9, v8
	v_cvt_f16_i16_e32 v13, v13
	s_delay_alu instid0(VALU_DEP_2) | instskip(NEXT) | instid1(VALU_DEP_2)
	v_pk_fma_f16 v14, v9, v10, v14
	v_pack_b32_f16 v12, v13, v12
	s_delay_alu instid0(VALU_DEP_1) | instskip(SKIP_2) | instid1(VALU_DEP_3)
	v_pk_mul_f16 v8, v12, v8
	v_add_nc_u64_e32 v[12:13], s[4:5], v[72:73]
	v_add_nc_u64_e32 v[72:73], s[22:23], v[72:73]
	v_pk_fma_f16 v10, v8, v10, v15
	v_add_nc_u64_e32 v[8:9], s[4:5], v[74:75]
	v_mul_u32_u24_e32 v15, 0x10001, v21
	global_load_b32 v12, v[12:13], off
	v_add_nc_u64_e32 v[74:75], s[22:23], v[74:75]
	s_clause 0x1
	global_load_b32 v13, v[8:9], off offset:2
	global_load_u16 v8, v[8:9], off
	s_wait_loadcnt 0x2
	v_ashrrev_i32_e32 v12, v200, v12
	s_wait_loadcnt 0x1
	v_dual_lshrrev_b32 v16, v196, v13 :: v_dual_lshrrev_b32 v17, v201, v13
	s_delay_alu instid0(VALU_DEP_2) | instskip(SKIP_2) | instid1(VALU_DEP_3)
	v_and_b32_e32 v12, 0xf0f0f0f, v12
	s_wait_loadcnt 0x0
	v_mul_u32_u24_e32 v8, 0x10001, v8
	v_dual_lshlrev_b32 v16, 4, v16 :: v_dual_lshlrev_b32 v17, 12, v17
	s_delay_alu instid0(VALU_DEP_1) | instskip(NEXT) | instid1(VALU_DEP_2)
	v_and_b32_e32 v16, 16, v16
	v_and_b32_e32 v17, 0x1000, v17
	s_delay_alu instid0(VALU_DEP_1) | instskip(SKIP_1) | instid1(VALU_DEP_1)
	v_or3_b32 v16, v16, v12, v17
	v_dual_lshrrev_b32 v17, v202, v13 :: v_dual_lshrrev_b32 v13, v203, v13
	v_lshlrev_b32_e32 v17, 20, v17
	s_delay_alu instid0(VALU_DEP_2) | instskip(NEXT) | instid1(VALU_DEP_2)
	v_lshlrev_b32_e32 v13, 28, v13
	v_and_b32_e32 v17, 0x100000, v17
	s_delay_alu instid0(VALU_DEP_2) | instskip(NEXT) | instid1(VALU_DEP_1)
	v_and_b32_e32 v13, 0x10000000, v13
	v_or3_b32 v12, v12, v17, v13
	v_lshlrev_b16 v13, 8, v16
	s_delay_alu instid0(VALU_DEP_2) | instskip(NEXT) | instid1(VALU_DEP_2)
	v_lshrrev_b32_e32 v12, 16, v12
	v_add_nc_u16 v13, 0xf000, v13
	s_delay_alu instid0(VALU_DEP_1) | instskip(NEXT) | instid1(VALU_DEP_1)
	v_lshrrev_b16 v13, 8, v13
	v_bitop3_b16 v13, v16, v13, 0x1f00 bitop3:0xec
	s_delay_alu instid0(VALU_DEP_4) | instskip(SKIP_1) | instid1(VALU_DEP_3)
	v_lshlrev_b16 v16, 8, v12
	v_and_b32_e32 v12, 0x1f00, v12
	v_add_nc_u16 v13, 0xf000, v13
	s_delay_alu instid0(VALU_DEP_3) | instskip(NEXT) | instid1(VALU_DEP_3)
	v_add_nc_u16 v16, 0xf000, v16
	v_add_nc_u16 v12, 0xf000, v12
	s_delay_alu instid0(VALU_DEP_3) | instskip(SKIP_1) | instid1(VALU_DEP_3)
	v_lshrrev_b32_e32 v9, 8, v13
	v_bfe_i32 v13, v13, 0, 8
	v_lshrrev_b32_e32 v12, 8, v12
	s_delay_alu instid0(VALU_DEP_3) | instskip(NEXT) | instid1(VALU_DEP_3)
	v_bfe_i32 v9, v9, 0, 8
	v_cvt_f16_i16_e32 v13, v13
	s_delay_alu instid0(VALU_DEP_3) | instskip(NEXT) | instid1(VALU_DEP_3)
	v_bfe_i32 v12, v12, 0, 8
	v_cvt_f16_i16_e32 v9, v9
	s_delay_alu instid0(VALU_DEP_2) | instskip(NEXT) | instid1(VALU_DEP_2)
	v_cvt_f16_i16_e32 v12, v12
	v_pack_b32_f16 v9, v13, v9
	v_ashrrev_i16 v13, 8, v16
	s_delay_alu instid0(VALU_DEP_2) | instskip(NEXT) | instid1(VALU_DEP_2)
	v_pk_mul_f16 v9, v9, v8
	v_cvt_f16_i16_e32 v13, v13
	s_delay_alu instid0(VALU_DEP_1) | instskip(NEXT) | instid1(VALU_DEP_1)
	v_pack_b32_f16 v12, v13, v12
	v_pk_mul_f16 v8, v12, v8
	s_delay_alu instid0(VALU_DEP_4) | instskip(NEXT) | instid1(VALU_DEP_2)
	v_pk_fma_f16 v12, v9, v15, v14
	v_pk_fma_f16 v13, v8, v15, v10
	v_and_b32_e32 v8, 0xffff, v11
	v_add_nc_u64_e32 v[10:11], s[4:5], v[68:69]
	v_add_nc_u64_e32 v[68:69], s[22:23], v[68:69]
	s_delay_alu instid0(VALU_DEP_3)
	v_mul_u32_u24_e32 v14, 0x10001, v8
	v_add_nc_u64_e32 v[8:9], s[4:5], v[70:71]
	v_add_nc_u64_e32 v[70:71], s[22:23], v[70:71]
	global_load_b32 v10, v[10:11], off
	s_clause 0x1
	global_load_b32 v11, v[8:9], off offset:2
	global_load_u16 v8, v[8:9], off
	s_wait_loadcnt 0x2
	v_ashrrev_i32_e32 v10, v200, v10
	s_wait_loadcnt 0x1
	v_dual_lshrrev_b32 v15, v196, v11 :: v_dual_lshrrev_b32 v16, v201, v11
	s_delay_alu instid0(VALU_DEP_2) | instskip(SKIP_2) | instid1(VALU_DEP_3)
	v_and_b32_e32 v10, 0xf0f0f0f, v10
	s_wait_loadcnt 0x0
	v_mul_u32_u24_e32 v8, 0x10001, v8
	v_dual_lshlrev_b32 v15, 4, v15 :: v_dual_lshlrev_b32 v16, 12, v16
	s_delay_alu instid0(VALU_DEP_1) | instskip(NEXT) | instid1(VALU_DEP_2)
	v_and_b32_e32 v15, 16, v15
	v_and_b32_e32 v16, 0x1000, v16
	s_delay_alu instid0(VALU_DEP_1) | instskip(SKIP_1) | instid1(VALU_DEP_1)
	v_or3_b32 v15, v15, v10, v16
	v_dual_lshrrev_b32 v16, v202, v11 :: v_dual_lshrrev_b32 v11, v203, v11
	v_dual_lshlrev_b32 v11, 28, v11 :: v_dual_lshlrev_b32 v16, 20, v16
	s_delay_alu instid0(VALU_DEP_1) | instskip(NEXT) | instid1(VALU_DEP_2)
	v_and_b32_e32 v11, 0x10000000, v11
	v_and_b32_e32 v16, 0x100000, v16
	s_delay_alu instid0(VALU_DEP_1) | instskip(SKIP_1) | instid1(VALU_DEP_1)
	v_or3_b32 v10, v10, v16, v11
	v_lshlrev_b16 v11, 8, v15
	v_add_nc_u16 v11, 0xf000, v11
	s_delay_alu instid0(VALU_DEP_1) | instskip(NEXT) | instid1(VALU_DEP_1)
	v_lshrrev_b16 v11, 8, v11
	v_bitop3_b16 v11, v15, v11, 0x1f00 bitop3:0xec
	s_delay_alu instid0(VALU_DEP_1) | instskip(NEXT) | instid1(VALU_DEP_1)
	v_add_nc_u16 v11, 0xf000, v11
	v_dual_lshrrev_b32 v10, 16, v10 :: v_dual_lshrrev_b32 v9, 8, v11
	s_delay_alu instid0(VALU_DEP_1) | instskip(SKIP_2) | instid1(VALU_DEP_4)
	v_lshlrev_b16 v15, 8, v10
	v_and_b32_e32 v10, 0x1f00, v10
	v_bfe_i32 v11, v11, 0, 8
	v_bfe_i32 v9, v9, 0, 8
	s_delay_alu instid0(VALU_DEP_4) | instskip(NEXT) | instid1(VALU_DEP_4)
	v_add_nc_u16 v15, 0xf000, v15
	v_add_nc_u16 v10, 0xf000, v10
	s_delay_alu instid0(VALU_DEP_4) | instskip(NEXT) | instid1(VALU_DEP_4)
	v_cvt_f16_i16_e32 v11, v11
	v_cvt_f16_i16_e32 v9, v9
	s_delay_alu instid0(VALU_DEP_3) | instskip(NEXT) | instid1(VALU_DEP_2)
	v_lshrrev_b32_e32 v10, 8, v10
	v_pack_b32_f16 v9, v11, v9
	v_ashrrev_i16 v11, 8, v15
	s_delay_alu instid0(VALU_DEP_3) | instskip(NEXT) | instid1(VALU_DEP_3)
	v_bfe_i32 v10, v10, 0, 8
	v_pk_mul_f16 v9, v9, v8
	s_delay_alu instid0(VALU_DEP_3) | instskip(NEXT) | instid1(VALU_DEP_3)
	v_cvt_f16_i16_e32 v11, v11
	v_cvt_f16_i16_e32 v10, v10
	s_delay_alu instid0(VALU_DEP_3) | instskip(NEXT) | instid1(VALU_DEP_2)
	v_pk_fma_f16 v12, v9, v14, v12
	v_pack_b32_f16 v10, v11, v10
	s_delay_alu instid0(VALU_DEP_1) | instskip(SKIP_2) | instid1(VALU_DEP_3)
	v_pk_mul_f16 v8, v10, v8
	v_add_nc_u64_e32 v[10:11], s[4:5], v[64:65]
	v_add_nc_u64_e32 v[64:65], s[22:23], v[64:65]
	v_pk_fma_f16 v13, v8, v14, v13
	v_add_nc_u64_e32 v[8:9], s[4:5], v[66:67]
	v_mul_u32_u24_e32 v14, 0x10001, v205
	global_load_b32 v10, v[10:11], off
	v_add_nc_u64_e32 v[66:67], s[22:23], v[66:67]
	s_clause 0x1
	global_load_b32 v11, v[8:9], off offset:2
	global_load_u16 v8, v[8:9], off
	s_wait_loadcnt 0x1
	v_lshrrev_b32_e32 v15, v196, v11
	v_dual_ashrrev_i32 v10, v200, v10 :: v_dual_lshrrev_b32 v16, v201, v11
	s_wait_loadcnt 0x0
	v_mul_u32_u24_e32 v8, 0x10001, v8
	s_delay_alu instid0(VALU_DEP_3) | instskip(NEXT) | instid1(VALU_DEP_3)
	v_lshlrev_b32_e32 v15, 4, v15
	v_and_b32_e32 v10, 0xf0f0f0f, v10
	s_delay_alu instid0(VALU_DEP_2) | instskip(NEXT) | instid1(VALU_DEP_1)
	v_dual_lshlrev_b32 v16, 12, v16 :: v_dual_bitop2_b32 v15, 16, v15 bitop3:0x40
	v_and_b32_e32 v16, 0x1000, v16
	s_delay_alu instid0(VALU_DEP_1) | instskip(SKIP_1) | instid1(VALU_DEP_1)
	v_or3_b32 v15, v15, v10, v16
	v_dual_lshrrev_b32 v16, v202, v11 :: v_dual_lshrrev_b32 v11, v203, v11
	v_dual_lshlrev_b32 v11, 28, v11 :: v_dual_lshlrev_b32 v16, 20, v16
	s_delay_alu instid0(VALU_DEP_1) | instskip(NEXT) | instid1(VALU_DEP_2)
	v_and_b32_e32 v11, 0x10000000, v11
	v_and_b32_e32 v16, 0x100000, v16
	s_delay_alu instid0(VALU_DEP_1) | instskip(SKIP_1) | instid1(VALU_DEP_2)
	v_or3_b32 v10, v10, v16, v11
	v_lshlrev_b16 v11, 8, v15
	v_lshrrev_b32_e32 v10, 16, v10
	s_delay_alu instid0(VALU_DEP_2) | instskip(NEXT) | instid1(VALU_DEP_1)
	v_add_nc_u16 v11, 0xf000, v11
	v_lshrrev_b16 v11, 8, v11
	s_delay_alu instid0(VALU_DEP_1) | instskip(NEXT) | instid1(VALU_DEP_4)
	v_bitop3_b16 v11, v15, v11, 0x1f00 bitop3:0xec
	v_lshlrev_b16 v15, 8, v10
	v_and_b32_e32 v10, 0x1f00, v10
	s_delay_alu instid0(VALU_DEP_3) | instskip(NEXT) | instid1(VALU_DEP_3)
	v_add_nc_u16 v11, 0xf000, v11
	v_add_nc_u16 v15, 0xf000, v15
	s_delay_alu instid0(VALU_DEP_3) | instskip(NEXT) | instid1(VALU_DEP_3)
	v_add_nc_u16 v10, 0xf000, v10
	v_lshrrev_b32_e32 v9, 8, v11
	v_bfe_i32 v11, v11, 0, 8
	s_delay_alu instid0(VALU_DEP_3) | instskip(NEXT) | instid1(VALU_DEP_3)
	v_lshrrev_b32_e32 v10, 8, v10
	v_bfe_i32 v9, v9, 0, 8
	s_delay_alu instid0(VALU_DEP_3) | instskip(NEXT) | instid1(VALU_DEP_3)
	v_cvt_f16_i16_e32 v11, v11
	v_bfe_i32 v10, v10, 0, 8
	s_delay_alu instid0(VALU_DEP_3) | instskip(NEXT) | instid1(VALU_DEP_2)
	v_cvt_f16_i16_e32 v9, v9
	v_cvt_f16_i16_e32 v10, v10
	s_delay_alu instid0(VALU_DEP_2) | instskip(SKIP_1) | instid1(VALU_DEP_2)
	v_pack_b32_f16 v9, v11, v9
	v_ashrrev_i16 v11, 8, v15
	v_pk_mul_f16 v9, v9, v8
	s_delay_alu instid0(VALU_DEP_2) | instskip(NEXT) | instid1(VALU_DEP_1)
	v_cvt_f16_i16_e32 v11, v11
	v_pack_b32_f16 v10, v11, v10
	s_delay_alu instid0(VALU_DEP_1) | instskip(NEXT) | instid1(VALU_DEP_4)
	v_pk_mul_f16 v10, v10, v8
	v_pk_fma_f16 v8, v9, v14, v12
	s_delay_alu instid0(VALU_DEP_2)
	v_pk_fma_f16 v21, v10, v14, v13
	s_cbranch_scc1 .LBB14_18
; %bb.16:                               ;   in Loop: Header=BB14_11 Depth=1
	v_mov_b32_e32 v9, v204
	s_branch .LBB14_11
.LBB14_17:
	v_dual_mov_b32 v8, 0 :: v_dual_mov_b32 v21, 0
	v_mov_b32_e32 v204, 0xfeffffff
.LBB14_18:
	v_or_b32_e32 v0, s33, v182
	s_cmp_lg_u64 s[12:13], 0
	s_cselect_b32 s3, -1, 0
	s_delay_alu instid0(VALU_DEP_1) | instskip(SKIP_1) | instid1(SALU_CYCLE_1)
	v_cmp_eq_u32_e32 vcc_lo, 0, v0
	s_and_b32 s4, vcc_lo, s3
	s_and_saveexec_b32 s3, s4
	s_cbranch_execz .LBB14_20
; %bb.19:
	s_lshl_b64 s[4:5], s[28:29], 2
	v_max_num_f32_e32 v0, v204, v204
	s_add_nc_u64 s[4:5], s[12:13], s[4:5]
	s_load_b32 s4, s[4:5], 0x0
	s_wait_kmcnt 0x0
	v_max_num_f32_e64 v1, s4, s4
	s_delay_alu instid0(VALU_DEP_1) | instskip(NEXT) | instid1(VALU_DEP_1)
	v_max_num_f32_e32 v0, v0, v1
	v_sub_f32_e32 v1, v204, v0
	s_delay_alu instid0(VALU_DEP_1) | instskip(NEXT) | instid1(VALU_DEP_1)
	v_mul_f32_e32 v3, 0x3fb8aa3b, v1
	v_fma_f32 v5, 0x3fb8aa3b, v1, -v3
	v_rndne_f32_e32 v6, v3
	s_delay_alu instid0(VALU_DEP_2) | instskip(NEXT) | instid1(VALU_DEP_2)
	v_dual_fmac_f32 v5, 0x32a5705f, v1 :: v_dual_sub_f32 v2, s4, v0
	v_sub_f32_e32 v3, v3, v6
	v_cmp_ngt_f32_e32 vcc_lo, 0xc2ce8ed0, v1
	v_mov_b32_e32 v204, v0
	s_delay_alu instid0(VALU_DEP_3) | instskip(SKIP_1) | instid1(VALU_DEP_2)
	v_dual_mul_f32 v4, 0x3fb8aa3b, v2 :: v_dual_add_f32 v3, v3, v5
	v_cvt_i32_f32_e32 v5, v6
	v_fma_f32 v7, 0x3fb8aa3b, v2, -v4
	s_delay_alu instid0(VALU_DEP_3) | instskip(SKIP_1) | instid1(VALU_DEP_1)
	v_exp_f32_e32 v3, v3
	v_rndne_f32_e32 v9, v4
	v_sub_f32_e32 v4, v4, v9
	s_delay_alu instid0(TRANS32_DEP_1) | instskip(SKIP_1) | instid1(VALU_DEP_2)
	v_ldexp_f32 v3, v3, v5
	v_cvt_i32_f32_e32 v6, v9
	v_cndmask_b32_e32 v3, 0, v3, vcc_lo
	v_cmp_ngt_f32_e32 vcc_lo, 0xc2ce8ed0, v2
	v_fmac_f32_e32 v7, 0x32a5705f, v2
	s_delay_alu instid0(VALU_DEP_1) | instskip(NEXT) | instid1(VALU_DEP_1)
	v_add_f32_e32 v4, v4, v7
	v_exp_f32_e32 v4, v4
	v_nop
	s_delay_alu instid0(TRANS32_DEP_1) | instskip(NEXT) | instid1(VALU_DEP_1)
	v_ldexp_f32 v4, v4, v6
	v_cndmask_b32_e32 v4, 0, v4, vcc_lo
	v_cmp_nlt_f32_e32 vcc_lo, 0x42b17218, v1
	v_cndmask_b32_e32 v1, 0x7f800000, v3, vcc_lo
	v_cmp_nlt_f32_e32 vcc_lo, 0x42b17218, v2
	s_delay_alu instid0(VALU_DEP_2) | instskip(SKIP_2) | instid1(VALU_DEP_3)
	v_cvt_f16_f32_e32 v3, v1
	v_cndmask_b32_e32 v2, 0x7f800000, v4, vcc_lo
	v_cmp_eq_u32_e32 vcc_lo, 0, v183
	v_and_b32_e32 v3, 0xffff, v3
	s_delay_alu instid0(VALU_DEP_3) | instskip(NEXT) | instid1(VALU_DEP_1)
	v_cndmask_b32_e32 v2, 0, v2, vcc_lo
	v_fmac_f32_e32 v2, v189, v1
	s_delay_alu instid0(VALU_DEP_3) | instskip(NEXT) | instid1(VALU_DEP_2)
	v_mul_u32_u24_e32 v1, 0x10001, v3
	v_mov_b32_e32 v189, v2
	s_delay_alu instid0(VALU_DEP_2)
	v_pk_mul_f16 v8, v8, v1
	v_pk_mul_f16 v21, v21, v1
.LBB14_20:
	s_or_b32 exec_lo, exec_lo, s3
	s_and_saveexec_b32 s3, s2
; %bb.21:
	v_dual_mov_b32 v0, 0xfeffffff :: v_dual_mov_b32 v1, 0
	v_add_nc_u32_e32 v2, 0x400, v188
	ds_store_2addr_b32 v2, v0, v1 offset1:32
; %bb.22:
	s_or_b32 exec_lo, exec_lo, s3
	v_cmp_eq_u32_e32 vcc_lo, 0, v183
	v_lshlrev_b32_e32 v1, 2, v182
	s_wait_dscnt 0x0
	s_barrier_signal -1
	s_barrier_wait -1
	s_and_saveexec_b32 s2, vcc_lo
; %bb.23:
	ds_store_b32 v1, v204 offset:1024
; %bb.24:
	s_or_b32 exec_lo, exec_lo, s2
	s_wait_dscnt 0x0
	s_barrier_signal -1
	s_barrier_wait -1
	ds_load_b32 v0, v188 offset:1024
	v_xor_b32_e32 v2, 16, v184
	s_load_b32 s1, s[0:1], 0xd4
	v_dual_lshlrev_b32 v12, 3, v183 :: v_dual_bitop2_b32 v4, 8, v184 bitop3:0x14
	s_delay_alu instid0(VALU_DEP_2) | instskip(NEXT) | instid1(VALU_DEP_1)
	v_cmp_gt_i32_e64 s2, 32, v2
	v_cndmask_b32_e64 v2, v184, v2, s2
	s_delay_alu instid0(VALU_DEP_3) | instskip(NEXT) | instid1(VALU_DEP_1)
	v_cmp_gt_i32_e64 s2, 32, v4
	v_dual_lshlrev_b32 v2, 2, v2 :: v_dual_cndmask_b32 v4, v184, v4, s2
	s_wait_dscnt 0x0
	ds_bpermute_b32 v3, v2, v0
	s_wait_dscnt 0x0
	v_dual_max_num_f32 v0, v0, v0 :: v_dual_max_num_f32 v3, v3, v3
	s_delay_alu instid0(VALU_DEP_1) | instskip(SKIP_3) | instid1(VALU_DEP_1)
	v_dual_max_num_f32 v0, v0, v3 :: v_dual_lshlrev_b32 v5, 2, v4
	ds_bpermute_b32 v3, v5, v0
	s_wait_dscnt 0x0
	v_dual_max_num_f32 v6, v3, v3 :: v_dual_bitop2_b32 v4, 4, v184 bitop3:0x14
	v_max_num_f32_e32 v0, v0, v6
	s_delay_alu instid0(VALU_DEP_2) | instskip(SKIP_1) | instid1(VALU_DEP_2)
	v_cmp_gt_i32_e64 s2, 32, v4
	v_xor_b32_e32 v6, 2, v184
	v_cndmask_b32_e64 v4, v184, v4, s2
	s_delay_alu instid0(VALU_DEP_2) | instskip(NEXT) | instid1(VALU_DEP_1)
	v_cmp_gt_i32_e64 s2, 32, v6
	v_dual_cndmask_b32 v6, v184, v6, s2 :: v_dual_lshlrev_b32 v3, 2, v4
	ds_bpermute_b32 v4, v3, v0
	s_wait_dscnt 0x0
	v_dual_max_num_f32 v7, v4, v4 :: v_dual_lshlrev_b32 v4, 2, v6
	s_delay_alu instid0(VALU_DEP_1) | instskip(SKIP_3) | instid1(VALU_DEP_1)
	v_dual_max_num_f32 v0, v0, v7 :: v_dual_bitop2_b32 v7, 1, v184 bitop3:0x14
	ds_bpermute_b32 v6, v4, v0
	v_cmp_gt_i32_e64 s2, 32, v7
	s_wait_dscnt 0x0
	v_dual_cndmask_b32 v7, v184, v7, s2 :: v_dual_max_num_f32 v9, v6, v6
	s_delay_alu instid0(VALU_DEP_1) | instskip(SKIP_3) | instid1(VALU_DEP_1)
	v_dual_lshlrev_b32 v6, 2, v7 :: v_dual_max_num_f32 v0, v0, v9
	ds_bpermute_b32 v7, v6, v0
	s_wait_dscnt 0x0
	v_max_num_f32_e32 v7, v7, v7
	v_max_num_f32_e32 v0, v0, v7
	s_delay_alu instid0(VALU_DEP_1) | instskip(NEXT) | instid1(VALU_DEP_1)
	v_sub_f32_e32 v7, v204, v0
	v_mul_f32_e32 v9, 0x3fb8aa3b, v7
	s_delay_alu instid0(VALU_DEP_1) | instskip(SKIP_1) | instid1(VALU_DEP_1)
	v_fma_f32 v10, 0x3fb8aa3b, v7, -v9
	v_rndne_f32_e32 v11, v9
	v_dual_sub_f32 v9, v9, v11 :: v_dual_fmamk_f32 v10, v7, 0x32a5705f, v10
	v_cmp_ngt_f32_e64 s2, 0xc2ce8ed0, v7
	s_delay_alu instid0(VALU_DEP_2) | instskip(SKIP_1) | instid1(VALU_DEP_2)
	v_add_f32_e32 v9, v9, v10
	v_cvt_i32_f32_e32 v10, v11
	v_exp_f32_e32 v9, v9
	v_nop
	s_delay_alu instid0(TRANS32_DEP_1) | instskip(NEXT) | instid1(VALU_DEP_1)
	v_ldexp_f32 v9, v9, v10
	v_cndmask_b32_e64 v9, 0, v9, s2
	v_cmp_nlt_f32_e64 s2, 0x42b17218, v7
	s_delay_alu instid0(VALU_DEP_1) | instskip(NEXT) | instid1(VALU_DEP_1)
	v_cndmask_b32_e64 v9, 0x7f800000, v9, s2
	v_mul_f32_e32 v7, v189, v9
	ds_bpermute_b32 v7, v2, v7
	s_wait_dscnt 0x0
	v_fmac_f32_e32 v7, v189, v9
	ds_bpermute_b32 v10, v5, v7
	s_wait_dscnt 0x0
	v_add_f32_e32 v7, v7, v10
	ds_bpermute_b32 v10, v3, v7
	s_wait_dscnt 0x0
	v_add_f32_e32 v7, v7, v10
	;; [unrolled: 3-line block ×3, first 2 shown]
	v_cvt_f16_f32_e32 v10, v9
	ds_bpermute_b32 v9, v6, v7
	v_and_b32_e32 v10, 0xffff, v10
	s_delay_alu instid0(VALU_DEP_1) | instskip(NEXT) | instid1(VALU_DEP_1)
	v_mul_u32_u24_e32 v11, 0x10001, v10
	v_pk_mul_f16 v10, v8, v11
	v_pk_mul_f16 v11, v21, v11
	v_lshl_add_u32 v8, v182, 8, v12
	ds_store_b64 v8, v[10:11]
	s_wait_xcnt 0x0
	s_and_saveexec_b32 s0, vcc_lo
	s_cbranch_execz .LBB14_26
; %bb.25:
	s_wait_dscnt 0x1
	v_add_f32_e32 v7, v7, v9
	ds_store_b32 v1, v7 offset:1152
.LBB14_26:
	s_or_b32 exec_lo, exec_lo, s0
	s_wait_dscnt 0x0
	s_barrier_signal -1
	s_barrier_wait -1
	ds_load_b32 v1, v188 offset:1152
	ds_load_u16 v7, v187 offset:768
	ds_load_u16 v8, v187
	s_mul_i32 s0, s26, s24
	v_mov_b32_e32 v10, 0
	s_add_co_i32 s0, s0, s31
	s_delay_alu instid0(SALU_CYCLE_1) | instskip(NEXT) | instid1(SALU_CYCLE_1)
	s_mul_i32 s0, s0, s25
	s_add_co_i32 s0, s0, s28
	s_wait_kmcnt 0x0
	s_mul_i32 s2, s1, s0
	s_delay_alu instid0(SALU_CYCLE_1)
	s_add_co_i32 s2, s2, s33
	s_cmp_eq_u32 s1, 1
	s_cselect_b32 s0, -1, 0
	s_cmp_lg_u32 s1, 1
	s_wait_dscnt 0x2
	ds_bpermute_b32 v2, v2, v1
	s_wait_dscnt 0x1
	v_cvt_f32_f16_e32 v8, v8
	s_wait_dscnt 0x0
	v_add_f32_e32 v9, v1, v2
	ds_load_u16 v1, v187 offset:256
	ds_load_u16 v12, v187 offset:512
	ds_bpermute_b32 v11, v5, v9
	s_wait_dscnt 0x2
	v_cvt_f32_f16_e32 v2, v1
	s_wait_dscnt 0x0
	v_pk_add_f32 v[8:9], v[8:9], v[10:11]
	ds_bpermute_b32 v3, v3, v9
	s_wait_dscnt 0x0
	v_pk_add_f32 v[2:3], v[8:9], v[2:3]
	ds_bpermute_b32 v5, v4, v3
	v_cvt_f32_f16_e32 v4, v12
	s_wait_dscnt 0x0
	s_delay_alu instid0(VALU_DEP_1) | instskip(SKIP_4) | instid1(VALU_DEP_1)
	v_pk_add_f32 v[2:3], v[2:3], v[4:5]
	v_cvt_f32_f16_e32 v4, v7
	ds_bpermute_b32 v5, v6, v3
	s_wait_dscnt 0x0
	v_pk_add_f32 v[2:3], v[2:3], v[4:5]
	v_div_scale_f32 v1, null, v3, v3, v2
	v_div_scale_f32 v6, vcc_lo, v2, v3, v2
	s_delay_alu instid0(VALU_DEP_2) | instskip(SKIP_1) | instid1(TRANS32_DEP_1)
	v_rcp_f32_e32 v4, v1
	v_nop
	v_fma_f32 v5, -v1, v4, 1.0
	s_delay_alu instid0(VALU_DEP_1) | instskip(NEXT) | instid1(VALU_DEP_1)
	v_fmac_f32_e32 v4, v5, v4
	v_mul_f32_e32 v5, v6, v4
	s_delay_alu instid0(VALU_DEP_1) | instskip(NEXT) | instid1(VALU_DEP_1)
	v_fma_f32 v7, -v1, v5, v6
	v_fmac_f32_e32 v5, v7, v4
	s_delay_alu instid0(VALU_DEP_1) | instskip(NEXT) | instid1(VALU_DEP_1)
	v_fma_f32 v1, -v1, v5, v6
	v_div_fmas_f32 v1, v1, v4, v5
	v_cmp_eq_u32_e32 vcc_lo, 0, v186
	v_lshl_or_b32 v4, s2, 7, v186
	s_delay_alu instid0(VALU_DEP_3) | instskip(NEXT) | instid1(VALU_DEP_1)
	v_div_fixup_f32 v1, v1, v3, v2
	v_cndmask_b32_e64 v1, v2, v1, s0
	s_cselect_b32 s0, -1, 0
	s_delay_alu instid0(SALU_CYCLE_1)
	s_and_b32 s0, vcc_lo, s0
	global_store_b32 v4, v1, s[16:17] scale_offset
	s_wait_xcnt 0x0
	s_and_saveexec_b32 s1, s0
	s_cbranch_execz .LBB14_28
; %bb.27:
	v_dual_mov_b32 v1, v3 :: v_dual_mov_b32 v2, s2
	global_store_b64 v2, v[0:1], s[18:19] scale_offset
.LBB14_28:
	s_sendmsg sendmsg(MSG_DEALLOC_VGPRS)
	s_endpgm
	.section	.rodata,"a",@progbits
	.p2align	6, 0x0
	.amdhsa_kernel _ZL18flash_attn_ext_vecILi128ELi1EL9ggml_type6ELS0_6ELb0EEvPKcS2_S2_S2_S2_PKiPfP15HIP_vector_typeIfLj2EEffffjfiS6_IjLj3EEiiiiiiiiiiiliiliiiiil
		.amdhsa_group_segment_fixed_size 1280
		.amdhsa_private_segment_fixed_size 0
		.amdhsa_kernarg_size 464
		.amdhsa_user_sgpr_count 2
		.amdhsa_user_sgpr_dispatch_ptr 0
		.amdhsa_user_sgpr_queue_ptr 0
		.amdhsa_user_sgpr_kernarg_segment_ptr 1
		.amdhsa_user_sgpr_dispatch_id 0
		.amdhsa_user_sgpr_kernarg_preload_length 0
		.amdhsa_user_sgpr_kernarg_preload_offset 0
		.amdhsa_user_sgpr_private_segment_size 0
		.amdhsa_wavefront_size32 1
		.amdhsa_uses_dynamic_stack 0
		.amdhsa_enable_private_segment 0
		.amdhsa_system_sgpr_workgroup_id_x 1
		.amdhsa_system_sgpr_workgroup_id_y 1
		.amdhsa_system_sgpr_workgroup_id_z 1
		.amdhsa_system_sgpr_workgroup_info 0
		.amdhsa_system_vgpr_workitem_id 1
		.amdhsa_next_free_vgpr 220
		.amdhsa_next_free_sgpr 52
		.amdhsa_named_barrier_count 0
		.amdhsa_reserve_vcc 1
		.amdhsa_float_round_mode_32 0
		.amdhsa_float_round_mode_16_64 0
		.amdhsa_float_denorm_mode_32 3
		.amdhsa_float_denorm_mode_16_64 3
		.amdhsa_fp16_overflow 0
		.amdhsa_memory_ordered 1
		.amdhsa_forward_progress 1
		.amdhsa_inst_pref_size 209
		.amdhsa_round_robin_scheduling 0
		.amdhsa_exception_fp_ieee_invalid_op 0
		.amdhsa_exception_fp_denorm_src 0
		.amdhsa_exception_fp_ieee_div_zero 0
		.amdhsa_exception_fp_ieee_overflow 0
		.amdhsa_exception_fp_ieee_underflow 0
		.amdhsa_exception_fp_ieee_inexact 0
		.amdhsa_exception_int_div_zero 0
	.end_amdhsa_kernel
	.section	.text._ZL18flash_attn_ext_vecILi128ELi1EL9ggml_type6ELS0_6ELb0EEvPKcS2_S2_S2_S2_PKiPfP15HIP_vector_typeIfLj2EEffffjfiS6_IjLj3EEiiiiiiiiiiiliiliiiiil,"axG",@progbits,_ZL18flash_attn_ext_vecILi128ELi1EL9ggml_type6ELS0_6ELb0EEvPKcS2_S2_S2_S2_PKiPfP15HIP_vector_typeIfLj2EEffffjfiS6_IjLj3EEiiiiiiiiiiiliiliiiiil,comdat
.Lfunc_end14:
	.size	_ZL18flash_attn_ext_vecILi128ELi1EL9ggml_type6ELS0_6ELb0EEvPKcS2_S2_S2_S2_PKiPfP15HIP_vector_typeIfLj2EEffffjfiS6_IjLj3EEiiiiiiiiiiiliiliiiiil, .Lfunc_end14-_ZL18flash_attn_ext_vecILi128ELi1EL9ggml_type6ELS0_6ELb0EEvPKcS2_S2_S2_S2_PKiPfP15HIP_vector_typeIfLj2EEffffjfiS6_IjLj3EEiiiiiiiiiiiliiliiiiil
                                        ; -- End function
	.set _ZL18flash_attn_ext_vecILi128ELi1EL9ggml_type6ELS0_6ELb0EEvPKcS2_S2_S2_S2_PKiPfP15HIP_vector_typeIfLj2EEffffjfiS6_IjLj3EEiiiiiiiiiiiliiliiiiil.num_vgpr, 220
	.set _ZL18flash_attn_ext_vecILi128ELi1EL9ggml_type6ELS0_6ELb0EEvPKcS2_S2_S2_S2_PKiPfP15HIP_vector_typeIfLj2EEffffjfiS6_IjLj3EEiiiiiiiiiiiliiliiiiil.num_agpr, 0
	.set _ZL18flash_attn_ext_vecILi128ELi1EL9ggml_type6ELS0_6ELb0EEvPKcS2_S2_S2_S2_PKiPfP15HIP_vector_typeIfLj2EEffffjfiS6_IjLj3EEiiiiiiiiiiiliiliiiiil.numbered_sgpr, 52
	.set _ZL18flash_attn_ext_vecILi128ELi1EL9ggml_type6ELS0_6ELb0EEvPKcS2_S2_S2_S2_PKiPfP15HIP_vector_typeIfLj2EEffffjfiS6_IjLj3EEiiiiiiiiiiiliiliiiiil.num_named_barrier, 0
	.set _ZL18flash_attn_ext_vecILi128ELi1EL9ggml_type6ELS0_6ELb0EEvPKcS2_S2_S2_S2_PKiPfP15HIP_vector_typeIfLj2EEffffjfiS6_IjLj3EEiiiiiiiiiiiliiliiiiil.private_seg_size, 0
	.set _ZL18flash_attn_ext_vecILi128ELi1EL9ggml_type6ELS0_6ELb0EEvPKcS2_S2_S2_S2_PKiPfP15HIP_vector_typeIfLj2EEffffjfiS6_IjLj3EEiiiiiiiiiiiliiliiiiil.uses_vcc, 1
	.set _ZL18flash_attn_ext_vecILi128ELi1EL9ggml_type6ELS0_6ELb0EEvPKcS2_S2_S2_S2_PKiPfP15HIP_vector_typeIfLj2EEffffjfiS6_IjLj3EEiiiiiiiiiiiliiliiiiil.uses_flat_scratch, 0
	.set _ZL18flash_attn_ext_vecILi128ELi1EL9ggml_type6ELS0_6ELb0EEvPKcS2_S2_S2_S2_PKiPfP15HIP_vector_typeIfLj2EEffffjfiS6_IjLj3EEiiiiiiiiiiiliiliiiiil.has_dyn_sized_stack, 0
	.set _ZL18flash_attn_ext_vecILi128ELi1EL9ggml_type6ELS0_6ELb0EEvPKcS2_S2_S2_S2_PKiPfP15HIP_vector_typeIfLj2EEffffjfiS6_IjLj3EEiiiiiiiiiiiliiliiiiil.has_recursion, 0
	.set _ZL18flash_attn_ext_vecILi128ELi1EL9ggml_type6ELS0_6ELb0EEvPKcS2_S2_S2_S2_PKiPfP15HIP_vector_typeIfLj2EEffffjfiS6_IjLj3EEiiiiiiiiiiiliiliiiiil.has_indirect_call, 0
	.section	.AMDGPU.csdata,"",@progbits
; Kernel info:
; codeLenInByte = 26732
; TotalNumSgprs: 54
; NumVgprs: 220
; ScratchSize: 0
; MemoryBound: 0
; FloatMode: 240
; IeeeMode: 1
; LDSByteSize: 1280 bytes/workgroup (compile time only)
; SGPRBlocks: 0
; VGPRBlocks: 13
; NumSGPRsForWavesPerEU: 54
; NumVGPRsForWavesPerEU: 220
; NamedBarCnt: 0
; Occupancy: 4
; WaveLimiterHint : 0
; COMPUTE_PGM_RSRC2:SCRATCH_EN: 0
; COMPUTE_PGM_RSRC2:USER_SGPR: 2
; COMPUTE_PGM_RSRC2:TRAP_HANDLER: 0
; COMPUTE_PGM_RSRC2:TGID_X_EN: 1
; COMPUTE_PGM_RSRC2:TGID_Y_EN: 1
; COMPUTE_PGM_RSRC2:TGID_Z_EN: 1
; COMPUTE_PGM_RSRC2:TIDIG_COMP_CNT: 1
	.section	.text._ZL33flash_attn_stream_k_fixup_uniformILi128ELi1ELi1EEvPfPK15HIP_vector_typeIfLj2EEiiiiiiS1_IjLj3EES5_S5_,"axG",@progbits,_ZL33flash_attn_stream_k_fixup_uniformILi128ELi1ELi1EEvPfPK15HIP_vector_typeIfLj2EEiiiiiiS1_IjLj3EES5_S5_,comdat
	.globl	_ZL33flash_attn_stream_k_fixup_uniformILi128ELi1ELi1EEvPfPK15HIP_vector_typeIfLj2EEiiiiiiS1_IjLj3EES5_S5_ ; -- Begin function _ZL33flash_attn_stream_k_fixup_uniformILi128ELi1ELi1EEvPfPK15HIP_vector_typeIfLj2EEiiiiiiS1_IjLj3EES5_S5_
	.p2align	8
	.type	_ZL33flash_attn_stream_k_fixup_uniformILi128ELi1ELi1EEvPfPK15HIP_vector_typeIfLj2EEiiiiiiS1_IjLj3EES5_S5_,@function
_ZL33flash_attn_stream_k_fixup_uniformILi128ELi1ELi1EEvPfPK15HIP_vector_typeIfLj2EEiiiiiiS1_IjLj3EES5_S5_: ; @_ZL33flash_attn_stream_k_fixup_uniformILi128ELi1ELi1EEvPfPK15HIP_vector_typeIfLj2EEiiiiiiS1_IjLj3EES5_S5_
; %bb.0:
	s_load_b256 s[4:11], s[0:1], 0x1c
	s_bfe_u32 s2, ttmp6, 0x40014
	s_lshr_b32 s3, ttmp7, 16
	s_add_co_i32 s2, s2, 1
	s_bfe_u32 s13, ttmp6, 0x40010
	s_mul_i32 s2, s3, s2
	s_bfe_u32 s12, ttmp6, 0x40008
	s_and_b32 s14, ttmp7, 0xffff
	s_add_co_i32 s13, s13, 1
	s_bfe_u32 s15, ttmp6, 0x4000c
	s_add_co_i32 s2, s12, s2
	s_mul_i32 s12, s14, s13
	s_bfe_u32 s13, ttmp6, 0x40004
	s_add_co_i32 s15, s15, 1
	s_add_co_i32 s13, s13, s12
	s_and_b32 s12, ttmp6, 15
	s_mul_i32 s15, ttmp9, s15
	s_getreg_b32 s20, hwreg(HW_REG_IB_STS2, 6, 4)
	s_add_co_i32 s12, s12, s15
	s_load_b128 s[16:19], s[0:1], 0x3c
	s_cmp_eq_u32 s20, 0
	s_cselect_b32 s12, ttmp9, s12
	s_cselect_b32 s13, s14, s13
	s_wait_kmcnt 0x0
	s_mul_hi_u32 s14, s7, s12
	s_cselect_b32 s7, s3, s2
	s_add_co_i32 s2, s12, s14
	s_delay_alu instid0(SALU_CYCLE_1) | instskip(NEXT) | instid1(SALU_CYCLE_1)
	s_lshr_b32 s14, s2, s8
	s_mul_i32 s2, s14, s9
	s_delay_alu instid0(SALU_CYCLE_1) | instskip(SKIP_2) | instid1(SALU_CYCLE_1)
	s_sub_co_i32 s8, s12, s2
	s_load_b64 s[2:3], s[0:1], 0x10
	s_mul_hi_u32 s9, s8, s10
	s_add_co_i32 s9, s8, s9
	s_delay_alu instid0(SALU_CYCLE_1) | instskip(NEXT) | instid1(SALU_CYCLE_1)
	s_lshr_b32 s15, s9, s11
	s_mul_i32 s9, s15, s16
	s_delay_alu instid0(SALU_CYCLE_1) | instskip(NEXT) | instid1(SALU_CYCLE_1)
	s_sub_co_i32 s8, s8, s9
	s_mul_hi_u32 s9, s8, s17
	s_delay_alu instid0(SALU_CYCLE_1) | instskip(NEXT) | instid1(SALU_CYCLE_1)
	s_add_co_i32 s9, s8, s9
	s_lshr_b32 s17, s9, s18
	s_delay_alu instid0(SALU_CYCLE_1) | instskip(NEXT) | instid1(SALU_CYCLE_1)
	s_mul_i32 s9, s17, s19
	s_sub_co_i32 s16, s8, s9
	s_delay_alu instid0(SALU_CYCLE_1) | instskip(SKIP_4) | instid1(SALU_CYCLE_1)
	s_add_co_i32 s16, s16, s13
	s_wait_kmcnt 0x0
	s_cmp_lt_i32 s16, s2
	s_cselect_b32 s8, -1, 0
	s_add_co_i32 s17, s17, s7
	s_cmp_lt_i32 s17, s5
	s_cselect_b32 s9, -1, 0
	s_delay_alu instid0(SALU_CYCLE_1) | instskip(NEXT) | instid1(SALU_CYCLE_1)
	s_and_b32 s8, s8, s9
	s_and_not1_b32 vcc_lo, exec_lo, s8
	s_cbranch_vccnz .LBB15_6
; %bb.1:
	s_load_b128 s[8:11], s[0:1], 0x0
	s_mul_i32 s14, s14, s2
	s_mul_i32 s15, s15, s5
	s_wait_xcnt 0x0
	s_add_co_i32 s0, s16, s14
	s_add_co_i32 s1, s17, s15
	s_mul_i32 s0, s0, s3
	s_mul_i32 s5, s6, s12
	s_add_co_i32 s1, s1, s0
	s_add_co_i32 s7, s13, s7
	v_lshl_or_b32 v4, s1, 7, v0
	s_add_co_i32 s6, s5, s6
	s_delay_alu instid0(SALU_CYCLE_1) | instskip(SKIP_4) | instid1(SALU_CYCLE_1)
	s_add_co_i32 s2, s7, s6
	s_add_co_i32 s12, s6, -2
	s_add_co_i32 s0, s2, -1
	v_ashrrev_i32_e32 v5, 31, v4
	s_ashr_i32 s1, s0, 31
	s_lshl_b64 s[0:1], s[0:1], 3
	s_cmp_lt_i32 s12, s5
	s_wait_kmcnt 0x0
	global_load_b32 v3, v4, s[8:9] scale_offset
	s_add_nc_u64 s[0:1], s[10:11], s[0:1]
	s_load_b32 s3, s[0:1], 0x4
	s_cbranch_scc1 .LBB15_4
; %bb.2:
	s_wait_xcnt 0x0
	s_load_b32 s0, s[0:1], 0x0
	v_lshl_or_b32 v0, s2, 7, v0
	s_lshl_b32 s12, s4, 2
	s_wait_kmcnt 0x0
	v_mov_b32_e32 v2, s3
	s_ashr_i32 s13, s12, 31
	s_add_co_i32 s1, s6, -1
	v_add_nc_u32_e32 v0, 0xffffff00, v0
	s_lshl_b64 s[12:13], s[12:13], 2
	s_add_co_i32 s4, s7, s4
	s_add_nc_u64 s[2:3], s[10:11], s[12:13]
.LBB15_3:                               ; =>This Inner Loop Header: Depth=1
	global_load_b32 v7, v0, s[2:3] scale_offset
	s_add_co_i32 s1, s1, -1
	v_max_num_f32_e64 v1, s0, s0
	s_add_co_i32 s6, s1, s4
	s_delay_alu instid0(SALU_CYCLE_1) | instskip(NEXT) | instid1(SALU_CYCLE_1)
	s_ashr_i32 s7, s6, 31
	s_lshl_b64 s[6:7], s[6:7], 3
	s_delay_alu instid0(VALU_DEP_1)
	v_readfirstlane_b32 s12, v1
	s_add_nc_u64 s[6:7], s[10:11], s[6:7]
	s_load_b64 s[6:7], s[6:7], 0x0
	v_add_nc_u32_e32 v0, 0xffffff80, v0
	s_wait_kmcnt 0x0
	v_max_num_f32_e64 v1, s6, s6
	s_delay_alu instid0(VALU_DEP_1) | instskip(SKIP_1) | instid1(SALU_CYCLE_3)
	v_readfirstlane_b32 s13, v1
	s_max_num_f32 s12, s12, s13
	s_sub_f32 s0, s0, s12
	s_sub_f32 s6, s6, s12
	s_delay_alu instid0(SALU_CYCLE_2) | instskip(NEXT) | instid1(SALU_CYCLE_2)
	s_mul_f32 s13, s0, 0x3fb8aa3b
	s_mul_f32 s14, s6, 0x3fb8aa3b
	s_delay_alu instid0(SALU_CYCLE_2)
	s_xor_b32 s15, s13, 0x80000000
	s_rndne_f32 s16, s13
	s_fmamk_f32 s15, s0, 0x3fb8aa3b, s15
	s_cmp_nlt_f32 s0, 0xc2ce8ed0
	s_rndne_f32 s17, s14
	s_sub_f32 s13, s13, s16
	s_fmamk_f32 s15, s0, 0x32a5705f, s15
	s_cselect_b32 vcc_lo, -1, 0
	s_cmp_ngt_f32 s0, 0x42b17218
	s_delay_alu instid0(SALU_CYCLE_1) | instskip(SKIP_2) | instid1(SALU_CYCLE_1)
	s_add_f32 s13, s13, s15
	s_cvt_i32_f32 s15, s16
	s_sub_f32 s16, s14, s17
	v_s_exp_f32 s13, s13
	v_nop
	s_delay_alu instid0(TRANS32_DEP_1) | instskip(SKIP_1) | instid1(VALU_DEP_1)
	v_ldexp_f32 v1, s13, s15
	s_cvt_i32_f32 s13, s17
	v_cndmask_b32_e32 v1, 0, v1, vcc_lo
	s_cselect_b32 vcc_lo, -1, 0
	s_cmp_ge_f32 s0, 0xc1a00000
	s_delay_alu instid0(VALU_DEP_1)
	v_cndmask_b32_e32 v1, 0x7f800000, v1, vcc_lo
	s_cselect_b32 vcc_lo, -1, 0
	s_xor_b32 s0, s14, 0x80000000
	s_cmp_nlt_f32 s6, 0xc2ce8ed0
	s_fmamk_f32 s0, s6, 0x3fb8aa3b, s0
	v_cndmask_b32_e32 v10, 0, v1, vcc_lo
	s_delay_alu instid0(SALU_CYCLE_2) | instskip(NEXT) | instid1(SALU_CYCLE_3)
	s_fmamk_f32 s0, s6, 0x32a5705f, s0
	s_add_f32 s0, s16, s0
	s_delay_alu instid0(SALU_CYCLE_3) | instskip(SKIP_1) | instid1(TRANS32_DEP_1)
	v_s_exp_f32 s0, s0
	v_nop
	v_ldexp_f32 v6, s0, s13
	s_cselect_b32 s0, -1, 0
	s_cmp_ngt_f32 s6, 0x42b17218
	s_delay_alu instid0(VALU_DEP_1) | instskip(SKIP_2) | instid1(VALU_DEP_1)
	v_cndmask_b32_e64 v6, 0, v6, s0
	s_cselect_b32 s0, -1, 0
	s_cmp_ge_f32 s6, 0xc1a00000
	v_cndmask_b32_e64 v8, 0x7f800000, v6, s0
	s_cselect_b32 s0, -1, 0
	v_mov_b32_e32 v6, s7
	s_cmp_le_i32 s1, s5
	s_delay_alu instid0(VALU_DEP_2) | instskip(SKIP_2) | instid1(VALU_DEP_1)
	v_cndmask_b32_e64 v8, 0, v8, s0
	s_mov_b32 s0, s12
	s_wait_loadcnt 0x0
	v_pk_mul_f32 v[6:7], v[6:7], v[8:9] op_sel_hi:[1,0]
	s_delay_alu instid0(VALU_DEP_1)
	v_pk_fma_f32 v[2:3], v[2:3], v[10:11], v[6:7] op_sel_hi:[1,0,1]
	s_cbranch_scc0 .LBB15_3
	s_branch .LBB15_5
.LBB15_4:
	s_wait_kmcnt 0x0
	v_mov_b32_e32 v2, s3
.LBB15_5:
	v_lshl_add_u64 v[0:1], v[4:5], 2, s[8:9]
	s_wait_loadcnt 0x0
	s_delay_alu instid0(VALU_DEP_2) | instskip(NEXT) | instid1(VALU_DEP_1)
	v_div_scale_f32 v4, null, v2, v2, v3
	v_rcp_f32_e32 v5, v4
	v_nop
	s_delay_alu instid0(TRANS32_DEP_1) | instskip(NEXT) | instid1(VALU_DEP_1)
	v_fma_f32 v6, -v4, v5, 1.0
	v_fmac_f32_e32 v5, v6, v5
	v_div_scale_f32 v6, vcc_lo, v3, v2, v3
	s_delay_alu instid0(VALU_DEP_1) | instskip(NEXT) | instid1(VALU_DEP_1)
	v_mul_f32_e32 v7, v6, v5
	v_fma_f32 v8, -v4, v7, v6
	s_delay_alu instid0(VALU_DEP_1) | instskip(NEXT) | instid1(VALU_DEP_1)
	v_fmac_f32_e32 v7, v8, v5
	v_fma_f32 v4, -v4, v7, v6
	s_delay_alu instid0(VALU_DEP_1) | instskip(NEXT) | instid1(VALU_DEP_1)
	v_div_fmas_f32 v4, v4, v5, v7
	v_div_fixup_f32 v2, v4, v2, v3
	global_store_b32 v[0:1], v2, off
.LBB15_6:
	s_endpgm
	.section	.rodata,"a",@progbits
	.p2align	6, 0x0
	.amdhsa_kernel _ZL33flash_attn_stream_k_fixup_uniformILi128ELi1ELi1EEvPfPK15HIP_vector_typeIfLj2EEiiiiiiS1_IjLj3EES5_S5_
		.amdhsa_group_segment_fixed_size 0
		.amdhsa_private_segment_fixed_size 0
		.amdhsa_kernarg_size 76
		.amdhsa_user_sgpr_count 2
		.amdhsa_user_sgpr_dispatch_ptr 0
		.amdhsa_user_sgpr_queue_ptr 0
		.amdhsa_user_sgpr_kernarg_segment_ptr 1
		.amdhsa_user_sgpr_dispatch_id 0
		.amdhsa_user_sgpr_kernarg_preload_length 0
		.amdhsa_user_sgpr_kernarg_preload_offset 0
		.amdhsa_user_sgpr_private_segment_size 0
		.amdhsa_wavefront_size32 1
		.amdhsa_uses_dynamic_stack 0
		.amdhsa_enable_private_segment 0
		.amdhsa_system_sgpr_workgroup_id_x 1
		.amdhsa_system_sgpr_workgroup_id_y 1
		.amdhsa_system_sgpr_workgroup_id_z 1
		.amdhsa_system_sgpr_workgroup_info 0
		.amdhsa_system_vgpr_workitem_id 0
		.amdhsa_next_free_vgpr 12
		.amdhsa_next_free_sgpr 21
		.amdhsa_named_barrier_count 0
		.amdhsa_reserve_vcc 1
		.amdhsa_float_round_mode_32 0
		.amdhsa_float_round_mode_16_64 0
		.amdhsa_float_denorm_mode_32 3
		.amdhsa_float_denorm_mode_16_64 3
		.amdhsa_fp16_overflow 0
		.amdhsa_memory_ordered 1
		.amdhsa_forward_progress 1
		.amdhsa_inst_pref_size 8
		.amdhsa_round_robin_scheduling 0
		.amdhsa_exception_fp_ieee_invalid_op 0
		.amdhsa_exception_fp_denorm_src 0
		.amdhsa_exception_fp_ieee_div_zero 0
		.amdhsa_exception_fp_ieee_overflow 0
		.amdhsa_exception_fp_ieee_underflow 0
		.amdhsa_exception_fp_ieee_inexact 0
		.amdhsa_exception_int_div_zero 0
	.end_amdhsa_kernel
	.section	.text._ZL33flash_attn_stream_k_fixup_uniformILi128ELi1ELi1EEvPfPK15HIP_vector_typeIfLj2EEiiiiiiS1_IjLj3EES5_S5_,"axG",@progbits,_ZL33flash_attn_stream_k_fixup_uniformILi128ELi1ELi1EEvPfPK15HIP_vector_typeIfLj2EEiiiiiiS1_IjLj3EES5_S5_,comdat
.Lfunc_end15:
	.size	_ZL33flash_attn_stream_k_fixup_uniformILi128ELi1ELi1EEvPfPK15HIP_vector_typeIfLj2EEiiiiiiS1_IjLj3EES5_S5_, .Lfunc_end15-_ZL33flash_attn_stream_k_fixup_uniformILi128ELi1ELi1EEvPfPK15HIP_vector_typeIfLj2EEiiiiiiS1_IjLj3EES5_S5_
                                        ; -- End function
	.set _ZL33flash_attn_stream_k_fixup_uniformILi128ELi1ELi1EEvPfPK15HIP_vector_typeIfLj2EEiiiiiiS1_IjLj3EES5_S5_.num_vgpr, 12
	.set _ZL33flash_attn_stream_k_fixup_uniformILi128ELi1ELi1EEvPfPK15HIP_vector_typeIfLj2EEiiiiiiS1_IjLj3EES5_S5_.num_agpr, 0
	.set _ZL33flash_attn_stream_k_fixup_uniformILi128ELi1ELi1EEvPfPK15HIP_vector_typeIfLj2EEiiiiiiS1_IjLj3EES5_S5_.numbered_sgpr, 21
	.set _ZL33flash_attn_stream_k_fixup_uniformILi128ELi1ELi1EEvPfPK15HIP_vector_typeIfLj2EEiiiiiiS1_IjLj3EES5_S5_.num_named_barrier, 0
	.set _ZL33flash_attn_stream_k_fixup_uniformILi128ELi1ELi1EEvPfPK15HIP_vector_typeIfLj2EEiiiiiiS1_IjLj3EES5_S5_.private_seg_size, 0
	.set _ZL33flash_attn_stream_k_fixup_uniformILi128ELi1ELi1EEvPfPK15HIP_vector_typeIfLj2EEiiiiiiS1_IjLj3EES5_S5_.uses_vcc, 1
	.set _ZL33flash_attn_stream_k_fixup_uniformILi128ELi1ELi1EEvPfPK15HIP_vector_typeIfLj2EEiiiiiiS1_IjLj3EES5_S5_.uses_flat_scratch, 0
	.set _ZL33flash_attn_stream_k_fixup_uniformILi128ELi1ELi1EEvPfPK15HIP_vector_typeIfLj2EEiiiiiiS1_IjLj3EES5_S5_.has_dyn_sized_stack, 0
	.set _ZL33flash_attn_stream_k_fixup_uniformILi128ELi1ELi1EEvPfPK15HIP_vector_typeIfLj2EEiiiiiiS1_IjLj3EES5_S5_.has_recursion, 0
	.set _ZL33flash_attn_stream_k_fixup_uniformILi128ELi1ELi1EEvPfPK15HIP_vector_typeIfLj2EEiiiiiiS1_IjLj3EES5_S5_.has_indirect_call, 0
	.section	.AMDGPU.csdata,"",@progbits
; Kernel info:
; codeLenInByte = 1016
; TotalNumSgprs: 23
; NumVgprs: 12
; ScratchSize: 0
; MemoryBound: 0
; FloatMode: 240
; IeeeMode: 1
; LDSByteSize: 0 bytes/workgroup (compile time only)
; SGPRBlocks: 0
; VGPRBlocks: 0
; NumSGPRsForWavesPerEU: 23
; NumVGPRsForWavesPerEU: 12
; NamedBarCnt: 0
; Occupancy: 16
; WaveLimiterHint : 0
; COMPUTE_PGM_RSRC2:SCRATCH_EN: 0
; COMPUTE_PGM_RSRC2:USER_SGPR: 2
; COMPUTE_PGM_RSRC2:TRAP_HANDLER: 0
; COMPUTE_PGM_RSRC2:TGID_X_EN: 1
; COMPUTE_PGM_RSRC2:TGID_Y_EN: 1
; COMPUTE_PGM_RSRC2:TGID_Z_EN: 1
; COMPUTE_PGM_RSRC2:TIDIG_COMP_CNT: 0
	.section	.text._ZL33flash_attn_stream_k_fixup_generalILi128ELi1ELi1EEvPfPK15HIP_vector_typeIfLj2EEiiiiS1_IjLj3EES5_S5_S5_,"axG",@progbits,_ZL33flash_attn_stream_k_fixup_generalILi128ELi1ELi1EEvPfPK15HIP_vector_typeIfLj2EEiiiiS1_IjLj3EES5_S5_S5_,comdat
	.globl	_ZL33flash_attn_stream_k_fixup_generalILi128ELi1ELi1EEvPfPK15HIP_vector_typeIfLj2EEiiiiS1_IjLj3EES5_S5_S5_ ; -- Begin function _ZL33flash_attn_stream_k_fixup_generalILi128ELi1ELi1EEvPfPK15HIP_vector_typeIfLj2EEiiiiS1_IjLj3EES5_S5_S5_
	.p2align	8
	.type	_ZL33flash_attn_stream_k_fixup_generalILi128ELi1ELi1EEvPfPK15HIP_vector_typeIfLj2EEiiiiS1_IjLj3EES5_S5_S5_,@function
_ZL33flash_attn_stream_k_fixup_generalILi128ELi1ELi1EEvPfPK15HIP_vector_typeIfLj2EEiiiiS1_IjLj3EES5_S5_S5_: ; @_ZL33flash_attn_stream_k_fixup_generalILi128ELi1ELi1EEvPfPK15HIP_vector_typeIfLj2EEiiiiS1_IjLj3EES5_S5_S5_
; %bb.0:
	s_clause 0x1
	s_load_b128 s[4:7], s[0:1], 0x10
	s_load_b32 s16, s[0:1], 0x50
	s_bfe_u32 s2, ttmp6, 0x4000c
	s_and_b32 s3, ttmp6, 15
	s_add_co_i32 s2, s2, 1
	s_getreg_b32 s15, hwreg(HW_REG_IB_STS2, 6, 4)
	s_mul_i32 s2, ttmp9, s2
	s_mov_b32 s17, 0
	s_add_co_i32 s3, s3, s2
	s_cmp_eq_u32 s15, 0
	s_cselect_b32 s2, ttmp9, s3
	s_delay_alu instid0(SALU_CYCLE_1) | instskip(SKIP_3) | instid1(SALU_CYCLE_1)
	s_ashr_i32 s3, s2, 31
	s_wait_kmcnt 0x0
	s_ashr_i32 s19, s7, 31
	s_mov_b32 s18, s7
	s_mul_u64 s[8:9], s[18:19], s[2:3]
	s_delay_alu instid0(SALU_CYCLE_1) | instskip(NEXT) | instid1(SALU_CYCLE_1)
	s_and_b64 s[10:11], s[8:9], 0xffffffff00000000
	s_cmp_lg_u64 s[10:11], 0
	s_cbranch_scc0 .LBB16_21
; %bb.1:
	s_add_nc_u64 s[10:11], s[16:17], 0
	s_mov_b32 s23, s17
	s_xor_b64 s[10:11], s[10:11], 0
	s_mov_b32 s27, s17
	s_cvt_f32_u32 s3, s10
	s_cvt_f32_u32 s7, s11
	s_sub_nc_u64 s[20:21], 0, s[10:11]
	s_delay_alu instid0(SALU_CYCLE_2) | instskip(NEXT) | instid1(SALU_CYCLE_3)
	s_fmamk_f32 s3, s7, 0x4f800000, s3
	v_s_rcp_f32 s3, s3
	s_delay_alu instid0(TRANS32_DEP_1) | instskip(NEXT) | instid1(SALU_CYCLE_3)
	s_mul_f32 s3, s3, 0x5f7ffffc
	s_mul_f32 s7, s3, 0x2f800000
	s_delay_alu instid0(SALU_CYCLE_3) | instskip(NEXT) | instid1(SALU_CYCLE_3)
	s_trunc_f32 s7, s7
	s_fmamk_f32 s3, s7, 0xcf800000, s3
	s_cvt_u32_f32 s13, s7
	s_delay_alu instid0(SALU_CYCLE_2) | instskip(NEXT) | instid1(SALU_CYCLE_3)
	s_cvt_u32_f32 s12, s3
	s_mul_u64 s[24:25], s[20:21], s[12:13]
	s_delay_alu instid0(SALU_CYCLE_1)
	s_mul_hi_u32 s29, s12, s25
	s_mul_i32 s28, s12, s25
	s_mul_hi_u32 s22, s12, s24
	s_mul_i32 s7, s13, s24
	s_add_nc_u64 s[22:23], s[22:23], s[28:29]
	s_mul_hi_u32 s3, s13, s24
	s_mul_hi_u32 s14, s13, s25
	s_add_co_u32 s7, s22, s7
	s_add_co_ci_u32 s26, s23, s3
	s_mul_i32 s24, s13, s25
	s_add_co_ci_u32 s25, s14, 0
	s_delay_alu instid0(SALU_CYCLE_1) | instskip(SKIP_3) | instid1(SALU_CYCLE_1)
	s_add_nc_u64 s[22:23], s[26:27], s[24:25]
	s_mov_b32 s25, s17
	s_add_co_u32 s12, s12, s22
	s_cselect_b32 s3, -1, 0
	s_cmp_lg_u32 s3, 0
	s_add_co_ci_u32 s13, s13, s23
	s_mov_b32 s23, s17
	s_mul_u64 s[20:21], s[20:21], s[12:13]
	s_delay_alu instid0(SALU_CYCLE_1)
	s_mul_hi_u32 s27, s12, s21
	s_mul_i32 s26, s12, s21
	s_mul_hi_u32 s22, s12, s20
	s_mul_i32 s7, s13, s20
	s_add_nc_u64 s[22:23], s[22:23], s[26:27]
	s_mul_hi_u32 s3, s13, s20
	s_mul_hi_u32 s14, s13, s21
	s_add_co_u32 s7, s22, s7
	s_add_co_ci_u32 s24, s23, s3
	s_mul_i32 s20, s13, s21
	s_add_co_ci_u32 s21, s14, 0
	s_mov_b32 s23, s17
	s_add_nc_u64 s[20:21], s[24:25], s[20:21]
	s_delay_alu instid0(SALU_CYCLE_1) | instskip(SKIP_1) | instid1(SALU_CYCLE_1)
	s_add_co_u32 s3, s12, s20
	s_cselect_b32 s7, -1, 0
	s_cmp_lg_u32 s7, 0
	s_add_co_ci_u32 s7, s13, s21
	s_ashr_i32 s12, s9, 31
	s_delay_alu instid0(SALU_CYCLE_1) | instskip(NEXT) | instid1(SALU_CYCLE_1)
	s_mov_b32 s13, s12
	s_add_nc_u64 s[20:21], s[8:9], s[12:13]
	s_delay_alu instid0(SALU_CYCLE_1) | instskip(NEXT) | instid1(SALU_CYCLE_1)
	s_xor_b64 s[20:21], s[20:21], s[12:13]
	s_mul_hi_u32 s27, s20, s7
	s_mul_i32 s26, s20, s7
	s_mul_hi_u32 s22, s20, s3
	s_mul_hi_u32 s14, s21, s3
	s_mul_i32 s3, s21, s3
	s_add_nc_u64 s[22:23], s[22:23], s[26:27]
	s_mul_hi_u32 s9, s21, s7
	s_add_co_u32 s3, s22, s3
	s_add_co_ci_u32 s24, s23, s14
	s_mul_i32 s26, s21, s7
	s_add_co_ci_u32 s27, s9, 0
	s_delay_alu instid0(SALU_CYCLE_1) | instskip(NEXT) | instid1(SALU_CYCLE_1)
	s_add_nc_u64 s[22:23], s[24:25], s[26:27]
	s_and_b64 s[24:25], s[22:23], 0xffffffff00000000
	s_delay_alu instid0(SALU_CYCLE_1) | instskip(NEXT) | instid1(SALU_CYCLE_1)
	s_or_b32 s24, s24, s22
	s_mul_u64 s[22:23], s[10:11], s[24:25]
	s_add_nc_u64 s[26:27], s[24:25], 1
	s_sub_co_u32 s3, s20, s22
	s_cselect_b32 s7, -1, 0
	s_sub_co_i32 s9, s21, s23
	s_cmp_lg_u32 s7, 0
	s_add_nc_u64 s[28:29], s[24:25], 2
	s_sub_co_ci_u32 s9, s9, s11
	s_sub_co_u32 s14, s3, s10
	s_cselect_b32 s20, -1, 0
	s_delay_alu instid0(SALU_CYCLE_1) | instskip(SKIP_1) | instid1(SALU_CYCLE_1)
	s_cmp_lg_u32 s20, 0
	s_sub_co_ci_u32 s9, s9, 0
	s_cmp_ge_u32 s9, s11
	s_cselect_b32 s20, -1, 0
	s_cmp_ge_u32 s14, s10
	s_cselect_b32 s14, -1, 0
	s_cmp_eq_u32 s9, s11
	s_cselect_b32 s9, s14, s20
	s_delay_alu instid0(SALU_CYCLE_1) | instskip(SKIP_4) | instid1(SALU_CYCLE_1)
	s_cmp_lg_u32 s9, 0
	s_cselect_b32 s9, s28, s26
	s_cselect_b32 s14, s29, s27
	s_cmp_lg_u32 s7, 0
	s_sub_co_ci_u32 s7, s21, s23
	s_cmp_ge_u32 s7, s11
	s_cselect_b32 s20, -1, 0
	s_cmp_ge_u32 s3, s10
	s_cselect_b32 s3, -1, 0
	s_cmp_eq_u32 s7, s11
	s_cselect_b32 s3, s3, s20
	s_delay_alu instid0(SALU_CYCLE_1) | instskip(SKIP_4) | instid1(SALU_CYCLE_1)
	s_cmp_lg_u32 s3, 0
	s_mov_b32 s3, s17
	s_cselect_b32 s11, s14, s25
	s_cselect_b32 s10, s9, s24
	s_xor_b64 s[12:13], s[12:13], 0
	s_xor_b64 s[10:11], s[10:11], s[12:13]
	s_delay_alu instid0(SALU_CYCLE_1)
	s_sub_nc_u64 s[20:21], s[10:11], s[12:13]
	s_and_not1_b32 vcc_lo, exec_lo, s3
	s_cbranch_vccnz .LBB16_3
.LBB16_2:
	v_cvt_f32_u32_e32 v1, s16
	s_sub_co_i32 s7, 0, s16
	s_mov_b32 s21, 0
	s_delay_alu instid0(VALU_DEP_1) | instskip(SKIP_1) | instid1(TRANS32_DEP_1)
	v_rcp_iflag_f32_e32 v1, v1
	v_nop
	v_mul_f32_e32 v1, 0x4f7ffffe, v1
	s_delay_alu instid0(VALU_DEP_1) | instskip(NEXT) | instid1(VALU_DEP_1)
	v_cvt_u32_f32_e32 v1, v1
	v_readfirstlane_b32 s3, v1
	s_mul_i32 s7, s7, s3
	s_delay_alu instid0(SALU_CYCLE_1) | instskip(NEXT) | instid1(SALU_CYCLE_1)
	s_mul_hi_u32 s7, s3, s7
	s_add_co_i32 s3, s3, s7
	s_delay_alu instid0(SALU_CYCLE_1) | instskip(NEXT) | instid1(SALU_CYCLE_1)
	s_mul_hi_u32 s3, s8, s3
	s_mul_i32 s7, s3, s16
	s_delay_alu instid0(SALU_CYCLE_1)
	s_sub_co_i32 s7, s8, s7
	s_add_co_i32 s8, s3, 1
	s_sub_co_i32 s9, s7, s16
	s_cmp_ge_u32 s7, s16
	s_cselect_b32 s3, s8, s3
	s_cselect_b32 s7, s9, s7
	s_add_co_i32 s8, s3, 1
	s_cmp_ge_u32 s7, s16
	s_cselect_b32 s20, s8, s3
.LBB16_3:
	s_add_co_i32 s8, s2, 1
	s_delay_alu instid0(SALU_CYCLE_1) | instskip(NEXT) | instid1(SALU_CYCLE_1)
	s_ashr_i32 s9, s8, 31
	s_mul_u64 s[8:9], s[18:19], s[8:9]
	s_delay_alu instid0(SALU_CYCLE_1) | instskip(NEXT) | instid1(SALU_CYCLE_1)
	s_and_b64 s[10:11], s[8:9], 0xffffffff00000000
	s_cmp_lg_u64 s[10:11], 0
	s_cbranch_scc0 .LBB16_22
; %bb.4:
	s_add_nc_u64 s[10:11], s[16:17], 0
	s_delay_alu instid0(SALU_CYCLE_1) | instskip(SKIP_4) | instid1(SALU_CYCLE_2)
	s_xor_b64 s[12:13], s[10:11], 0
	s_mov_b32 s11, 0
	s_cvt_f32_u32 s3, s12
	s_cvt_f32_u32 s7, s13
	s_sub_nc_u64 s[24:25], 0, s[12:13]
	s_fmamk_f32 s3, s7, 0x4f800000, s3
	s_delay_alu instid0(SALU_CYCLE_3) | instskip(NEXT) | instid1(TRANS32_DEP_1)
	v_s_rcp_f32 s3, s3
	s_mul_f32 s3, s3, 0x5f7ffffc
	s_delay_alu instid0(SALU_CYCLE_3) | instskip(NEXT) | instid1(SALU_CYCLE_3)
	s_mul_f32 s7, s3, 0x2f800000
	s_trunc_f32 s7, s7
	s_delay_alu instid0(SALU_CYCLE_3) | instskip(SKIP_1) | instid1(SALU_CYCLE_2)
	s_fmamk_f32 s3, s7, 0xcf800000, s3
	s_cvt_u32_f32 s23, s7
	s_cvt_u32_f32 s22, s3
	s_delay_alu instid0(SALU_CYCLE_3) | instskip(NEXT) | instid1(SALU_CYCLE_1)
	s_mul_u64 s[26:27], s[24:25], s[22:23]
	s_mul_hi_u32 s29, s22, s27
	s_mul_i32 s28, s22, s27
	s_mul_hi_u32 s10, s22, s26
	s_mul_i32 s7, s23, s26
	s_add_nc_u64 s[28:29], s[10:11], s[28:29]
	s_mul_hi_u32 s3, s23, s26
	s_mul_hi_u32 s14, s23, s27
	s_add_co_u32 s7, s28, s7
	s_add_co_ci_u32 s10, s29, s3
	s_mul_i32 s26, s23, s27
	s_add_co_ci_u32 s27, s14, 0
	s_delay_alu instid0(SALU_CYCLE_1) | instskip(NEXT) | instid1(SALU_CYCLE_1)
	s_add_nc_u64 s[26:27], s[10:11], s[26:27]
	s_add_co_u32 s22, s22, s26
	s_cselect_b32 s3, -1, 0
	s_delay_alu instid0(SALU_CYCLE_1) | instskip(SKIP_1) | instid1(SALU_CYCLE_1)
	s_cmp_lg_u32 s3, 0
	s_add_co_ci_u32 s23, s23, s27
	s_mul_u64 s[24:25], s[24:25], s[22:23]
	s_delay_alu instid0(SALU_CYCLE_1)
	s_mul_hi_u32 s27, s22, s25
	s_mul_i32 s26, s22, s25
	s_mul_hi_u32 s10, s22, s24
	s_mul_i32 s7, s23, s24
	s_add_nc_u64 s[26:27], s[10:11], s[26:27]
	s_mul_hi_u32 s3, s23, s24
	s_mul_hi_u32 s14, s23, s25
	s_add_co_u32 s7, s26, s7
	s_add_co_ci_u32 s10, s27, s3
	s_mul_i32 s24, s23, s25
	s_add_co_ci_u32 s25, s14, 0
	s_delay_alu instid0(SALU_CYCLE_1) | instskip(NEXT) | instid1(SALU_CYCLE_1)
	s_add_nc_u64 s[24:25], s[10:11], s[24:25]
	s_add_co_u32 s3, s22, s24
	s_cselect_b32 s7, -1, 0
	s_delay_alu instid0(SALU_CYCLE_1) | instskip(SKIP_2) | instid1(SALU_CYCLE_1)
	s_cmp_lg_u32 s7, 0
	s_add_co_ci_u32 s7, s23, s25
	s_ashr_i32 s22, s9, 31
	s_mov_b32 s23, s22
	s_delay_alu instid0(SALU_CYCLE_1) | instskip(NEXT) | instid1(SALU_CYCLE_1)
	s_add_nc_u64 s[24:25], s[8:9], s[22:23]
	s_xor_b64 s[24:25], s[24:25], s[22:23]
	s_delay_alu instid0(SALU_CYCLE_1)
	s_mul_hi_u32 s27, s24, s7
	s_mul_i32 s26, s24, s7
	s_mul_hi_u32 s10, s24, s3
	s_mul_hi_u32 s14, s25, s3
	s_mul_i32 s3, s25, s3
	s_add_nc_u64 s[26:27], s[10:11], s[26:27]
	s_mul_hi_u32 s9, s25, s7
	s_add_co_u32 s3, s26, s3
	s_add_co_ci_u32 s10, s27, s14
	s_mul_i32 s28, s25, s7
	s_add_co_ci_u32 s29, s9, 0
	s_delay_alu instid0(SALU_CYCLE_1) | instskip(NEXT) | instid1(SALU_CYCLE_1)
	s_add_nc_u64 s[26:27], s[10:11], s[28:29]
	s_and_b64 s[28:29], s[26:27], 0xffffffff00000000
	s_delay_alu instid0(SALU_CYCLE_1) | instskip(NEXT) | instid1(SALU_CYCLE_1)
	s_or_b32 s28, s28, s26
	s_mul_u64 s[26:27], s[12:13], s[28:29]
	s_add_nc_u64 s[30:31], s[28:29], 1
	s_sub_co_u32 s3, s24, s26
	s_cselect_b32 s7, -1, 0
	s_sub_co_i32 s9, s25, s27
	s_cmp_lg_u32 s7, 0
	s_add_nc_u64 s[34:35], s[28:29], 2
	s_sub_co_ci_u32 s9, s9, s13
	s_sub_co_u32 s10, s3, s12
	s_cselect_b32 s14, -1, 0
	s_delay_alu instid0(SALU_CYCLE_1) | instskip(SKIP_1) | instid1(SALU_CYCLE_1)
	s_cmp_lg_u32 s14, 0
	s_sub_co_ci_u32 s9, s9, 0
	s_cmp_ge_u32 s9, s13
	s_cselect_b32 s14, -1, 0
	s_cmp_ge_u32 s10, s12
	s_cselect_b32 s10, -1, 0
	s_cmp_eq_u32 s9, s13
	s_cselect_b32 s9, s10, s14
	s_delay_alu instid0(SALU_CYCLE_1) | instskip(SKIP_4) | instid1(SALU_CYCLE_1)
	s_cmp_lg_u32 s9, 0
	s_cselect_b32 s9, s34, s30
	s_cselect_b32 s10, s35, s31
	s_cmp_lg_u32 s7, 0
	s_sub_co_ci_u32 s7, s25, s27
	s_cmp_ge_u32 s7, s13
	s_cselect_b32 s14, -1, 0
	s_cmp_ge_u32 s3, s12
	s_cselect_b32 s3, -1, 0
	s_cmp_eq_u32 s7, s13
	s_cselect_b32 s3, s3, s14
	s_delay_alu instid0(SALU_CYCLE_1) | instskip(SKIP_3) | instid1(SALU_CYCLE_1)
	s_cmp_lg_u32 s3, 0
	s_cselect_b32 s13, s10, s29
	s_cselect_b32 s12, s9, s28
	s_xor_b64 s[22:23], s[22:23], 0
	s_xor_b64 s[12:13], s[12:13], s[22:23]
	s_delay_alu instid0(SALU_CYCLE_1)
	s_sub_nc_u64 s[24:25], s[12:13], s[22:23]
	s_load_b96 s[12:14], s[0:1], 0x44
	s_cbranch_execnz .LBB16_6
.LBB16_5:
	v_cvt_f32_u32_e32 v1, s16
	s_sub_co_i32 s7, 0, s16
	s_delay_alu instid0(VALU_DEP_1) | instskip(SKIP_1) | instid1(TRANS32_DEP_1)
	v_rcp_iflag_f32_e32 v1, v1
	v_nop
	v_mul_f32_e32 v1, 0x4f7ffffe, v1
	s_delay_alu instid0(VALU_DEP_1) | instskip(NEXT) | instid1(VALU_DEP_1)
	v_cvt_u32_f32_e32 v1, v1
	v_readfirstlane_b32 s3, v1
	s_mul_i32 s7, s7, s3
	s_delay_alu instid0(SALU_CYCLE_1) | instskip(NEXT) | instid1(SALU_CYCLE_1)
	s_mul_hi_u32 s7, s3, s7
	s_add_co_i32 s3, s3, s7
	s_delay_alu instid0(SALU_CYCLE_1) | instskip(NEXT) | instid1(SALU_CYCLE_1)
	s_mul_hi_u32 s3, s8, s3
	s_mul_i32 s7, s3, s16
	s_delay_alu instid0(SALU_CYCLE_1)
	s_sub_co_i32 s7, s8, s7
	s_add_co_i32 s8, s3, 1
	s_sub_co_i32 s9, s7, s16
	s_cmp_ge_u32 s7, s16
	s_cselect_b32 s3, s8, s3
	s_cselect_b32 s7, s9, s7
	s_add_co_i32 s8, s3, 1
	s_cmp_ge_u32 s7, s16
	s_cselect_b32 s24, s8, s3
.LBB16_6:
	s_delay_alu instid0(SALU_CYCLE_1)
	s_cmp_eq_u32 s20, s24
	s_mov_b64 s[8:9], 0xffffffff
	s_cselect_b32 s3, -1, 0
	s_and_b64 s[8:9], s[20:21], s[8:9]
	s_mov_b32 s23, 0
	s_wait_kmcnt 0x0
	s_mov_b32 s22, s12
	s_mov_b32 s25, s23
	s_mul_u64 s[10:11], s[8:9], s[22:23]
	s_delay_alu instid0(SALU_CYCLE_1) | instskip(SKIP_2) | instid1(SALU_CYCLE_1)
	s_add_co_i32 s7, s11, s20
	s_mul_u64 s[10:11], s[24:25], s[22:23]
	s_lshr_b32 s12, s7, s13
	s_mul_i32 s7, s12, s14
	s_delay_alu instid0(SALU_CYCLE_1) | instskip(SKIP_2) | instid1(SALU_CYCLE_1)
	s_cmp_eq_u32 s7, s20
	s_cselect_b32 s7, -1, 0
	s_add_co_i32 s10, s11, s24
	s_lshr_b32 s10, s10, s13
	s_delay_alu instid0(SALU_CYCLE_1)
	s_cmp_eq_u32 s12, s10
	s_mul_i32 s10, s10, s14
	s_cselect_b32 s11, -1, 0
	s_cmp_lg_u32 s10, s24
	s_cselect_b32 s10, -1, 0
	s_or_b32 s3, s3, s7
	s_and_b32 s10, s11, s10
	s_delay_alu instid0(SALU_CYCLE_1) | instskip(NEXT) | instid1(SALU_CYCLE_1)
	s_or_b32 s3, s3, s10
	s_and_b32 vcc_lo, exec_lo, s3
	s_cbranch_vccnz .LBB16_24
; %bb.7:
	s_load_b256 s[24:31], s[0:1], 0x20
	s_bfe_u32 s7, ttmp6, 0x40014
	s_bfe_u32 s33, ttmp6, 0x40010
	s_lshr_b32 s3, ttmp7, 16
	s_add_co_i32 s7, s7, 1
	s_and_b32 s21, ttmp7, 0xffff
	s_add_co_i32 s33, s33, 1
	s_bfe_u32 s10, ttmp6, 0x40008
	s_mul_i32 s7, s3, s7
	s_bfe_u32 s34, ttmp6, 0x40004
	s_mul_i32 s33, s21, s33
	s_mov_b32 s11, s23
	s_add_co_i32 s7, s10, s7
	s_add_co_i32 s34, s34, s33
	s_cmp_eq_u32 s15, 0
	s_cselect_b32 s15, s21, s34
	s_cselect_b32 s3, s3, s7
	s_wait_kmcnt 0x0
	s_mov_b32 s10, s24
	s_delay_alu instid0(SALU_CYCLE_1) | instskip(SKIP_2) | instid1(SALU_CYCLE_1)
	s_mul_u64 s[8:9], s[8:9], s[10:11]
	s_load_b32 s8, s[0:1], 0x40
	s_add_co_i32 s7, s9, s20
	s_lshr_b32 s7, s7, s25
	s_delay_alu instid0(SALU_CYCLE_1) | instskip(NEXT) | instid1(SALU_CYCLE_1)
	s_mul_i32 s9, s7, s26
	s_sub_co_i32 s9, s20, s9
	s_delay_alu instid0(SALU_CYCLE_1) | instskip(NEXT) | instid1(SALU_CYCLE_1)
	s_mul_hi_u32 s10, s9, s27
	s_add_co_i32 s10, s9, s10
	s_delay_alu instid0(SALU_CYCLE_1) | instskip(NEXT) | instid1(SALU_CYCLE_1)
	s_lshr_b32 s21, s10, s28
	s_mul_i32 s10, s21, s29
	s_delay_alu instid0(SALU_CYCLE_1) | instskip(NEXT) | instid1(SALU_CYCLE_1)
	s_sub_co_i32 s10, s9, s10
	s_mul_hi_u32 s9, s10, s30
	s_delay_alu instid0(SALU_CYCLE_1) | instskip(NEXT) | instid1(SALU_CYCLE_1)
	s_add_co_i32 s9, s10, s9
	s_lshr_b32 s25, s9, s31
	s_mov_b32 s9, s23
	s_wait_kmcnt 0x0
	s_mul_i32 s8, s25, s8
	s_delay_alu instid0(SALU_CYCLE_1) | instskip(NEXT) | instid1(SALU_CYCLE_1)
	s_sub_co_i32 s8, s10, s8
	s_mul_u64 s[10:11], s[8:9], s[22:23]
	s_delay_alu instid0(SALU_CYCLE_1) | instskip(NEXT) | instid1(SALU_CYCLE_1)
	s_add_co_i32 s8, s8, s11
	s_lshr_b32 s24, s8, s13
	s_delay_alu instid0(SALU_CYCLE_1) | instskip(NEXT) | instid1(SALU_CYCLE_1)
	s_add_co_i32 s24, s24, s15
	s_cmp_lt_i32 s24, s4
	s_cselect_b32 s8, -1, 0
	s_add_co_i32 s25, s25, s3
	s_delay_alu instid0(SALU_CYCLE_1) | instskip(SKIP_1) | instid1(SALU_CYCLE_1)
	s_cmp_lt_i32 s25, s6
	s_cselect_b32 s9, -1, 0
	s_and_b32 s8, s8, s9
	s_delay_alu instid0(SALU_CYCLE_1)
	s_and_not1_b32 vcc_lo, exec_lo, s8
	s_cbranch_vccnz .LBB16_24
; %bb.8:
	s_load_b128 s[8:11], s[0:1], 0x0
	s_mul_i32 s7, s7, s4
	s_mul_i32 s21, s21, s6
	s_wait_xcnt 0x0
	s_add_co_i32 s0, s24, s7
	s_add_co_i32 s1, s25, s21
	s_mul_i32 s0, s0, s5
	s_add_co_i32 s15, s15, s3
	s_add_co_i32 s1, s1, s0
	v_cvt_f32_u32_e32 v1, s16
	v_lshl_or_b32 v4, s1, 7, v0
	s_add_nc_u64 s[0:1], s[16:17], 0
	s_lshl_b32 s24, s16, 2
	s_xor_b64 s[6:7], s[0:1], 0
	s_add_co_i32 s0, s15, s2
	s_cvt_f32_u32 s3, s6
	s_cvt_f32_u32 s4, s7
	s_ashr_i32 s1, s0, 31
	v_rcp_iflag_f32_e32 v1, v1
	s_lshl_b64 s[0:1], s[0:1], 3
	s_fmamk_f32 s3, s4, 0x4f800000, s3
	s_wait_kmcnt 0x0
	global_load_b32 v3, v4, s[8:9] scale_offset
	s_add_nc_u64 s[0:1], s[10:11], s[0:1]
	s_mov_b32 s25, 0
	v_s_rcp_f32 s3, s3
	s_load_b64 s[28:29], s[0:1], 0x0
	v_ashrrev_i32_e32 v5, 31, v4
	s_wait_xcnt 0x0
	s_lshl_b64 s[0:1], s[24:25], 2
	v_mul_f32_e32 v1, 0x4f7ffffe, v1
	s_add_nc_u64 s[26:27], s[10:11], s[0:1]
	s_add_co_i32 s36, s2, -1
	s_sub_nc_u64 s[34:35], 0, s[6:7]
	s_mul_f32 s3, s3, 0x5f7ffffc
	v_cvt_u32_f32_e32 v1, v1
	s_delay_alu instid0(SALU_CYCLE_2) | instskip(NEXT) | instid1(SALU_CYCLE_3)
	s_mul_f32 s4, s3, 0x2f800000
	s_trunc_f32 s4, s4
	s_delay_alu instid0(SALU_CYCLE_3)
	s_fmamk_f32 s0, s4, 0xcf800000, s3
	s_wait_kmcnt 0x0
	v_mov_b32_e32 v2, s29
	v_lshl_add_u64 v[4:5], v[4:5], 2, s[8:9]
	s_cvt_u32_f32 s31, s4
	s_cvt_u32_f32 s30, s0
	s_mov_b64 s[8:9], 0xffffffff
.LBB16_9:                               ; =>This Inner Loop Header: Depth=1
	s_ashr_i32 s37, s36, 31
                                        ; implicit-def: $sgpr40_sgpr41
	s_delay_alu instid0(SALU_CYCLE_1) | instskip(NEXT) | instid1(SALU_CYCLE_1)
	s_mul_u64 s[0:1], s[36:37], s[18:19]
	s_and_b64 s[2:3], s[0:1], 0xffffffff00000000
	s_delay_alu instid0(SALU_CYCLE_1)
	s_cmp_lg_u64 s[2:3], 0
	s_mov_b32 s2, -1
	s_cbranch_scc0 .LBB16_11
; %bb.10:                               ;   in Loop: Header=BB16_9 Depth=1
	s_mul_u64 s[2:3], s[34:35], s[30:31]
	s_delay_alu instid0(SALU_CYCLE_1)
	s_mul_hi_u32 s5, s30, s3
	s_mul_i32 s4, s30, s3
	s_mul_hi_u32 s24, s30, s2
	s_mul_hi_u32 s17, s31, s2
	s_add_nc_u64 s[4:5], s[24:25], s[4:5]
	s_mul_i32 s2, s31, s2
	s_mul_hi_u32 s21, s31, s3
	s_add_co_u32 s2, s4, s2
	s_add_co_ci_u32 s24, s5, s17
	s_add_co_ci_u32 s5, s21, 0
	s_mul_i32 s4, s31, s3
	s_delay_alu instid0(SALU_CYCLE_1) | instskip(NEXT) | instid1(SALU_CYCLE_1)
	s_add_nc_u64 s[2:3], s[24:25], s[4:5]
	s_add_co_u32 s2, s30, s2
	s_cselect_b32 s4, -1, 0
	s_delay_alu instid0(SALU_CYCLE_1) | instskip(SKIP_1) | instid1(SALU_CYCLE_1)
	s_cmp_lg_u32 s4, 0
	s_add_co_ci_u32 s3, s31, s3
	s_mul_u64 s[4:5], s[34:35], s[2:3]
	s_delay_alu instid0(SALU_CYCLE_1)
	s_mul_hi_u32 s39, s2, s5
	s_mul_i32 s38, s2, s5
	s_mul_hi_u32 s24, s2, s4
	s_mul_hi_u32 s17, s3, s4
	s_mul_i32 s4, s3, s4
	s_add_nc_u64 s[38:39], s[24:25], s[38:39]
	s_mul_hi_u32 s21, s3, s5
	s_add_co_u32 s4, s38, s4
	s_add_co_ci_u32 s24, s39, s17
	s_mul_i32 s4, s3, s5
	s_add_co_ci_u32 s5, s21, 0
	s_delay_alu instid0(SALU_CYCLE_1) | instskip(NEXT) | instid1(SALU_CYCLE_1)
	s_add_nc_u64 s[4:5], s[24:25], s[4:5]
	s_add_co_u32 s17, s2, s4
	s_cselect_b32 s2, -1, 0
	s_delay_alu instid0(SALU_CYCLE_1) | instskip(SKIP_2) | instid1(SALU_CYCLE_1)
	s_cmp_lg_u32 s2, 0
	s_add_co_ci_u32 s21, s3, s5
	s_ashr_i32 s2, s1, 31
	s_mov_b32 s3, s2
	s_delay_alu instid0(SALU_CYCLE_1) | instskip(NEXT) | instid1(SALU_CYCLE_1)
	s_add_nc_u64 s[4:5], s[0:1], s[2:3]
	s_xor_b64 s[4:5], s[4:5], s[2:3]
	s_delay_alu instid0(SALU_CYCLE_1)
	s_mul_hi_u32 s39, s4, s21
	s_mul_i32 s38, s4, s21
	s_mul_hi_u32 s24, s4, s17
	s_mul_hi_u32 s29, s5, s17
	s_mul_i32 s17, s5, s17
	s_add_nc_u64 s[38:39], s[24:25], s[38:39]
	s_mul_hi_u32 s1, s5, s21
	s_add_co_u32 s17, s38, s17
	s_add_co_ci_u32 s24, s39, s29
	s_mul_i32 s40, s5, s21
	s_add_co_ci_u32 s41, s1, 0
	s_delay_alu instid0(SALU_CYCLE_1) | instskip(NEXT) | instid1(SALU_CYCLE_1)
	s_add_nc_u64 s[38:39], s[24:25], s[40:41]
	s_and_b64 s[40:41], s[38:39], 0xffffffff00000000
	s_delay_alu instid0(SALU_CYCLE_1) | instskip(NEXT) | instid1(SALU_CYCLE_1)
	s_or_b32 s40, s40, s38
	s_mul_u64 s[38:39], s[6:7], s[40:41]
	s_add_nc_u64 s[42:43], s[40:41], 1
	s_sub_co_u32 s1, s4, s38
	s_cselect_b32 s4, -1, 0
	s_sub_co_i32 s17, s5, s39
	s_cmp_lg_u32 s4, 0
	s_add_nc_u64 s[44:45], s[40:41], 2
	s_sub_co_ci_u32 s17, s17, s7
	s_sub_co_u32 s21, s1, s6
	s_cselect_b32 s24, -1, 0
	s_delay_alu instid0(SALU_CYCLE_1) | instskip(SKIP_1) | instid1(SALU_CYCLE_1)
	s_cmp_lg_u32 s24, 0
	s_sub_co_ci_u32 s17, s17, 0
	s_cmp_ge_u32 s17, s7
	s_cselect_b32 s24, -1, 0
	s_cmp_ge_u32 s21, s6
	s_cselect_b32 s21, -1, 0
	s_cmp_eq_u32 s17, s7
	s_cselect_b32 s17, s21, s24
	s_delay_alu instid0(SALU_CYCLE_1) | instskip(SKIP_4) | instid1(SALU_CYCLE_1)
	s_cmp_lg_u32 s17, 0
	s_cselect_b32 s17, s44, s42
	s_cselect_b32 s21, s45, s43
	s_cmp_lg_u32 s4, 0
	s_sub_co_ci_u32 s4, s5, s39
	s_cmp_ge_u32 s4, s7
	s_cselect_b32 s5, -1, 0
	s_cmp_ge_u32 s1, s6
	s_cselect_b32 s1, -1, 0
	s_cmp_eq_u32 s4, s7
	s_cselect_b32 s1, s1, s5
	s_delay_alu instid0(SALU_CYCLE_1) | instskip(SKIP_3) | instid1(SALU_CYCLE_1)
	s_cmp_lg_u32 s1, 0
	s_cselect_b32 s5, s21, s41
	s_cselect_b32 s4, s17, s40
	s_xor_b64 s[2:3], s[2:3], 0
	s_xor_b64 s[4:5], s[4:5], s[2:3]
	s_delay_alu instid0(SALU_CYCLE_1)
	s_sub_nc_u64 s[40:41], s[4:5], s[2:3]
	s_mov_b32 s2, 0
.LBB16_11:                              ;   in Loop: Header=BB16_9 Depth=1
	s_delay_alu instid0(SALU_CYCLE_1)
	s_and_not1_b32 vcc_lo, exec_lo, s2
	s_cbranch_vccnz .LBB16_13
; %bb.12:                               ;   in Loop: Header=BB16_9 Depth=1
	v_readfirstlane_b32 s1, v1
	s_sub_co_i32 s2, 0, s16
	s_delay_alu instid0(SALU_CYCLE_1) | instskip(NEXT) | instid1(SALU_CYCLE_1)
	s_mul_i32 s2, s2, s1
	s_mul_hi_u32 s2, s1, s2
	s_delay_alu instid0(SALU_CYCLE_1) | instskip(NEXT) | instid1(SALU_CYCLE_1)
	s_add_co_i32 s1, s1, s2
	s_mul_hi_u32 s1, s0, s1
	s_delay_alu instid0(SALU_CYCLE_1) | instskip(NEXT) | instid1(SALU_CYCLE_1)
	s_mul_i32 s2, s1, s16
	s_sub_co_i32 s0, s0, s2
	s_add_co_i32 s2, s1, 1
	s_sub_co_i32 s3, s0, s16
	s_cmp_ge_u32 s0, s16
	s_cselect_b32 s1, s2, s1
	s_cselect_b32 s0, s3, s0
	s_add_co_i32 s2, s1, 1
	s_cmp_ge_u32 s0, s16
	s_cselect_b32 s24, s2, s1
	s_delay_alu instid0(SALU_CYCLE_1)
	s_mov_b64 s[40:41], s[24:25]
.LBB16_13:                              ;   in Loop: Header=BB16_9 Depth=1
	s_delay_alu instid0(SALU_CYCLE_1)
	s_cmp_lg_u32 s20, s40
	s_mov_b32 s0, -1
                                        ; implicit-def: $vgpr6_vgpr7
                                        ; implicit-def: $sgpr24
                                        ; implicit-def: $sgpr17
                                        ; implicit-def: $sgpr21
                                        ; implicit-def: $sgpr29
	s_cbranch_scc0 .LBB16_18
; %bb.14:                               ;   in Loop: Header=BB16_9 Depth=1
	s_add_co_i32 s42, s36, s15
	v_max_num_f32_e64 v6, s28, s28
	s_add_co_i32 s0, s42, s16
	s_mov_b32 s29, s20
	s_load_b64 s[38:39], s[10:11], s0 offset:0x0 scale_offset
	s_wait_xcnt 0x0
	v_readfirstlane_b32 s0, v6
	s_wait_kmcnt 0x0
	v_max_num_f32_e64 v7, s38, s38
	s_delay_alu instid0(VALU_DEP_1) | instskip(SKIP_1) | instid1(SALU_CYCLE_3)
	v_readfirstlane_b32 s1, v7
	s_max_num_f32 s17, s0, s1
	s_sub_f32 s33, s28, s17
	s_sub_f32 s37, s38, s17
	s_delay_alu instid0(SALU_CYCLE_2)
	s_cmp_nlt_f32 s33, 0xc2ce8ed0
	s_cselect_b32 s1, -1, 0
	s_cmp_ngt_f32 s33, 0x42b17218
	s_cselect_b32 s2, -1, 0
	s_cmp_ge_f32 s33, 0xc1a00000
	s_cselect_b32 s0, -1, 0
	s_cmp_nlt_f32 s37, 0xc2ce8ed0
	s_cselect_b32 s3, -1, 0
	s_cmp_ngt_f32 s37, 0x42b17218
	s_cselect_b32 s4, -1, 0
	s_cmp_ge_f32 s37, 0xc1a00000
	s_cselect_b32 s5, -1, 0
	s_and_b64 s[44:45], s[40:41], s[8:9]
	s_delay_alu instid0(SALU_CYCLE_1) | instskip(NEXT) | instid1(SALU_CYCLE_1)
	s_mul_u64 s[44:45], s[44:45], s[22:23]
	s_add_co_i32 s21, s45, s40
	s_delay_alu instid0(SALU_CYCLE_1) | instskip(NEXT) | instid1(SALU_CYCLE_1)
	s_lshr_b32 s21, s21, s13
	s_mul_i32 s24, s21, s14
	s_delay_alu instid0(SALU_CYCLE_1) | instskip(SKIP_3) | instid1(SALU_CYCLE_1)
	s_cmp_eq_u32 s24, s40
	s_cselect_b32 s24, -1, 0
	s_cmp_lt_u32 s21, s12
	s_cselect_b32 s21, -1, 0
	s_or_b32 s21, s21, s24
	s_mov_b32 s24, -1
	s_and_b32 vcc_lo, exec_lo, s21
	s_mov_b32 s21, s36
	s_cbranch_vccnz .LBB16_16
; %bb.15:                               ;   in Loop: Header=BB16_9 Depth=1
	s_add_co_i32 s21, s36, -1
	s_mov_b32 s24, 0
	s_mov_b32 s29, s40
.LBB16_16:                              ;   in Loop: Header=BB16_9 Depth=1
	v_lshl_or_b32 v6, s42, 7, v0
	s_mul_f32 s38, s37, 0x3fb8aa3b
	s_mul_f32 s40, s33, 0x3fb8aa3b
	s_delay_alu instid0(SALU_CYCLE_2)
	s_xor_b32 s41, s38, 0x80000000
	global_load_b32 v7, v6, s[26:27] scale_offset
	s_fmamk_f32 s41, s37, 0x3fb8aa3b, s41
	s_rndne_f32 s43, s38
	s_xor_b32 s42, s40, 0x80000000
	s_rndne_f32 s44, s40
	s_fmamk_f32 s37, s37, 0x32a5705f, s41
	s_sub_f32 s38, s38, s43
	s_fmamk_f32 s42, s33, 0x3fb8aa3b, s42
	s_sub_f32 s40, s40, s44
	s_delay_alu instid0(SALU_CYCLE_1) | instskip(NEXT) | instid1(SALU_CYCLE_1)
	s_add_f32 s37, s38, s37
	s_fmamk_f32 s33, s33, 0x32a5705f, s42
	s_cvt_i32_f32 s38, s43
	s_delay_alu instid0(SALU_CYCLE_1) | instskip(NEXT) | instid1(SALU_CYCLE_1)
	v_s_exp_f32 s37, s37
	s_add_f32 s33, s40, s33
	s_cvt_i32_f32 s40, s44
	s_delay_alu instid0(SALU_CYCLE_2) | instskip(SKIP_1) | instid1(TRANS32_DEP_2)
	v_s_exp_f32 s33, s33
	s_wait_xcnt 0x0
	v_ldexp_f32 v6, s37, s38
	s_delay_alu instid0(TRANS32_DEP_1) | instskip(NEXT) | instid1(VALU_DEP_1)
	v_ldexp_f32 v8, s33, s40
	v_dual_cndmask_b32 v6, 0, v6, s3 :: v_dual_cndmask_b32 v8, 0, v8, s1
	s_delay_alu instid0(VALU_DEP_1) | instskip(NEXT) | instid1(VALU_DEP_2)
	v_cndmask_b32_e64 v6, 0x7f800000, v6, s4
	v_cndmask_b32_e64 v9, 0x7f800000, v8, s2
	s_delay_alu instid0(VALU_DEP_2) | instskip(NEXT) | instid1(VALU_DEP_2)
	v_dual_cndmask_b32 v8, 0, v6, s5 :: v_dual_mov_b32 v6, s39
	v_cndmask_b32_e64 v10, 0, v9, s0
	s_wait_loadcnt 0x0
	s_delay_alu instid0(VALU_DEP_2) | instskip(NEXT) | instid1(VALU_DEP_1)
	v_pk_mul_f32 v[6:7], v[6:7], v[8:9] op_sel_hi:[1,0]
	v_pk_fma_f32 v[6:7], v[2:3], v[10:11], v[6:7] op_sel_hi:[1,0,1]
	s_cbranch_execz .LBB16_19
.LBB16_17:                              ;   in Loop: Header=BB16_9 Depth=1
	s_and_not1_b32 vcc_lo, exec_lo, s24
	s_cbranch_vccnz .LBB16_20
	s_branch .LBB16_23
.LBB16_18:                              ;   in Loop: Header=BB16_9 Depth=1
	s_and_not1_b32 vcc_lo, exec_lo, s0
	s_cbranch_vccnz .LBB16_17
.LBB16_19:                              ;   in Loop: Header=BB16_9 Depth=1
	s_wait_loadcnt 0x0
	v_mov_b64_e32 v[6:7], v[2:3]
	s_add_co_i32 s21, s36, -1
	s_mov_b32 s29, s20
	s_mov_b32 s17, s28
	s_cbranch_execz .LBB16_23
.LBB16_20:                              ;   in Loop: Header=BB16_9 Depth=1
	s_wait_loadcnt 0x0
	s_delay_alu instid0(VALU_DEP_1)
	v_mov_b64_e32 v[2:3], v[6:7]
	s_mov_b32 s20, s29
	s_mov_b32 s36, s21
	;; [unrolled: 1-line block ×3, first 2 shown]
	s_branch .LBB16_9
.LBB16_21:
                                        ; implicit-def: $sgpr20_sgpr21
	s_branch .LBB16_2
.LBB16_22:
                                        ; implicit-def: $sgpr24_sgpr25
	s_load_b96 s[12:14], s[0:1], 0x44
	s_branch .LBB16_5
.LBB16_23:
	s_delay_alu instid0(VALU_DEP_1) | instskip(NEXT) | instid1(VALU_DEP_1)
	v_div_scale_f32 v0, null, v6, v6, v7
	v_rcp_f32_e32 v1, v0
	v_nop
	s_delay_alu instid0(TRANS32_DEP_1) | instskip(NEXT) | instid1(VALU_DEP_1)
	v_fma_f32 v2, -v0, v1, 1.0
	v_fmac_f32_e32 v1, v2, v1
	v_div_scale_f32 v2, vcc_lo, v7, v6, v7
	s_wait_loadcnt 0x0
	s_delay_alu instid0(VALU_DEP_1) | instskip(NEXT) | instid1(VALU_DEP_1)
	v_mul_f32_e32 v3, v2, v1
	v_fma_f32 v8, -v0, v3, v2
	s_delay_alu instid0(VALU_DEP_1) | instskip(NEXT) | instid1(VALU_DEP_1)
	v_fmac_f32_e32 v3, v8, v1
	v_fma_f32 v0, -v0, v3, v2
	s_delay_alu instid0(VALU_DEP_1) | instskip(NEXT) | instid1(VALU_DEP_1)
	v_div_fmas_f32 v0, v0, v1, v3
	v_div_fixup_f32 v0, v0, v6, v7
	global_store_b32 v[4:5], v0, off
.LBB16_24:
	s_endpgm
	.section	.rodata,"a",@progbits
	.p2align	6, 0x0
	.amdhsa_kernel _ZL33flash_attn_stream_k_fixup_generalILi128ELi1ELi1EEvPfPK15HIP_vector_typeIfLj2EEiiiiS1_IjLj3EES5_S5_S5_
		.amdhsa_group_segment_fixed_size 0
		.amdhsa_private_segment_fixed_size 0
		.amdhsa_kernarg_size 336
		.amdhsa_user_sgpr_count 2
		.amdhsa_user_sgpr_dispatch_ptr 0
		.amdhsa_user_sgpr_queue_ptr 0
		.amdhsa_user_sgpr_kernarg_segment_ptr 1
		.amdhsa_user_sgpr_dispatch_id 0
		.amdhsa_user_sgpr_kernarg_preload_length 0
		.amdhsa_user_sgpr_kernarg_preload_offset 0
		.amdhsa_user_sgpr_private_segment_size 0
		.amdhsa_wavefront_size32 1
		.amdhsa_uses_dynamic_stack 0
		.amdhsa_enable_private_segment 0
		.amdhsa_system_sgpr_workgroup_id_x 1
		.amdhsa_system_sgpr_workgroup_id_y 1
		.amdhsa_system_sgpr_workgroup_id_z 1
		.amdhsa_system_sgpr_workgroup_info 0
		.amdhsa_system_vgpr_workitem_id 0
		.amdhsa_next_free_vgpr 12
		.amdhsa_next_free_sgpr 46
		.amdhsa_named_barrier_count 0
		.amdhsa_reserve_vcc 1
		.amdhsa_float_round_mode_32 0
		.amdhsa_float_round_mode_16_64 0
		.amdhsa_float_denorm_mode_32 3
		.amdhsa_float_denorm_mode_16_64 3
		.amdhsa_fp16_overflow 0
		.amdhsa_memory_ordered 1
		.amdhsa_forward_progress 1
		.amdhsa_inst_pref_size 26
		.amdhsa_round_robin_scheduling 0
		.amdhsa_exception_fp_ieee_invalid_op 0
		.amdhsa_exception_fp_denorm_src 0
		.amdhsa_exception_fp_ieee_div_zero 0
		.amdhsa_exception_fp_ieee_overflow 0
		.amdhsa_exception_fp_ieee_underflow 0
		.amdhsa_exception_fp_ieee_inexact 0
		.amdhsa_exception_int_div_zero 0
	.end_amdhsa_kernel
	.section	.text._ZL33flash_attn_stream_k_fixup_generalILi128ELi1ELi1EEvPfPK15HIP_vector_typeIfLj2EEiiiiS1_IjLj3EES5_S5_S5_,"axG",@progbits,_ZL33flash_attn_stream_k_fixup_generalILi128ELi1ELi1EEvPfPK15HIP_vector_typeIfLj2EEiiiiS1_IjLj3EES5_S5_S5_,comdat
.Lfunc_end16:
	.size	_ZL33flash_attn_stream_k_fixup_generalILi128ELi1ELi1EEvPfPK15HIP_vector_typeIfLj2EEiiiiS1_IjLj3EES5_S5_S5_, .Lfunc_end16-_ZL33flash_attn_stream_k_fixup_generalILi128ELi1ELi1EEvPfPK15HIP_vector_typeIfLj2EEiiiiS1_IjLj3EES5_S5_S5_
                                        ; -- End function
	.set _ZL33flash_attn_stream_k_fixup_generalILi128ELi1ELi1EEvPfPK15HIP_vector_typeIfLj2EEiiiiS1_IjLj3EES5_S5_S5_.num_vgpr, 12
	.set _ZL33flash_attn_stream_k_fixup_generalILi128ELi1ELi1EEvPfPK15HIP_vector_typeIfLj2EEiiiiS1_IjLj3EES5_S5_S5_.num_agpr, 0
	.set _ZL33flash_attn_stream_k_fixup_generalILi128ELi1ELi1EEvPfPK15HIP_vector_typeIfLj2EEiiiiS1_IjLj3EES5_S5_S5_.numbered_sgpr, 46
	.set _ZL33flash_attn_stream_k_fixup_generalILi128ELi1ELi1EEvPfPK15HIP_vector_typeIfLj2EEiiiiS1_IjLj3EES5_S5_S5_.num_named_barrier, 0
	.set _ZL33flash_attn_stream_k_fixup_generalILi128ELi1ELi1EEvPfPK15HIP_vector_typeIfLj2EEiiiiS1_IjLj3EES5_S5_S5_.private_seg_size, 0
	.set _ZL33flash_attn_stream_k_fixup_generalILi128ELi1ELi1EEvPfPK15HIP_vector_typeIfLj2EEiiiiS1_IjLj3EES5_S5_S5_.uses_vcc, 1
	.set _ZL33flash_attn_stream_k_fixup_generalILi128ELi1ELi1EEvPfPK15HIP_vector_typeIfLj2EEiiiiS1_IjLj3EES5_S5_S5_.uses_flat_scratch, 0
	.set _ZL33flash_attn_stream_k_fixup_generalILi128ELi1ELi1EEvPfPK15HIP_vector_typeIfLj2EEiiiiS1_IjLj3EES5_S5_S5_.has_dyn_sized_stack, 0
	.set _ZL33flash_attn_stream_k_fixup_generalILi128ELi1ELi1EEvPfPK15HIP_vector_typeIfLj2EEiiiiS1_IjLj3EES5_S5_S5_.has_recursion, 0
	.set _ZL33flash_attn_stream_k_fixup_generalILi128ELi1ELi1EEvPfPK15HIP_vector_typeIfLj2EEiiiiS1_IjLj3EES5_S5_S5_.has_indirect_call, 0
	.section	.AMDGPU.csdata,"",@progbits
; Kernel info:
; codeLenInByte = 3308
; TotalNumSgprs: 48
; NumVgprs: 12
; ScratchSize: 0
; MemoryBound: 0
; FloatMode: 240
; IeeeMode: 1
; LDSByteSize: 0 bytes/workgroup (compile time only)
; SGPRBlocks: 0
; VGPRBlocks: 0
; NumSGPRsForWavesPerEU: 48
; NumVGPRsForWavesPerEU: 12
; NamedBarCnt: 0
; Occupancy: 16
; WaveLimiterHint : 0
; COMPUTE_PGM_RSRC2:SCRATCH_EN: 0
; COMPUTE_PGM_RSRC2:USER_SGPR: 2
; COMPUTE_PGM_RSRC2:TRAP_HANDLER: 0
; COMPUTE_PGM_RSRC2:TGID_X_EN: 1
; COMPUTE_PGM_RSRC2:TGID_Y_EN: 1
; COMPUTE_PGM_RSRC2:TGID_Z_EN: 1
; COMPUTE_PGM_RSRC2:TIDIG_COMP_CNT: 0
	.section	.text._ZL26flash_attn_combine_resultsILi128EEvPKfPK15HIP_vector_typeIfLj2EEPfi,"axG",@progbits,_ZL26flash_attn_combine_resultsILi128EEvPKfPK15HIP_vector_typeIfLj2EEPfi,comdat
	.globl	_ZL26flash_attn_combine_resultsILi128EEvPKfPK15HIP_vector_typeIfLj2EEPfi ; -- Begin function _ZL26flash_attn_combine_resultsILi128EEvPKfPK15HIP_vector_typeIfLj2EEPfi
	.p2align	8
	.type	_ZL26flash_attn_combine_resultsILi128EEvPKfPK15HIP_vector_typeIfLj2EEPfi,@function
_ZL26flash_attn_combine_resultsILi128EEvPKfPK15HIP_vector_typeIfLj2EEPfi: ; @_ZL26flash_attn_combine_resultsILi128EEvPKfPK15HIP_vector_typeIfLj2EEPfi
; %bb.0:
	s_clause 0x2
	s_load_b128 s[4:7], s[0:1], 0x0
	s_load_b96 s[8:10], s[0:1], 0x10
	s_load_b64 s[2:3], s[0:1], 0x20
	s_bfe_u32 s11, ttmp6, 0x4000c
	s_wait_xcnt 0x0
	s_and_b32 s0, ttmp6, 15
	s_add_co_i32 s11, s11, 1
	s_and_b32 s12, ttmp7, 0xffff
	s_mul_i32 s1, ttmp9, s11
	s_bfe_u32 s11, ttmp6, 0x40010
	s_bfe_u32 s13, ttmp6, 0x40014
	s_add_co_i32 s11, s11, 1
	s_add_co_i32 s0, s0, s1
	s_mul_i32 s1, s12, s11
	s_bfe_u32 s11, ttmp6, 0x40004
	s_lshr_b32 s14, ttmp7, 16
	s_add_co_i32 s13, s13, 1
	s_add_co_i32 s11, s11, s1
	s_mul_i32 s1, s14, s13
	s_bfe_u32 s13, ttmp6, 0x40008
	s_getreg_b32 s15, hwreg(HW_REG_IB_STS2, 6, 4)
	s_add_co_i32 s13, s13, s1
	s_cmp_eq_u32 s15, 0
	v_mov_b32_e32 v2, v0
	s_cselect_b32 s1, s14, s13
	s_cselect_b32 s0, ttmp9, s0
	s_wait_kmcnt 0x0
	s_mul_i32 s1, s2, s1
	s_cselect_b32 s2, s12, s11
	s_add_co_i32 s0, s1, s0
	s_lshl_b32 s12, s10, 1
	s_mul_i32 s11, s0, s3
	s_mov_b32 s13, exec_lo
	s_add_co_i32 s11, s11, s2
	s_delay_alu instid0(SALU_CYCLE_1)
	s_mul_i32 s2, s11, s10
	v_cmpx_gt_i32_e64 s12, v0
	s_cbranch_execz .LBB17_13
; %bb.1:
	v_xad_u32 v1, v0, -1, s12
	s_ashr_i32 s3, s2, 31
	s_mov_b32 s0, -1
	s_mov_b32 s14, exec_lo
	s_delay_alu instid0(VALU_DEP_1)
	v_cmpx_lt_u32_e32 0x7f, v1
	s_cbranch_execz .LBB17_10
; %bb.2:
	v_lshrrev_b32_e32 v6, 7, v1
	v_or_b32_e32 v1, 0x80, v0
	s_lshl_b64 s[0:1], s[2:3], 3
	v_mov_b32_e32 v4, 0
	s_add_nc_u64 s[0:1], s[6:7], s[0:1]
	v_add_nc_u32_e32 v2, -1, v6
	s_delay_alu instid0(VALU_DEP_1) | instskip(SKIP_1) | instid1(VALU_DEP_2)
	v_lshrrev_b32_e32 v3, 1, v2
	v_cmp_lt_u32_e32 vcc_lo, 13, v2
	v_add_nc_u32_e32 v7, 1, v3
	v_mov_b64_e32 v[2:3], v[0:1]
	s_and_saveexec_b32 s15, vcc_lo
	s_cbranch_execz .LBB17_6
; %bb.3:
	v_mov_b64_e32 v[2:3], v[0:1]
	v_dual_mov_b32 v5, 0 :: v_dual_bitop2_b32 v8, -8, v7 bitop3:0x40
	v_lshl_add_u32 v9, v0, 2, 0
	s_mov_b32 s16, 0
	s_mov_b32 s17, 0
.LBB17_4:                               ; =>This Inner Loop Header: Depth=1
	s_delay_alu instid0(VALU_DEP_2) | instskip(NEXT) | instid1(VALU_DEP_4)
	v_dual_mov_b32 v4, v2 :: v_dual_mov_b32 v11, v5
	v_dual_mov_b32 v13, v5 :: v_dual_add_nc_u32 v10, 0x100, v3
	v_dual_mov_b32 v15, v5 :: v_dual_add_nc_u32 v12, 0x200, v3
	s_delay_alu instid0(VALU_DEP_3) | instskip(SKIP_1) | instid1(VALU_DEP_4)
	v_lshl_add_u64 v[24:25], v[4:5], 2, s[0:1]
	v_dual_mov_b32 v4, v3 :: v_dual_add_nc_u32 v8, -8, v8
	v_lshl_add_u64 v[10:11], v[10:11], 2, s[0:1]
	v_dual_mov_b32 v17, v5 :: v_dual_add_nc_u32 v14, 0x300, v3
	s_delay_alu instid0(VALU_DEP_3)
	v_lshl_add_u64 v[26:27], v[4:5], 2, s[0:1]
	v_add_nc_u32_e32 v4, 0x100, v2
	global_load_b32 v1, v[24:25], off
	v_lshl_add_u64 v[12:13], v[12:13], 2, s[0:1]
	v_dual_mov_b32 v19, v5 :: v_dual_add_nc_u32 v16, 0x400, v3
	global_load_b32 v28, v[26:27], off
	s_wait_xcnt 0x1
	v_lshl_add_u64 v[24:25], v[4:5], 2, s[0:1]
	v_add_nc_u32_e32 v4, 0x200, v2
	s_clause 0x1
	global_load_b32 v29, v[24:25], off
	global_load_b32 v30, v[10:11], off
	s_wait_xcnt 0x2
	v_lshl_add_u64 v[26:27], v[4:5], 2, s[0:1]
	v_add_nc_u32_e32 v4, 0x300, v2
	s_clause 0x1
	global_load_b32 v24, v[26:27], off
	global_load_b32 v25, v[12:13], off
	s_wait_xcnt 0x2
	v_lshl_add_u64 v[10:11], v[4:5], 2, s[0:1]
	v_add_nc_u32_e32 v4, 0x400, v2
	v_lshl_add_u64 v[14:15], v[14:15], 2, s[0:1]
	s_clause 0x1
	global_load_b32 v26, v[10:11], off
	global_load_b32 v27, v[14:15], off
	s_wait_xcnt 0x2
	v_lshl_add_u64 v[12:13], v[4:5], 2, s[0:1]
	v_add_nc_u32_e32 v4, 0x500, v2
	v_dual_mov_b32 v21, v5 :: v_dual_add_nc_u32 v18, 0x500, v3
	v_lshl_add_u64 v[16:17], v[16:17], 2, s[0:1]
	v_dual_mov_b32 v23, v5 :: v_dual_add_nc_u32 v20, 0x600, v3
	s_wait_xcnt 0x1
	v_lshl_add_u64 v[10:11], v[4:5], 2, s[0:1]
	v_add_nc_u32_e32 v4, 0x600, v2
	s_clause 0x1
	global_load_b32 v14, v[12:13], off
	global_load_b32 v15, v[16:17], off
	v_add_nc_u32_e32 v22, 0x700, v3
	v_lshl_add_u64 v[18:19], v[18:19], 2, s[0:1]
	v_lshl_add_u64 v[20:21], v[20:21], 2, s[0:1]
	s_wait_xcnt 0x1
	v_lshl_add_u64 v[12:13], v[4:5], 2, s[0:1]
	v_add_nc_u32_e32 v4, 0x700, v2
	s_clause 0x1
	global_load_b32 v16, v[10:11], off
	global_load_b32 v17, v[18:19], off
	v_lshl_add_u64 v[22:23], v[22:23], 2, s[0:1]
	s_add_co_i32 s17, s17, 16
	v_cmp_eq_u32_e32 vcc_lo, 0, v8
	s_wait_xcnt 0x1
	v_lshl_add_u64 v[10:11], v[4:5], 2, s[0:1]
	s_clause 0x3
	global_load_b32 v18, v[12:13], off
	global_load_b32 v19, v[20:21], off
	;; [unrolled: 1-line block ×4, first 2 shown]
	v_dual_mov_b32 v4, s17 :: v_dual_add_nc_u32 v3, 0x800, v3
	v_add_nc_u32_e32 v2, 0x800, v2
	s_or_b32 s16, vcc_lo, s16
	s_wait_loadcnt 0xe
	ds_store_2addr_stride64_b32 v9, v1, v28 offset1:2
	s_wait_loadcnt 0xc
	ds_store_2addr_stride64_b32 v9, v29, v30 offset0:4 offset1:6
	s_wait_loadcnt 0xa
	ds_store_2addr_stride64_b32 v9, v24, v25 offset0:8 offset1:10
	;; [unrolled: 2-line block ×7, first 2 shown]
	v_add_nc_u32_e32 v9, 0x2000, v9
	s_wait_xcnt 0x0
	s_and_not1_b32 exec_lo, exec_lo, s16
	s_cbranch_execnz .LBB17_4
; %bb.5:
	s_or_b32 exec_lo, exec_lo, s16
.LBB17_6:
	s_delay_alu instid0(SALU_CYCLE_1) | instskip(SKIP_3) | instid1(VALU_DEP_1)
	s_or_b32 exec_lo, exec_lo, s15
	v_and_b32_e32 v1, 7, v7
	s_mov_b32 s16, 0
	s_mov_b32 s15, exec_lo
	v_cmpx_ne_u32_e32 0, v1
	s_cbranch_execz .LBB17_9
; %bb.7:
	v_lshlrev_b32_e32 v5, 2, v0
	s_delay_alu instid0(VALU_DEP_1) | instskip(NEXT) | instid1(VALU_DEP_1)
	v_lshl_or_b32 v4, v4, 9, v5
	v_dual_mov_b32 v5, 0 :: v_dual_add_nc_u32 v7, 0, v4
.LBB17_8:                               ; =>This Inner Loop Header: Depth=1
	v_dual_mov_b32 v4, v2 :: v_dual_add_nc_u32 v1, -1, v1
	v_add_nc_u32_e32 v2, 0x100, v2
	s_delay_alu instid0(VALU_DEP_2) | instskip(SKIP_1) | instid1(VALU_DEP_4)
	v_lshl_add_u64 v[8:9], v[4:5], 2, s[0:1]
	v_dual_mov_b32 v4, v3 :: v_dual_add_nc_u32 v3, 0x100, v3
	v_cmp_eq_u32_e32 vcc_lo, 0, v1
	s_delay_alu instid0(VALU_DEP_2)
	v_lshl_add_u64 v[10:11], v[4:5], 2, s[0:1]
	s_clause 0x1
	global_load_b32 v4, v[8:9], off
	global_load_b32 v12, v[10:11], off
	s_or_b32 s16, vcc_lo, s16
	s_wait_loadcnt 0x0
	ds_store_2addr_stride64_b32 v7, v4, v12 offset1:2
	v_add_nc_u32_e32 v7, 0x400, v7
	s_and_not1_b32 exec_lo, exec_lo, s16
	s_cbranch_execnz .LBB17_8
.LBB17_9:
	s_or_b32 exec_lo, exec_lo, s15
	v_add_nc_u32_e32 v1, 1, v6
	s_delay_alu instid0(VALU_DEP_1) | instskip(NEXT) | instid1(VALU_DEP_1)
	v_and_b32_e32 v2, 0x3fffffe, v1
	v_cmp_ne_u32_e32 vcc_lo, v1, v2
	v_lshl_or_b32 v2, v2, 7, v0
	s_or_not1_b32 s0, vcc_lo, exec_lo
.LBB17_10:
	s_or_b32 exec_lo, exec_lo, s14
	s_delay_alu instid0(SALU_CYCLE_1)
	s_and_b32 exec_lo, exec_lo, s0
	s_cbranch_execz .LBB17_13
; %bb.11:
	v_mov_b32_e32 v3, 0
	s_lshl_b64 s[0:1], s[2:3], 3
	v_lshl_add_u32 v1, v2, 2, 0
	s_add_nc_u64 s[0:1], s[6:7], s[0:1]
	s_delay_alu instid0(VALU_DEP_2) | instid1(SALU_CYCLE_1)
	v_lshl_add_u64 v[4:5], v[2:3], 2, s[0:1]
	s_mov_b32 s0, 0
.LBB17_12:                              ; =>This Inner Loop Header: Depth=1
	global_load_b32 v3, v[4:5], off
	v_add_nc_u32_e32 v2, 0x80, v2
	s_wait_xcnt 0x0
	v_add_nc_u64_e32 v[4:5], 0x200, v[4:5]
	s_delay_alu instid0(VALU_DEP_2)
	v_cmp_le_i32_e32 vcc_lo, s12, v2
	s_or_b32 s0, vcc_lo, s0
	s_wait_loadcnt 0x0
	ds_store_b32 v1, v3
	v_add_nc_u32_e32 v1, 0x200, v1
	s_and_not1_b32 exec_lo, exec_lo, s0
	s_cbranch_execnz .LBB17_12
.LBB17_13:
	s_or_b32 exec_lo, exec_lo, s13
	v_mov_b32_e32 v1, 0
	s_wait_dscnt 0x0
	s_barrier_signal -1
	s_barrier_wait -1
	ds_load_b32 v1, v1
	s_cmp_lt_i32 s10, 2
	s_wait_dscnt 0x0
	v_readfirstlane_b32 s3, v1
	s_cbranch_scc1 .LBB17_21
; %bb.14:
	s_cmp_eq_u32 s10, 2
	s_cbranch_scc1 .LBB17_18
; %bb.15:
	v_dual_mov_b32 v3, s3 :: v_dual_mov_b32 v4, s3
	s_add_co_i32 s1, s10, -1
	s_add_co_i32 s7, 0, 8
	s_and_b32 s3, s1, -2
	s_mov_b32 s6, 2
.LBB17_16:                              ; =>This Inner Loop Header: Depth=1
	v_dual_mov_b32 v1, s7 :: v_dual_mov_b32 v2, v3
	s_cmp_lg_u32 s3, s6
	s_cselect_b32 s12, -1, 0
	ds_load_2addr_b32 v[6:7], v1 offset1:2
	v_dual_mov_b32 v1, v4 :: v_dual_max_num_f32 v5, v2, v2
	s_delay_alu instid0(VALU_DEP_1)
	v_max_num_f32_e32 v3, v1, v1
	s_wait_dscnt 0x0
	v_cmp_u_f32_e32 vcc_lo, v7, v7
	v_max_num_f32_e32 v7, v7, v7
	v_cndmask_b32_e64 v4, 0, 1, vcc_lo
	v_cmp_u_f32_e32 vcc_lo, v6, v6
	v_max_num_f32_e32 v6, v6, v6
	s_delay_alu instid0(VALU_DEP_3) | instskip(SKIP_1) | instid1(VALU_DEP_3)
	v_readfirstlane_b32 s0, v4
	v_cndmask_b32_e64 v8, 0, 1, vcc_lo
	v_dual_max_num_f32 v4, v3, v7 :: v_dual_max_num_f32 v3, v5, v6
	s_lshl_b32 s0, s0, 1
	s_delay_alu instid0(VALU_DEP_2) | instskip(SKIP_1) | instid1(SALU_CYCLE_1)
	v_readfirstlane_b32 s13, v8
	s_or_b32 s0, s13, s0
	s_and_b32 s13, s0, 3
	s_delay_alu instid0(SALU_CYCLE_1)
	s_cmp_lg_u32 s13, 0
	s_cselect_b32 s0, -1, 0
	s_cmp_eq_u32 s13, 0
	s_cselect_b32 s13, -1, 0
	s_add_co_i32 s6, s6, 2
	s_and_b32 s12, s13, s12
	s_add_co_i32 s7, s7, 16
	s_and_b32 vcc_lo, exec_lo, s12
	s_cbranch_vccnz .LBB17_16
; %bb.17:
	v_dual_cndmask_b32 v2, v3, v2, s0 :: v_dual_cndmask_b32 v1, v4, v1, s0
	s_add_co_i32 s6, s6, -4
	s_and_b32 s7, s0, exec_lo
	s_cselect_b32 s6, s6, s1
	s_delay_alu instid0(VALU_DEP_1) | instskip(SKIP_3) | instid1(VALU_DEP_1)
	v_dual_max_num_f32 v2, v2, v2 :: v_dual_max_num_f32 v1, v1, v1
	s_or_b32 s6, s6, 1
	s_cmp_lg_u32 s1, s3
	s_cselect_b32 s1, -1, 0
	v_readfirstlane_b32 s7, v2
	v_readfirstlane_b32 s12, v1
	s_or_b32 s0, s1, s0
	s_max_num_f32 s3, s7, s12
	s_and_b32 vcc_lo, exec_lo, s0
	s_cbranch_vccnz .LBB17_19
	s_branch .LBB17_21
.LBB17_18:
	s_mov_b32 s6, 1
	s_cbranch_execz .LBB17_21
.LBB17_19:
	s_lshl_b32 s1, s6, 3
	s_sub_co_i32 s0, s10, s6
	s_add_co_i32 s1, s1, 0
.LBB17_20:                              ; =>This Inner Loop Header: Depth=1
	s_delay_alu instid0(SALU_CYCLE_1) | instskip(NEXT) | instid1(SALU_CYCLE_1)
	v_mov_b32_e32 v1, s1
	v_max_num_f32_e64 v2, s3, s3
	s_add_co_i32 s0, s0, -1
	s_add_co_i32 s1, s1, 8
	s_cmp_eq_u32 s0, 0
	ds_load_b32 v1, v1
	v_readfirstlane_b32 s3, v2
	s_wait_dscnt 0x0
	v_max_num_f32_e32 v1, v1, v1
	s_delay_alu instid0(VALU_DEP_1)
	v_readfirstlane_b32 s6, v1
	s_max_num_f32 s3, s3, s6
	s_cbranch_scc0 .LBB17_20
.LBB17_21:
	s_cmp_lt_i32 s10, 1
	s_cbranch_scc1 .LBB17_26
; %bb.22:
	s_lshl_b32 s0, s2, 7
	s_delay_alu instid0(SALU_CYCLE_1) | instskip(NEXT) | instid1(SALU_CYCLE_1)
	s_ashr_i32 s1, s0, 31
	s_lshl_b64 s[0:1], s[0:1], 2
	s_cmp_lt_u32 s10, 8
	s_add_nc_u64 s[0:1], s[4:5], s[0:1]
	s_cbranch_scc1 .LBB17_27
; %bb.23:
	v_mov_b32_e32 v2, 0
	v_or_b32_e32 v1, 0x380, v0
	s_and_b32 s2, s10, 0x7ffffff8
	s_mov_b32 s4, 0
	s_mov_b32 s5, 0
	v_mov_b32_e32 v3, v2
.LBB17_24:                              ; =>This Inner Loop Header: Depth=1
	v_add_nc_u32_e32 v4, 0xfffffc80, v1
	v_dual_mov_b32 v16, s5 :: v_dual_add_nc_u32 v5, 0xfffffd00, v1
	s_clause 0x1
	global_load_b32 v21, v4, s[0:1] scale_offset
	global_load_b32 v23, v5, s[0:1] scale_offset
	s_wait_xcnt 0x1
	v_add_nc_u32_e32 v4, 0xfffffd80, v1
	s_wait_xcnt 0x0
	v_add_nc_u32_e32 v5, 0xfffffe00, v1
	s_clause 0x1
	global_load_b32 v25, v4, s[0:1] scale_offset
	global_load_b32 v27, v5, s[0:1] scale_offset
	s_wait_xcnt 0x1
	v_add_nc_u32_e32 v4, 0xfffffe80, v1
	s_wait_xcnt 0x0
	v_add_nc_u32_e32 v5, 0xffffff00, v1
	global_load_b32 v29, v4, s[0:1] scale_offset
	s_wait_xcnt 0x0
	v_add_nc_u32_e32 v4, 0xffffff80, v1
	s_clause 0x2
	global_load_b32 v31, v5, s[0:1] scale_offset
	global_load_b32 v33, v4, s[0:1] scale_offset
	;; [unrolled: 1-line block ×3, first 2 shown]
	s_wait_xcnt 0x1
	ds_load_2addr_b64 v[4:7], v16 offset1:1
	ds_load_2addr_b64 v[8:11], v16 offset0:2 offset1:3
	ds_load_2addr_b64 v[12:15], v16 offset0:4 offset1:5
	;; [unrolled: 1-line block ×3, first 2 shown]
	s_wait_xcnt 0x0
	v_add_nc_u32_e32 v1, 0x400, v1
	s_wait_dscnt 0x3
	v_readfirstlane_b32 s6, v4
	v_readfirstlane_b32 s7, v6
	s_wait_dscnt 0x2
	v_readfirstlane_b32 s12, v8
	v_dual_mov_b32 v20, v5 :: v_dual_mov_b32 v26, v11
	s_sub_f32 s6, s6, s3
	s_sub_f32 s7, s7, s3
	;; [unrolled: 1-line block ×3, first 2 shown]
	v_readfirstlane_b32 s13, v10
	s_mul_f32 s18, s6, 0x3fb8aa3b
	s_mul_f32 s19, s7, 0x3fb8aa3b
	;; [unrolled: 1-line block ×3, first 2 shown]
	s_wait_dscnt 0x1
	v_readfirstlane_b32 s14, v12
	s_xor_b32 s26, s18, 0x80000000
	s_rndne_f32 s27, s18
	s_fmamk_f32 s26, s6, 0x3fb8aa3b, s26
	s_cmp_nlt_f32 s6, 0xc2ce8ed0
	s_rndne_f32 s28, s19
	s_sub_f32 s18, s18, s27
	s_fmamk_f32 s26, s6, 0x32a5705f, s26
	s_cvt_i32_f32 s27, s27
	s_cselect_b32 vcc_lo, -1, 0
	s_cmp_ngt_f32 s6, 0x42b17218
	s_add_f32 s18, s18, s26
	s_sub_f32 s36, s19, s28
	s_cvt_i32_f32 s28, s28
	s_rndne_f32 s29, s20
	v_s_exp_f32 s18, s18
	s_sub_f32 s13, s13, s3
	s_sub_f32 s14, s14, s3
	;; [unrolled: 1-line block ×3, first 2 shown]
	s_cvt_i32_f32 s29, s29
	s_mul_f32 s21, s13, 0x3fb8aa3b
	s_mul_f32 s22, s14, 0x3fb8aa3b
	v_readfirstlane_b32 s15, v14
	v_ldexp_f32 v4, s18, s27
	s_wait_dscnt 0x0
	v_mov_b32_e32 v32, v17
	s_rndne_f32 s30, s21
	s_rndne_f32 s31, s22
	s_sub_f32 s15, s15, s3
	v_cndmask_b32_e32 v4, 0, v4, vcc_lo
	s_cselect_b32 vcc_lo, -1, 0
	s_xor_b32 s6, s19, 0x80000000
	s_cmp_nlt_f32 s7, 0xc2ce8ed0
	s_fmamk_f32 s6, s7, 0x3fb8aa3b, s6
	v_cndmask_b32_e32 v4, 0x7f800000, v4, vcc_lo
	s_sub_f32 s38, s21, s30
	s_cselect_b32 vcc_lo, -1, 0
	s_fmamk_f32 s6, s7, 0x32a5705f, s6
	s_cmp_ngt_f32 s7, 0x42b17218
	s_cvt_i32_f32 s30, s30
	s_sub_f32 s39, s22, s31
	s_add_f32 s6, s36, s6
	s_cvt_i32_f32 s31, s31
	s_mul_f32 s23, s15, 0x3fb8aa3b
	v_readfirstlane_b32 s16, v16
	v_s_exp_f32 s6, s6
	v_readfirstlane_b32 s17, v18
	s_rndne_f32 s33, s23
	v_mov_b32_e32 v22, v7
	s_sub_f32 s16, s16, s3
	v_mov_b32_e32 v34, v19
	s_sub_f32 s40, s23, s33
	s_cvt_i32_f32 s33, s33
	v_ldexp_f32 v5, s6, s28
	s_mul_f32 s24, s16, 0x3fb8aa3b
	s_sub_f32 s17, s17, s3
	v_dual_mov_b32 v24, v9 :: v_dual_mov_b32 v28, v13
	s_delay_alu instid0(VALU_DEP_2)
	v_dual_mov_b32 v30, v15 :: v_dual_cndmask_b32 v5, 0, v5
	s_cselect_b32 vcc_lo, -1, 0
	s_xor_b32 s6, s20, 0x80000000
	s_cmp_nlt_f32 s12, 0xc2ce8ed0
	s_fmamk_f32 s6, s12, 0x3fb8aa3b, s6
	v_cndmask_b32_e32 v6, 0x7f800000, v5, vcc_lo
	s_rndne_f32 s34, s24
	s_cselect_b32 vcc_lo, -1, 0
	s_fmamk_f32 s6, s12, 0x32a5705f, s6
	s_cmp_ngt_f32 s12, 0x42b17218
	s_sub_f32 s41, s24, s34
	s_cvt_i32_f32 s34, s34
	s_add_f32 s6, s37, s6
	s_mul_f32 s25, s17, 0x3fb8aa3b
	s_delay_alu instid0(SALU_CYCLE_2) | instskip(NEXT) | instid1(SALU_CYCLE_2)
	v_s_exp_f32 s6, s6
	s_rndne_f32 s35, s25
	s_delay_alu instid0(SALU_CYCLE_3) | instskip(SKIP_2) | instid1(TRANS32_DEP_1)
	s_sub_f32 s42, s25, s35
	s_cvt_i32_f32 s35, s35
	v_nop
	v_ldexp_f32 v5, s6, s29
	s_delay_alu instid0(VALU_DEP_1)
	v_cndmask_b32_e32 v5, 0, v5, vcc_lo
	s_cselect_b32 vcc_lo, -1, 0
	s_xor_b32 s6, s21, 0x80000000
	s_cmp_nlt_f32 s13, 0xc2ce8ed0
	s_fmamk_f32 s6, s13, 0x3fb8aa3b, s6
	v_cndmask_b32_e32 v8, 0x7f800000, v5, vcc_lo
	s_cselect_b32 vcc_lo, -1, 0
	s_delay_alu instid0(SALU_CYCLE_1) | instskip(SKIP_1) | instid1(SALU_CYCLE_2)
	s_fmamk_f32 s6, s13, 0x32a5705f, s6
	s_cmp_ngt_f32 s13, 0x42b17218
	s_add_f32 s6, s38, s6
	s_delay_alu instid0(SALU_CYCLE_3) | instskip(SKIP_1) | instid1(TRANS32_DEP_1)
	v_s_exp_f32 s6, s6
	v_nop
	v_ldexp_f32 v5, s6, s30
	s_delay_alu instid0(VALU_DEP_1)
	v_cndmask_b32_e32 v5, 0, v5, vcc_lo
	s_cselect_b32 vcc_lo, -1, 0
	s_xor_b32 s6, s22, 0x80000000
	s_cmp_nlt_f32 s14, 0xc2ce8ed0
	s_fmamk_f32 s6, s14, 0x3fb8aa3b, s6
	v_cndmask_b32_e32 v10, 0x7f800000, v5, vcc_lo
	s_cselect_b32 vcc_lo, -1, 0
	s_delay_alu instid0(SALU_CYCLE_1) | instskip(SKIP_1) | instid1(SALU_CYCLE_2)
	s_fmamk_f32 s6, s14, 0x32a5705f, s6
	s_cmp_ngt_f32 s14, 0x42b17218
	s_add_f32 s6, s39, s6
	s_delay_alu instid0(SALU_CYCLE_3) | instskip(SKIP_1) | instid1(TRANS32_DEP_1)
	v_s_exp_f32 s6, s6
	;; [unrolled: 16-line block ×4, first 2 shown]
	v_nop
	v_ldexp_f32 v5, s6, s34
	s_delay_alu instid0(VALU_DEP_1) | instskip(SKIP_4) | instid1(SALU_CYCLE_3)
	v_cndmask_b32_e32 v5, 0, v5, vcc_lo
	s_cselect_b32 vcc_lo, -1, 0
	s_xor_b32 s6, s25, 0x80000000
	s_cmp_nlt_f32 s17, 0xc2ce8ed0
	s_fmamk_f32 s6, s17, 0x3fb8aa3b, s6
	s_fmamk_f32 s6, s17, 0x32a5705f, s6
	s_delay_alu instid0(SALU_CYCLE_3) | instskip(NEXT) | instid1(SALU_CYCLE_3)
	s_add_f32 s6, s42, s6
	v_s_exp_f32 s6, s6
	s_wait_loadcnt 0x7
	v_pk_fma_f32 v[2:3], v[4:5], v[20:21], v[2:3] op_sel_hi:[0,1,1]
	v_cndmask_b32_e32 v4, 0x7f800000, v5, vcc_lo
	s_delay_alu instid0(TRANS32_DEP_1)
	v_ldexp_f32 v5, s6, s35
	s_cselect_b32 vcc_lo, -1, 0
	s_cmp_ngt_f32 s17, 0x42b17218
	s_wait_loadcnt 0x6
	v_pk_fma_f32 v[2:3], v[6:7], v[22:23], v[2:3] op_sel_hi:[0,1,1]
	v_cndmask_b32_e32 v5, 0, v5, vcc_lo
	s_cselect_b32 vcc_lo, -1, 0
	s_add_co_i32 s4, s4, 8
	s_wait_loadcnt 0x5
	v_pk_fma_f32 v[2:3], v[8:9], v[24:25], v[2:3] op_sel_hi:[0,1,1]
	s_add_co_i32 s5, s5, 64
	v_cndmask_b32_e32 v6, 0x7f800000, v5, vcc_lo
	s_cmp_eq_u32 s2, s4
	s_wait_loadcnt 0x4
	v_pk_fma_f32 v[2:3], v[10:11], v[26:27], v[2:3] op_sel_hi:[0,1,1]
	s_wait_loadcnt 0x3
	s_delay_alu instid0(VALU_DEP_1) | instskip(SKIP_1) | instid1(VALU_DEP_1)
	v_pk_fma_f32 v[2:3], v[12:13], v[28:29], v[2:3] op_sel_hi:[0,1,1]
	s_wait_loadcnt 0x2
	v_pk_fma_f32 v[2:3], v[14:15], v[30:31], v[2:3] op_sel_hi:[0,1,1]
	s_wait_loadcnt 0x1
	s_delay_alu instid0(VALU_DEP_1) | instskip(SKIP_1) | instid1(VALU_DEP_1)
	v_pk_fma_f32 v[2:3], v[4:5], v[32:33], v[2:3] op_sel_hi:[0,1,1]
	s_wait_loadcnt 0x0
	v_pk_fma_f32 v[2:3], v[6:7], v[34:35], v[2:3] op_sel_hi:[0,1,1]
	s_cbranch_scc0 .LBB17_24
; %bb.25:
	s_and_b32 s4, s10, 7
	s_delay_alu instid0(SALU_CYCLE_1)
	s_cmp_eq_u32 s4, 0
	s_cbranch_scc0 .LBB17_28
	s_branch .LBB17_30
.LBB17_26:
	v_mov_b32_e32 v1, 0x7fc00000
	s_branch .LBB17_31
.LBB17_27:
	v_mov_b64_e32 v[2:3], 0
	s_mov_b32 s2, 0
	s_and_b32 s4, s10, 7
	s_delay_alu instid0(SALU_CYCLE_1)
	s_cmp_eq_u32 s4, 0
	s_cbranch_scc1 .LBB17_30
.LBB17_28:
	v_lshl_or_b32 v1, s2, 7, v0
	s_lshl_b32 s2, s2, 3
	s_delay_alu instid0(SALU_CYCLE_1)
	s_add_co_i32 s2, s2, 0
.LBB17_29:                              ; =>This Inner Loop Header: Depth=1
	global_load_b32 v5, v1, s[0:1] scale_offset
	s_wait_xcnt 0x0
	v_dual_mov_b32 v4, s2 :: v_dual_add_nc_u32 v1, 0x80, v1
	ds_load_b64 v[6:7], v4
	s_wait_dscnt 0x0
	v_readfirstlane_b32 s5, v6
	s_sub_f32 s5, s5, s3
	s_delay_alu instid0(SALU_CYCLE_3) | instskip(NEXT) | instid1(SALU_CYCLE_3)
	s_mul_f32 s6, s5, 0x3fb8aa3b
	s_xor_b32 s7, s6, 0x80000000
	s_rndne_f32 s10, s6
	s_fmamk_f32 s7, s5, 0x3fb8aa3b, s7
	s_cmp_nlt_f32 s5, 0xc2ce8ed0
	s_delay_alu instid0(SALU_CYCLE_1) | instskip(NEXT) | instid1(SALU_CYCLE_1)
	s_sub_f32 s6, s6, s10
	s_fmamk_f32 s7, s5, 0x32a5705f, s7
	s_cselect_b32 vcc_lo, -1, 0
	s_cmp_ngt_f32 s5, 0x42b17218
	s_delay_alu instid0(SALU_CYCLE_1) | instskip(SKIP_1) | instid1(SALU_CYCLE_2)
	s_add_f32 s6, s6, s7
	s_cvt_i32_f32 s7, s10
	v_s_exp_f32 s6, s6
	v_nop
	s_delay_alu instid0(TRANS32_DEP_1) | instid1(SALU_CYCLE_1)
	v_ldexp_f32 v4, s6, s7
	s_delay_alu instid0(VALU_DEP_1) | instskip(SKIP_3) | instid1(VALU_DEP_1)
	v_dual_cndmask_b32 v6, 0, v4, vcc_lo :: v_dual_mov_b32 v4, v7
	s_cselect_b32 vcc_lo, -1, 0
	s_add_co_i32 s4, s4, -1
	s_add_co_i32 s2, s2, 8
	v_cndmask_b32_e32 v6, 0x7f800000, v6, vcc_lo
	s_cmp_lg_u32 s4, 0
	s_wait_loadcnt 0x0
	s_delay_alu instid0(VALU_DEP_1)
	v_pk_fma_f32 v[2:3], v[6:7], v[4:5], v[2:3] op_sel_hi:[0,1,1]
	s_cbranch_scc1 .LBB17_29
.LBB17_30:
	s_delay_alu instid0(VALU_DEP_1) | instskip(NEXT) | instid1(VALU_DEP_1)
	v_div_scale_f32 v1, null, v2, v2, v3
	v_rcp_f32_e32 v4, v1
	v_nop
	s_delay_alu instid0(TRANS32_DEP_1) | instskip(NEXT) | instid1(VALU_DEP_1)
	v_fma_f32 v5, -v1, v4, 1.0
	v_fmac_f32_e32 v4, v5, v4
	v_div_scale_f32 v5, vcc_lo, v3, v2, v3
	s_delay_alu instid0(VALU_DEP_1) | instskip(NEXT) | instid1(VALU_DEP_1)
	v_mul_f32_e32 v6, v5, v4
	v_fma_f32 v7, -v1, v6, v5
	s_delay_alu instid0(VALU_DEP_1) | instskip(NEXT) | instid1(VALU_DEP_1)
	v_fmac_f32_e32 v6, v7, v4
	v_fma_f32 v1, -v1, v6, v5
	s_delay_alu instid0(VALU_DEP_1) | instskip(NEXT) | instid1(VALU_DEP_1)
	v_div_fmas_f32 v1, v1, v4, v6
	v_div_fixup_f32 v1, v1, v2, v3
.LBB17_31:
	s_lshl_b32 s0, s11, 7
	s_delay_alu instid0(SALU_CYCLE_1) | instskip(NEXT) | instid1(SALU_CYCLE_1)
	s_ashr_i32 s1, s0, 31
	s_lshl_b64 s[0:1], s[0:1], 2
	s_delay_alu instid0(SALU_CYCLE_1)
	s_add_nc_u64 s[0:1], s[8:9], s[0:1]
	global_store_b32 v0, v1, s[0:1] scale_offset
	s_endpgm
	.section	.rodata,"a",@progbits
	.p2align	6, 0x0
	.amdhsa_kernel _ZL26flash_attn_combine_resultsILi128EEvPKfPK15HIP_vector_typeIfLj2EEPfi
		.amdhsa_group_segment_fixed_size 0
		.amdhsa_private_segment_fixed_size 0
		.amdhsa_kernarg_size 288
		.amdhsa_user_sgpr_count 2
		.amdhsa_user_sgpr_dispatch_ptr 0
		.amdhsa_user_sgpr_queue_ptr 0
		.amdhsa_user_sgpr_kernarg_segment_ptr 1
		.amdhsa_user_sgpr_dispatch_id 0
		.amdhsa_user_sgpr_kernarg_preload_length 0
		.amdhsa_user_sgpr_kernarg_preload_offset 0
		.amdhsa_user_sgpr_private_segment_size 0
		.amdhsa_wavefront_size32 1
		.amdhsa_uses_dynamic_stack 0
		.amdhsa_enable_private_segment 0
		.amdhsa_system_sgpr_workgroup_id_x 1
		.amdhsa_system_sgpr_workgroup_id_y 1
		.amdhsa_system_sgpr_workgroup_id_z 1
		.amdhsa_system_sgpr_workgroup_info 0
		.amdhsa_system_vgpr_workitem_id 0
		.amdhsa_next_free_vgpr 36
		.amdhsa_next_free_sgpr 43
		.amdhsa_named_barrier_count 0
		.amdhsa_reserve_vcc 1
		.amdhsa_float_round_mode_32 0
		.amdhsa_float_round_mode_16_64 0
		.amdhsa_float_denorm_mode_32 3
		.amdhsa_float_denorm_mode_16_64 3
		.amdhsa_fp16_overflow 0
		.amdhsa_memory_ordered 1
		.amdhsa_forward_progress 1
		.amdhsa_inst_pref_size 29
		.amdhsa_round_robin_scheduling 0
		.amdhsa_exception_fp_ieee_invalid_op 0
		.amdhsa_exception_fp_denorm_src 0
		.amdhsa_exception_fp_ieee_div_zero 0
		.amdhsa_exception_fp_ieee_overflow 0
		.amdhsa_exception_fp_ieee_underflow 0
		.amdhsa_exception_fp_ieee_inexact 0
		.amdhsa_exception_int_div_zero 0
	.end_amdhsa_kernel
	.section	.text._ZL26flash_attn_combine_resultsILi128EEvPKfPK15HIP_vector_typeIfLj2EEPfi,"axG",@progbits,_ZL26flash_attn_combine_resultsILi128EEvPKfPK15HIP_vector_typeIfLj2EEPfi,comdat
.Lfunc_end17:
	.size	_ZL26flash_attn_combine_resultsILi128EEvPKfPK15HIP_vector_typeIfLj2EEPfi, .Lfunc_end17-_ZL26flash_attn_combine_resultsILi128EEvPKfPK15HIP_vector_typeIfLj2EEPfi
                                        ; -- End function
	.set _ZL26flash_attn_combine_resultsILi128EEvPKfPK15HIP_vector_typeIfLj2EEPfi.num_vgpr, 36
	.set _ZL26flash_attn_combine_resultsILi128EEvPKfPK15HIP_vector_typeIfLj2EEPfi.num_agpr, 0
	.set _ZL26flash_attn_combine_resultsILi128EEvPKfPK15HIP_vector_typeIfLj2EEPfi.numbered_sgpr, 43
	.set _ZL26flash_attn_combine_resultsILi128EEvPKfPK15HIP_vector_typeIfLj2EEPfi.num_named_barrier, 0
	.set _ZL26flash_attn_combine_resultsILi128EEvPKfPK15HIP_vector_typeIfLj2EEPfi.private_seg_size, 0
	.set _ZL26flash_attn_combine_resultsILi128EEvPKfPK15HIP_vector_typeIfLj2EEPfi.uses_vcc, 1
	.set _ZL26flash_attn_combine_resultsILi128EEvPKfPK15HIP_vector_typeIfLj2EEPfi.uses_flat_scratch, 0
	.set _ZL26flash_attn_combine_resultsILi128EEvPKfPK15HIP_vector_typeIfLj2EEPfi.has_dyn_sized_stack, 0
	.set _ZL26flash_attn_combine_resultsILi128EEvPKfPK15HIP_vector_typeIfLj2EEPfi.has_recursion, 0
	.set _ZL26flash_attn_combine_resultsILi128EEvPKfPK15HIP_vector_typeIfLj2EEPfi.has_indirect_call, 0
	.section	.AMDGPU.csdata,"",@progbits
; Kernel info:
; codeLenInByte = 3596
; TotalNumSgprs: 45
; NumVgprs: 36
; ScratchSize: 0
; MemoryBound: 0
; FloatMode: 240
; IeeeMode: 1
; LDSByteSize: 0 bytes/workgroup (compile time only)
; SGPRBlocks: 0
; VGPRBlocks: 2
; NumSGPRsForWavesPerEU: 45
; NumVGPRsForWavesPerEU: 36
; NamedBarCnt: 0
; Occupancy: 16
; WaveLimiterHint : 0
; COMPUTE_PGM_RSRC2:SCRATCH_EN: 0
; COMPUTE_PGM_RSRC2:USER_SGPR: 2
; COMPUTE_PGM_RSRC2:TRAP_HANDLER: 0
; COMPUTE_PGM_RSRC2:TGID_X_EN: 1
; COMPUTE_PGM_RSRC2:TGID_Y_EN: 1
; COMPUTE_PGM_RSRC2:TGID_Z_EN: 1
; COMPUTE_PGM_RSRC2:TIDIG_COMP_CNT: 0
	.section	.text._ZL18flash_attn_ext_vecILi128ELi1EL9ggml_type6ELS0_6ELb1EEvPKcS2_S2_S2_S2_PKiPfP15HIP_vector_typeIfLj2EEffffjfiS6_IjLj3EEiiiiiiiiiiiliiliiiiil,"axG",@progbits,_ZL18flash_attn_ext_vecILi128ELi1EL9ggml_type6ELS0_6ELb1EEvPKcS2_S2_S2_S2_PKiPfP15HIP_vector_typeIfLj2EEffffjfiS6_IjLj3EEiiiiiiiiiiiliiliiiiil,comdat
	.globl	_ZL18flash_attn_ext_vecILi128ELi1EL9ggml_type6ELS0_6ELb1EEvPKcS2_S2_S2_S2_PKiPfP15HIP_vector_typeIfLj2EEffffjfiS6_IjLj3EEiiiiiiiiiiiliiliiiiil ; -- Begin function _ZL18flash_attn_ext_vecILi128ELi1EL9ggml_type6ELS0_6ELb1EEvPKcS2_S2_S2_S2_PKiPfP15HIP_vector_typeIfLj2EEffffjfiS6_IjLj3EEiiiiiiiiiiiliiliiiiil
	.p2align	8
	.type	_ZL18flash_attn_ext_vecILi128ELi1EL9ggml_type6ELS0_6ELb1EEvPKcS2_S2_S2_S2_PKiPfP15HIP_vector_typeIfLj2EEffffjfiS6_IjLj3EEiiiiiiiiiiiliiliiiiil,@function
_ZL18flash_attn_ext_vecILi128ELi1EL9ggml_type6ELS0_6ELb1EEvPKcS2_S2_S2_S2_PKiPfP15HIP_vector_typeIfLj2EEffffjfiS6_IjLj3EEiiiiiiiiiiiliiliiiiil: ; @_ZL18flash_attn_ext_vecILi128ELi1EL9ggml_type6ELS0_6ELb1EEvPKcS2_S2_S2_S2_PKiPfP15HIP_vector_typeIfLj2EEffffjfiS6_IjLj3EEiiiiiiiiiiiliiliiiiil
; %bb.0:
	s_clause 0x2
	s_load_b64 s[24:25], s[0:1], 0x64
	s_load_b64 s[30:31], s[0:1], 0x80
	;; [unrolled: 1-line block ×3, first 2 shown]
	s_bfe_u32 s4, ttmp6, 0x40014
	s_lshr_b32 s3, ttmp7, 16
	s_add_co_i32 s4, s4, 1
	s_bfe_u32 s5, ttmp6, 0x40008
	s_mul_i32 s4, s3, s4
	s_getreg_b32 s33, hwreg(HW_REG_IB_STS2, 6, 4)
	s_add_co_i32 s5, s5, s4
	s_clause 0x1
	s_load_b128 s[20:23], s[0:1], 0x40
	s_load_b64 s[34:35], s[0:1], 0x50
	v_mov_b32_e32 v185, 1.0
	s_mov_b32 s41, 0
	s_wait_kmcnt 0x0
	s_cvt_f32_u32 s2, s25
	s_sub_co_i32 s6, 0, s25
	s_delay_alu instid0(SALU_CYCLE_2) | instskip(SKIP_1) | instid1(TRANS32_DEP_1)
	v_rcp_iflag_f32_e32 v1, s2
	v_nop
	v_readfirstlane_b32 s2, v1
	s_mul_f32 s2, s2, 0x4f7ffffe
	s_delay_alu instid0(SALU_CYCLE_3) | instskip(NEXT) | instid1(SALU_CYCLE_3)
	s_cvt_u32_f32 s2, s2
	s_mul_i32 s6, s6, s2
	s_delay_alu instid0(SALU_CYCLE_1) | instskip(NEXT) | instid1(SALU_CYCLE_1)
	s_mul_hi_u32 s6, s2, s6
	s_add_co_i32 s2, s2, s6
	s_cmp_eq_u32 s33, 0
	s_cselect_b32 s3, s3, s5
	s_delay_alu instid0(SALU_CYCLE_1) | instskip(NEXT) | instid1(SALU_CYCLE_1)
	s_mul_hi_u32 s2, s3, s2
	s_mul_i32 s4, s2, s25
	s_add_co_i32 s5, s2, 1
	s_sub_co_i32 s4, s3, s4
	s_delay_alu instid0(SALU_CYCLE_1)
	s_sub_co_i32 s6, s4, s25
	s_cmp_ge_u32 s4, s25
	s_cselect_b32 s2, s5, s2
	s_cselect_b32 s4, s6, s4
	s_add_co_i32 s5, s2, 1
	s_cmp_ge_u32 s4, s25
	s_cselect_b32 s26, s5, s2
	s_abs_i32 s2, s31
	s_abs_i32 s7, s25
	s_cvt_f32_u32 s4, s2
	s_sub_co_i32 s5, 0, s2
	s_xor_b32 s6, s25, s31
	s_delay_alu instid0(SALU_CYCLE_1) | instskip(SKIP_2) | instid1(TRANS32_DEP_1)
	v_rcp_iflag_f32_e32 v1, s4
	s_ashr_i32 s6, s6, 31
	v_nop
	v_readfirstlane_b32 s4, v1
	s_mul_f32 s4, s4, 0x4f7ffffe
	s_delay_alu instid0(SALU_CYCLE_3) | instskip(NEXT) | instid1(SALU_CYCLE_3)
	s_cvt_u32_f32 s4, s4
	s_mul_i32 s5, s5, s4
	s_delay_alu instid0(SALU_CYCLE_1) | instskip(NEXT) | instid1(SALU_CYCLE_1)
	s_mul_hi_u32 s5, s4, s5
	s_add_co_i32 s4, s4, s5
	s_mul_i32 s5, s26, s25
	s_mul_hi_u32 s4, s7, s4
	s_sub_co_i32 s28, s3, s5
	s_mul_i32 s8, s4, s2
	s_add_co_i32 s5, s4, 1
	s_sub_co_i32 s3, s7, s8
	s_delay_alu instid0(SALU_CYCLE_1)
	s_sub_co_i32 s7, s3, s2
	s_cmp_ge_u32 s3, s2
	s_cselect_b32 s4, s5, s4
	s_cselect_b32 s3, s7, s3
	s_add_co_i32 s5, s4, 1
	s_cmp_ge_u32 s3, s2
	s_cselect_b32 s2, s5, s4
	s_abs_i32 s36, s36
	s_xor_b32 s2, s2, s6
	s_sub_co_i32 s4, 0, s36
	s_sub_co_i32 s27, s2, s6
	s_cvt_f32_u32 s2, s36
	s_abs_i32 s48, s27
	s_abs_i32 s40, s28
	s_cvt_f32_u32 s3, s48
	v_rcp_iflag_f32_e32 v1, s2
	s_sub_co_i32 s5, 0, s48
	s_abs_i32 s38, s26
	v_rcp_iflag_f32_e32 v2, s3
	s_delay_alu instid0(TRANS32_DEP_2) | instskip(NEXT) | instid1(TRANS32_DEP_1)
	v_readfirstlane_b32 s2, v1
	v_readfirstlane_b32 s3, v2
	s_mul_f32 s2, s2, 0x4f7ffffe
	s_mul_f32 s3, s3, 0x4f7ffffe
	s_delay_alu instid0(SALU_CYCLE_2) | instskip(NEXT) | instid1(SALU_CYCLE_2)
	s_cvt_u32_f32 s2, s2
	s_cvt_u32_f32 s3, s3
	s_delay_alu instid0(SALU_CYCLE_2) | instskip(NEXT) | instid1(SALU_CYCLE_1)
	s_mul_i32 s4, s4, s2
	s_mul_hi_u32 s4, s2, s4
	s_delay_alu instid0(SALU_CYCLE_1) | instskip(SKIP_2) | instid1(SALU_CYCLE_1)
	s_mul_i32 s5, s5, s3
	s_add_co_i32 s42, s2, s4
	s_mul_hi_u32 s5, s3, s5
	s_add_co_i32 s44, s3, s5
	s_cmp_le_f32 s21, 0
	s_cbranch_scc1 .LBB18_2
; %bb.1:
	v_sub_co_u32 v1, s2, s28, s34
	s_and_b32 s4, s2, exec_lo
	s_cselect_b32 s4, s22, s23
	s_add_co_i32 s5, s28, 1
	v_readfirstlane_b32 s3, v1
	s_lshl_b32 s3, s3, 1
	s_delay_alu instid0(SALU_CYCLE_1) | instskip(SKIP_4) | instid1(SALU_CYCLE_3)
	s_or_b32 s3, s3, 1
	s_and_b32 s2, s2, exec_lo
	s_cselect_b32 s2, s5, s3
	s_cmp_neq_f32 s4, 1.0
	s_cvt_f32_i32 s2, s2
	s_cselect_b32 s3, s2, 1.0
	s_delay_alu instid0(SALU_CYCLE_1) | instskip(SKIP_1) | instid1(SALU_CYCLE_1)
	s_cmp_neq_f32 s3, 0
	s_cselect_b32 s2, s4, 1.0
	v_cvt_f64_f32_e64 v[2:3], |s2|
	s_delay_alu instid0(VALU_DEP_1) | instskip(SKIP_1) | instid1(VALU_DEP_1)
	v_frexp_exp_i32_f64_e32 v1, v[2:3]
	v_frexp_mant_f32_e64 v2, |s2|
	v_readfirstlane_b32 s4, v2
	s_cmp_lt_f32 s4, 0x3f2aaaab
	s_cselect_b32 vcc_lo, -1, 0
	s_delay_alu instid0(SALU_CYCLE_1) | instskip(SKIP_1) | instid1(SALU_CYCLE_1)
	s_and_b32 s5, vcc_lo, exec_lo
	s_cselect_b32 s5, 2.0, 1.0
	s_mul_f32 s4, s4, s5
	s_delay_alu instid0(SALU_CYCLE_3) | instskip(SKIP_1) | instid1(SALU_CYCLE_2)
	s_add_f32 s5, s4, 1.0
	s_add_f32 s7, s4, -1.0
	v_s_rcp_f32 s6, s5
	s_add_f32 s10, s5, -1.0
	v_subrev_co_ci_u32_e64 v1, null, 0, v1, vcc_lo
	s_delay_alu instid0(SALU_CYCLE_2) | instskip(NEXT) | instid1(TRANS32_DEP_1)
	s_sub_f32 s4, s4, s10
	s_mul_f32 s8, s7, s6
	v_cvt_f32_i32_e32 v1, v1
	s_delay_alu instid0(SALU_CYCLE_2) | instskip(NEXT) | instid1(SALU_CYCLE_3)
	s_mul_f32 s9, s5, s8
	v_dual_mov_b32 v3, s7 :: v_dual_mov_b32 v4, s9
	s_xor_b32 s11, s9, 0x80000000
	s_delay_alu instid0(SALU_CYCLE_1) | instskip(NEXT) | instid1(SALU_CYCLE_3)
	s_fmac_f32 s11, s8, s5
	s_fmac_f32 s11, s8, s4
	s_delay_alu instid0(SALU_CYCLE_3) | instskip(SKIP_2) | instid1(SALU_CYCLE_1)
	s_add_f32 s4, s9, s11
	v_mov_b32_e32 v6, s11
	s_mov_b32 s9, 0x3e76c4e1
	s_sub_f32 s5, s7, s4
	v_dual_mov_b32 v2, s4 :: v_dual_mov_b32 v7, s4
	s_delay_alu instid0(SALU_CYCLE_2) | instskip(NEXT) | instid1(VALU_DEP_1)
	v_mov_b32_e32 v5, s5
	v_pk_add_f32 v[2:3], v[2:3], v[4:5] neg_lo:[0,1] neg_hi:[0,1]
	s_delay_alu instid0(VALU_DEP_1) | instskip(NEXT) | instid1(VALU_DEP_1)
	v_pk_add_f32 v[2:3], v[2:3], v[6:7] neg_lo:[0,1] neg_hi:[0,1]
	v_readfirstlane_b32 s4, v3
	s_delay_alu instid0(VALU_DEP_2) | instskip(SKIP_1) | instid1(SALU_CYCLE_3)
	v_readfirstlane_b32 s7, v2
	s_add_f32 s4, s7, s4
	s_add_f32 s4, s5, s4
	s_delay_alu instid0(SALU_CYCLE_3) | instskip(NEXT) | instid1(SALU_CYCLE_3)
	s_mul_f32 s5, s6, s4
	s_add_f32 s4, s8, s5
	s_delay_alu instid0(SALU_CYCLE_3) | instskip(SKIP_1) | instid1(SALU_CYCLE_2)
	s_sub_f32 s6, s4, s8
	s_mul_f32 s7, s4, s4
	s_sub_f32 s8, s5, s6
	s_delay_alu instid0(SALU_CYCLE_2) | instskip(NEXT) | instid1(SALU_CYCLE_1)
	s_xor_b32 s5, s7, 0x80000000
	s_fmac_f32 s5, s4, s4
	s_delay_alu instid0(SALU_CYCLE_1) | instskip(NEXT) | instid1(SALU_CYCLE_3)
	s_add_f32 s6, s8, s8
	s_fmac_f32 s5, s4, s6
	s_delay_alu instid0(SALU_CYCLE_3) | instskip(NEXT) | instid1(SALU_CYCLE_3)
	s_add_f32 s6, s7, s5
	s_fmaak_f32 s9, s6, s9, 0x3e91f4c4
	s_sub_f32 s7, s6, s7
	s_delay_alu instid0(SALU_CYCLE_2) | instskip(NEXT) | instid1(SALU_CYCLE_2)
	s_fmaak_f32 s9, s6, s9, 0x3ecccdef
	s_sub_f32 s12, s5, s7
	s_delay_alu instid0(SALU_CYCLE_2) | instskip(NEXT) | instid1(SALU_CYCLE_3)
	s_mul_f32 s10, s6, s9
	s_xor_b32 s11, s10, 0x80000000
	s_delay_alu instid0(SALU_CYCLE_1) | instskip(NEXT) | instid1(SALU_CYCLE_3)
	s_fmac_f32 s11, s6, s9
	s_fmac_f32 s11, s12, s9
	s_delay_alu instid0(SALU_CYCLE_3) | instskip(NEXT) | instid1(SALU_CYCLE_3)
	s_add_f32 s7, s10, s11
	s_sub_f32 s5, s7, s10
	s_add_f32 s9, s7, 0x3f2aaaaa
	s_delay_alu instid0(SALU_CYCLE_2) | instskip(NEXT) | instid1(SALU_CYCLE_2)
	s_sub_f32 s5, s11, s5
	s_add_f32 s10, s9, 0xbf2aaaaa
	s_delay_alu instid0(SALU_CYCLE_2) | instskip(NEXT) | instid1(SALU_CYCLE_2)
	s_add_f32 s5, s5, 0x31739010
	s_sub_f32 s7, s7, s10
	s_delay_alu instid0(SALU_CYCLE_2) | instskip(NEXT) | instid1(SALU_CYCLE_2)
	v_mov_b64_e32 v[2:3], s[4:5]
	v_mov_b64_e32 v[4:5], s[6:7]
	s_delay_alu instid0(VALU_DEP_1) | instskip(SKIP_2) | instid1(VALU_DEP_3)
	v_pk_mul_f32 v[6:7], v[2:3], v[4:5]
	v_pk_add_f32 v[2:3], v[2:3], v[4:5]
	v_mov_b32_e32 v9, s9
	v_xor_b32_e32 v8, 0x80000000, v6
	s_delay_alu instid0(VALU_DEP_3) | instskip(NEXT) | instid1(VALU_DEP_2)
	v_mov_b32_e32 v7, v3
	v_fmac_f32_e64 v8, s6, s4
	s_delay_alu instid0(VALU_DEP_1) | instskip(NEXT) | instid1(VALU_DEP_1)
	v_fmac_f32_e64 v8, s6, s8
	v_fmac_f32_e64 v8, s12, s4
	s_delay_alu instid0(VALU_DEP_1) | instskip(NEXT) | instid1(VALU_DEP_1)
	v_pk_add_f32 v[4:5], v[6:7], v[8:9]
	v_dual_mov_b32 v2, v5 :: v_dual_sub_f32 v7, s9, v5
	v_mul_f32_e32 v12, 0x3f317218, v1
	s_delay_alu instid0(VALU_DEP_2) | instskip(NEXT) | instid1(VALU_DEP_3)
	v_pk_mul_f32 v[10:11], v[4:5], v[2:3]
	v_add_f32_e32 v3, v3, v7
	s_delay_alu instid0(VALU_DEP_3) | instskip(NEXT) | instid1(VALU_DEP_3)
	v_xor_b32_e32 v7, 0x80000000, v12
	v_xor_b32_e32 v2, 0x80000000, v10
	s_delay_alu instid0(VALU_DEP_2) | instskip(NEXT) | instid1(VALU_DEP_2)
	v_dual_sub_f32 v6, v4, v6 :: v_dual_fmac_f32 v7, 0x3f317218, v1
	v_fmac_f32_e32 v2, v4, v5
	s_delay_alu instid0(VALU_DEP_2) | instskip(NEXT) | instid1(VALU_DEP_2)
	v_sub_f32_e32 v6, v8, v6
	v_fmac_f32_e32 v2, v4, v3
	s_delay_alu instid0(VALU_DEP_1) | instskip(SKIP_3) | instid1(VALU_DEP_2)
	v_fmac_f32_e32 v2, v6, v5
	v_fmamk_f32 v4, v1, 0xb102e308, v7
	v_ldexp_f32 v5, s4, 1
	v_ldexp_f32 v1, s8, 1
	v_dual_add_f32 v13, v10, v2 :: v_dual_mov_b32 v11, v5
	s_delay_alu instid0(VALU_DEP_1) | instskip(SKIP_1) | instid1(VALU_DEP_2)
	v_pk_add_f32 v[6:7], v[12:13], v[4:5]
	v_dual_mov_b32 v8, v13 :: v_dual_mov_b32 v3, v13
	v_dual_mov_b32 v9, v7 :: v_dual_mov_b32 v5, v6
	v_mov_b32_e32 v14, v7
	s_delay_alu instid0(VALU_DEP_2) | instskip(NEXT) | instid1(VALU_DEP_1)
	v_pk_add_f32 v[8:9], v[8:9], v[10:11] neg_lo:[0,1] neg_hi:[0,1]
	v_pk_add_f32 v[2:3], v[2:3], v[8:9] neg_lo:[0,1] neg_hi:[0,1]
	s_delay_alu instid0(VALU_DEP_1) | instskip(NEXT) | instid1(VALU_DEP_1)
	v_add_f32_e32 v1, v1, v2
	v_add_f32_e32 v13, v1, v3
	s_delay_alu instid0(VALU_DEP_1) | instskip(SKIP_1) | instid1(VALU_DEP_2)
	v_pk_add_f32 v[2:3], v[6:7], v[12:13]
	v_pk_add_f32 v[8:9], v[6:7], v[12:13] neg_lo:[0,1] neg_hi:[0,1]
	v_mov_b32_e32 v9, v3
	s_delay_alu instid0(VALU_DEP_1) | instskip(SKIP_2) | instid1(VALU_DEP_3)
	v_pk_add_f32 v[10:11], v[4:5], v[8:9]
	v_pk_add_f32 v[4:5], v[4:5], v[8:9] neg_lo:[0,1] neg_hi:[0,1]
	v_dual_mov_b32 v16, v3 :: v_dual_mov_b32 v5, v6
	v_dual_mov_b32 v12, v11 :: v_dual_mov_b32 v17, v11
	s_delay_alu instid0(VALU_DEP_3) | instskip(NEXT) | instid1(VALU_DEP_2)
	v_readfirstlane_b32 s4, v4
	v_pk_add_f32 v[8:9], v[12:13], v[6:7] neg_lo:[0,1] neg_hi:[0,1]
	s_delay_alu instid0(VALU_DEP_2) | instskip(NEXT) | instid1(VALU_DEP_2)
	v_dual_mov_b32 v4, v13 :: v_dual_mov_b32 v10, s4
	v_dual_mov_b32 v15, v8 :: v_dual_mov_b32 v1, v8
	s_delay_alu instid0(VALU_DEP_1) | instskip(NEXT) | instid1(VALU_DEP_2)
	v_pk_add_f32 v[6:7], v[16:17], v[14:15] neg_lo:[0,1] neg_hi:[0,1]
	v_pk_add_f32 v[2:3], v[2:3], v[0:1] neg_lo:[0,1] neg_hi:[0,1]
	v_mov_b32_e32 v2, s4
	s_delay_alu instid0(VALU_DEP_3) | instskip(NEXT) | instid1(VALU_DEP_1)
	v_pk_add_f32 v[4:5], v[4:5], v[6:7] neg_lo:[0,1] neg_hi:[0,1]
	v_pk_add_f32 v[2:3], v[2:3], v[4:5]
	s_delay_alu instid0(VALU_DEP_1) | instskip(NEXT) | instid1(VALU_DEP_2)
	v_readfirstlane_b32 s5, v2
	v_mov_b32_e32 v6, v3
	s_delay_alu instid0(VALU_DEP_1) | instskip(NEXT) | instid1(VALU_DEP_3)
	v_pk_add_f32 v[6:7], v[2:3], v[6:7]
	v_mov_b32_e32 v2, s5
	s_delay_alu instid0(VALU_DEP_2) | instskip(SKIP_1) | instid1(VALU_DEP_2)
	v_pk_add_f32 v[8:9], v[12:13], v[6:7]
	v_mov_b32_e32 v5, v6
	v_readfirstlane_b32 s6, v8
	s_delay_alu instid0(VALU_DEP_1) | instskip(NEXT) | instid1(VALU_DEP_1)
	v_mov_b32_e32 v3, s6
	v_pk_add_f32 v[2:3], v[2:3], v[10:11] neg_lo:[0,1] neg_hi:[0,1]
	s_delay_alu instid0(VALU_DEP_1) | instskip(NEXT) | instid1(VALU_DEP_2)
	v_readfirstlane_b32 s7, v2
	v_pk_add_f32 v[2:3], v[4:5], v[2:3] neg_lo:[0,1] neg_hi:[0,1]
	s_sub_f32 s5, s5, s7
	s_delay_alu instid0(VALU_DEP_1) | instskip(NEXT) | instid1(SALU_CYCLE_2)
	v_readfirstlane_b32 s7, v2
	s_sub_f32 s4, s4, s5
	v_readfirstlane_b32 s5, v3
	s_delay_alu instid0(SALU_CYCLE_2) | instskip(NEXT) | instid1(SALU_CYCLE_3)
	s_add_f32 s4, s7, s4
	s_add_f32 s4, s4, s5
	s_delay_alu instid0(SALU_CYCLE_3) | instskip(NEXT) | instid1(SALU_CYCLE_3)
	s_add_f32 s5, s6, s4
	s_mul_f32 s7, s3, s5
	s_sub_f32 s6, s5, s6
	s_delay_alu instid0(SALU_CYCLE_2) | instskip(NEXT) | instid1(SALU_CYCLE_2)
	s_xor_b32 s8, s7, 0x80000000
	s_sub_f32 s4, s4, s6
	s_fmac_f32 s8, s3, s5
	s_delay_alu instid0(SALU_CYCLE_3) | instskip(SKIP_1) | instid1(SALU_CYCLE_2)
	s_fmac_f32 s8, s3, s4
	v_cmp_class_f32_e64 s4, s7, 0x204
	s_add_f32 s5, s7, s8
	s_and_b32 s4, s4, exec_lo
	s_delay_alu instid0(SALU_CYCLE_2) | instskip(SKIP_1) | instid1(SALU_CYCLE_1)
	s_sub_f32 s4, s5, s7
	s_cselect_b32 s5, s7, s5
	s_and_b32 s6, s5, 0x7fffffff
	s_delay_alu instid0(SALU_CYCLE_1) | instskip(SKIP_1) | instid1(SALU_CYCLE_2)
	s_sub_f32 s4, s8, s4
	s_cmp_neq_f32 s6, 0x7f800000
	s_cselect_b32 s4, s4, 0
	s_cmp_eq_f32 s5, 0x42b17218
	s_cselect_b32 s6, 0x37000000, 0
	s_delay_alu instid0(SALU_CYCLE_1) | instskip(SKIP_1) | instid1(SALU_CYCLE_2)
	s_sub_f32 s5, s5, s6
	s_add_f32 s4, s6, s4
	s_mul_f32 s7, s5, 0x3fb8aa3b
	s_delay_alu instid0(SALU_CYCLE_3) | instskip(SKIP_3) | instid1(SALU_CYCLE_1)
	s_xor_b32 s8, s7, 0x80000000
	s_rndne_f32 s9, s7
	s_fmamk_f32 s8, s5, 0x3fb8aa3b, s8
	s_cmp_nlt_f32 s5, 0xc2ce8ed0
	s_sub_f32 s7, s7, s9
	s_delay_alu instid0(SALU_CYCLE_1)
	s_fmamk_f32 s8, s5, 0x32a5705f, s8
	s_cselect_b32 vcc_lo, -1, 0
	s_cmp_ngt_f32 s5, 0x42b17218
	s_trunc_f32 s5, s3
	s_add_f32 s7, s7, s8
	s_cvt_i32_f32 s8, s9
	s_delay_alu instid0(SALU_CYCLE_2)
	v_s_exp_f32 s7, s7
	v_nop
	s_delay_alu instid0(TRANS32_DEP_1) | instid1(SALU_CYCLE_1)
	v_ldexp_f32 v1, s7, s8
	s_mul_f32 s7, s3, 0.5
	s_delay_alu instid0(VALU_DEP_1) | instskip(SKIP_3) | instid1(VALU_DEP_1)
	v_cndmask_b32_e32 v1, 0, v1, vcc_lo
	s_cselect_b32 vcc_lo, -1, 0
	s_cmp_eq_f32 s5, s3
	s_trunc_f32 s8, s7
	v_cndmask_b32_e32 v1, 0x7f800000, v1, vcc_lo
	s_cselect_b32 s9, -1, 0
	s_delay_alu instid0(SALU_CYCLE_1) | instskip(NEXT) | instid1(VALU_DEP_1)
	s_cmp_neq_f32 s8, s7
	v_fma_f32 v2, s4, v1, v1
	v_cmp_class_f32_e64 vcc_lo, v1, 0x204
	s_cselect_b32 s6, -1, 0
	s_delay_alu instid0(SALU_CYCLE_1)
	s_and_b32 s4, s9, s6
	v_cndmask_b32_e32 v1, v2, v1, vcc_lo
	s_and_b32 s6, s4, exec_lo
	s_cselect_b32 s6, s2, 1.0
	s_cmp_eq_f32 s5, s3
	v_cmp_class_f32_e64 s5, s2, 0x204
	v_bfi_b32 v1, 0x7fffffff, v1, s6
	s_cselect_b32 vcc_lo, -1, 0
	s_cmp_lt_f32 s2, 0
	s_delay_alu instid0(VALU_DEP_1) | instskip(SKIP_2) | instid1(VALU_DEP_1)
	v_cndmask_b32_e32 v2, 0x7fc00000, v1, vcc_lo
	s_cselect_b32 vcc_lo, -1, 0
	s_cmp_eq_f32 s2, 0
	v_cndmask_b32_e32 v1, v1, v2, vcc_lo
	s_cselect_b32 s6, -1, 0
	s_delay_alu instid0(SALU_CYCLE_1) | instskip(SKIP_2) | instid1(SALU_CYCLE_1)
	s_or_b32 vcc_lo, s6, s5
	s_cmp_lt_f32 s3, 0
	s_cselect_b32 s3, -1, 0
	s_xor_b32 s3, s3, s6
	s_delay_alu instid0(SALU_CYCLE_1)
	s_and_b32 s3, s3, exec_lo
	s_cselect_b32 s3, 0, 0x7f800000
	s_and_b32 s4, s4, exec_lo
	s_cselect_b32 s4, s2, 0
	s_cmp_o_f32 s2, s2
	v_mov_b32_e32 v2, s4
	s_delay_alu instid0(VALU_DEP_1) | instskip(NEXT) | instid1(VALU_DEP_1)
	v_bfi_b32 v2, 0x7fffffff, s3, v2
	v_cndmask_b32_e32 v1, v1, v2, vcc_lo
	s_cselect_b32 vcc_lo, -1, 0
	s_delay_alu instid0(VALU_DEP_1)
	v_cndmask_b32_e32 v185, 0x7fc00000, v1, vcc_lo
.LBB18_2:
	s_load_b512 s[4:19], s[0:1], 0x0
	s_bfe_u32 s2, ttmp6, 0x4000c
	v_bfe_u32 v182, v0, 10, 10
	s_add_co_i32 s2, s2, 1
	s_and_b32 s3, ttmp6, 15
	s_mul_i32 s2, ttmp9, s2
	v_and_b32_e32 v183, 0x3ff, v0
	s_add_co_i32 s3, s3, s2
	v_cmp_eq_u32_e64 s2, 0, v182
	v_mbcnt_lo_u32_b32 v184, -1, 0
	s_cmp_eq_u32 s33, 0
	s_mov_b32 s45, s41
	s_mov_b32 s39, s41
	;; [unrolled: 1-line block ×3, first 2 shown]
	s_cselect_b32 s31, ttmp9, s3
	s_and_saveexec_b32 s22, s2
	s_cbranch_execz .LBB18_7
; %bb.3:
	s_load_b96 s[52:54], s[0:1], 0x70
	v_xor_b32_e32 v7, 2, v184
	s_wait_kmcnt 0x0
	s_mul_i32 s3, s26, s54
	s_mul_i32 s23, s52, s31
	;; [unrolled: 1-line block ×3, first 2 shown]
	s_add_co_i32 s3, s3, s23
	s_delay_alu instid0(SALU_CYCLE_1) | instskip(NEXT) | instid1(SALU_CYCLE_1)
	s_add_co_i32 s46, s3, s29
	s_ashr_i32 s47, s46, 31
	s_delay_alu instid0(SALU_CYCLE_1) | instskip(SKIP_4) | instid1(VALU_DEP_2)
	s_add_nc_u64 s[4:5], s[4:5], s[46:47]
	global_load_b128 v[8:11], v183, s[4:5] scale_offset
	s_wait_loadcnt 0x0
	v_dual_mul_f32 v6, s20, v10 :: v_dual_bitop2_b32 v5, 4, v184 bitop3:0x14
	v_dual_mov_b32 v0, v11 :: v_dual_mov_b32 v1, v9
	v_cmp_gt_i32_e32 vcc_lo, 32, v5
	v_mul_f32_e32 v4, s20, v8
	s_delay_alu instid0(VALU_DEP_3) | instskip(SKIP_2) | instid1(VALU_DEP_3)
	v_pk_mul_f32 v[2:3], s[20:21], v[0:1] op_sel_hi:[0,1]
	v_cndmask_b32_e32 v0, v184, v5, vcc_lo
	v_cmp_gt_i32_e32 vcc_lo, 32, v7
	v_max_num_f32_e64 v1, |v4|, |v3|
	s_delay_alu instid0(VALU_DEP_3) | instskip(SKIP_1) | instid1(VALU_DEP_3)
	v_dual_cndmask_b32 v7, v184, v7 :: v_dual_lshlrev_b32 v0, 2, v0
	v_fma_f32 v8, s20, v8, v3
	v_max3_num_f32 v1, v1, |v6|, |v2|
	s_delay_alu instid0(VALU_DEP_2)
	v_fmac_f32_e32 v8, s20, v10
	s_mov_b32 s20, exec_lo
	ds_bpermute_b32 v5, v0, v1
	v_add_f32_e32 v8, v8, v2
	ds_bpermute_b32 v0, v0, v8
	s_wait_dscnt 0x1
	v_dual_max_num_f32 v5, v5, v5 :: v_dual_lshlrev_b32 v7, 2, v7
	s_wait_dscnt 0x0
	s_delay_alu instid0(VALU_DEP_1) | instskip(SKIP_3) | instid1(VALU_DEP_1)
	v_dual_max_num_f32 v1, v1, v5 :: v_dual_add_f32 v0, v8, v0
	ds_bpermute_b32 v5, v7, v1
	s_wait_dscnt 0x0
	v_dual_max_num_f32 v5, v5, v5 :: v_dual_bitop2_b32 v9, 1, v184 bitop3:0x14
	v_cmp_gt_i32_e32 vcc_lo, 32, v9
	s_delay_alu instid0(VALU_DEP_2) | instskip(SKIP_1) | instid1(VALU_DEP_1)
	v_max_num_f32_e32 v1, v1, v5
	v_cndmask_b32_e32 v9, v184, v9, vcc_lo
	v_lshlrev_b32_e32 v9, 2, v9
	ds_bpermute_b32 v5, v9, v1
	s_wait_dscnt 0x0
	v_max_num_f32_e32 v5, v5, v5
	s_delay_alu instid0(VALU_DEP_1) | instskip(SKIP_2) | instid1(VALU_DEP_1)
	v_max_num_f32_e32 v10, v1, v5
	ds_bpermute_b32 v5, v7, v0
	v_div_scale_f32 v11, null, 0x42fe0000, 0x42fe0000, v10
	v_rcp_f32_e32 v12, v11
	v_nop
	s_delay_alu instid0(TRANS32_DEP_1) | instskip(NEXT) | instid1(VALU_DEP_1)
	v_fma_f32 v1, -v11, v12, 1.0
	v_fmac_f32_e32 v12, v1, v12
	v_div_scale_f32 v7, vcc_lo, v10, 0x42fe0000, v10
	s_wait_dscnt 0x0
	s_delay_alu instid0(VALU_DEP_1) | instskip(SKIP_2) | instid1(VALU_DEP_1)
	v_dual_add_f32 v1, v0, v5 :: v_dual_mul_f32 v8, v7, v12
	ds_bpermute_b32 v5, v9, v1
	v_fma_f32 v13, -v11, v8, v7
	v_fmac_f32_e32 v8, v13, v12
	s_delay_alu instid0(VALU_DEP_1) | instskip(NEXT) | instid1(VALU_DEP_1)
	v_dual_fma_f32 v0, -v11, v8, v7 :: v_dual_mov_b32 v7, 0
	v_div_fmas_f32 v0, v0, v12, v8
	s_delay_alu instid0(VALU_DEP_1) | instskip(NEXT) | instid1(VALU_DEP_1)
	v_div_fixup_f32 v0, v0, 0x42fe0000, v10
	v_cmpx_neq_f32_e32 0, v0
	s_cbranch_execz .LBB18_5
; %bb.4:
	v_div_scale_f32 v7, null, v0, v0, v4
	v_div_scale_f32 v8, null, v0, v0, v2
	;; [unrolled: 1-line block ×3, first 2 shown]
	s_delay_alu instid0(VALU_DEP_3) | instskip(NEXT) | instid1(VALU_DEP_2)
	v_rcp_f32_e32 v9, v7
	v_rcp_f32_e32 v11, v8
	v_div_scale_f32 v12, null, v0, v0, v6
	s_delay_alu instid0(VALU_DEP_2) | instskip(SKIP_1) | instid1(TRANS32_DEP_3)
	v_rcp_f32_e32 v15, v10
	v_div_scale_f32 v14, vcc_lo, v4, v0, v4
	v_fma_f32 v13, -v7, v9, 1.0
	s_delay_alu instid0(TRANS32_DEP_2) | instskip(SKIP_2) | instid1(VALU_DEP_2)
	v_fma_f32 v16, -v8, v11, 1.0
	v_rcp_f32_e32 v17, v12
	v_div_scale_f32 v21, s4, v3, v0, v3
	v_dual_fmac_f32 v9, v13, v9 :: v_dual_fmac_f32 v11, v16, v11
	v_div_scale_f32 v13, s3, v2, v0, v2
	v_fma_f32 v16, -v10, v15, 1.0
	s_delay_alu instid0(VALU_DEP_3) | instskip(NEXT) | instid1(TRANS32_DEP_1)
	v_mul_f32_e32 v19, v14, v9
	v_fma_f32 v18, -v12, v17, 1.0
	s_delay_alu instid0(VALU_DEP_4) | instskip(NEXT) | instid1(VALU_DEP_4)
	v_mul_f32_e32 v20, v13, v11
	v_fmac_f32_e32 v15, v16, v15
	s_delay_alu instid0(VALU_DEP_3) | instskip(NEXT) | instid1(VALU_DEP_3)
	v_dual_fma_f32 v16, -v7, v19, v14 :: v_dual_fmac_f32 v17, v18, v17
	v_fma_f32 v22, -v8, v20, v13
	v_div_scale_f32 v18, s5, v6, v0, v6
	s_delay_alu instid0(VALU_DEP_3) | instskip(NEXT) | instid1(VALU_DEP_1)
	v_dual_mul_f32 v23, v21, v15 :: v_dual_fmac_f32 v19, v16, v9
	v_dual_mul_f32 v16, v18, v17 :: v_dual_fma_f32 v7, -v7, v19, v14
	s_delay_alu instid0(VALU_DEP_4) | instskip(NEXT) | instid1(VALU_DEP_2)
	v_fmac_f32_e32 v20, v22, v11
	v_div_fmas_f32 v7, v7, v9, v19
	s_delay_alu instid0(VALU_DEP_2) | instskip(NEXT) | instid1(VALU_DEP_4)
	v_fma_f32 v8, -v8, v20, v13
	v_dual_fma_f32 v13, -v12, v16, v18 :: v_dual_fma_f32 v22, -v10, v23, v21
	s_mov_b32 vcc_lo, s3
	s_delay_alu instid0(VALU_DEP_3) | instskip(NEXT) | instid1(VALU_DEP_2)
	v_div_fixup_f32 v4, v7, v0, v4
	v_dual_fmac_f32 v16, v13, v17 :: v_dual_fmac_f32 v23, v22, v15
	v_div_fmas_f32 v8, v8, v11, v20
	s_mov_b32 vcc_lo, s4
	s_delay_alu instid0(VALU_DEP_2) | instskip(NEXT) | instid1(VALU_DEP_2)
	v_dual_fma_f32 v9, -v10, v23, v21 :: v_dual_fma_f32 v10, -v12, v16, v18
	v_div_fixup_f32 v2, v8, v0, v2
	v_trunc_f32_e32 v12, v4
	s_delay_alu instid0(VALU_DEP_3) | instskip(SKIP_1) | instid1(VALU_DEP_3)
	v_div_fmas_f32 v9, v9, v15, v23
	s_mov_b32 vcc_lo, s5
	v_trunc_f32_e32 v7, v2
	v_div_fmas_f32 v10, v10, v17, v16
	s_delay_alu instid0(VALU_DEP_3) | instskip(NEXT) | instid1(VALU_DEP_3)
	v_div_fixup_f32 v3, v9, v0, v3
	v_sub_f32_e32 v13, v2, v7
	s_delay_alu instid0(VALU_DEP_3) | instskip(NEXT) | instid1(VALU_DEP_3)
	v_div_fixup_f32 v6, v10, v0, v6
	v_trunc_f32_e32 v8, v3
	s_delay_alu instid0(VALU_DEP_2) | instskip(NEXT) | instid1(VALU_DEP_1)
	v_trunc_f32_e32 v9, v6
	v_dual_sub_f32 v11, v3, v8 :: v_dual_sub_f32 v10, v6, v9
	s_delay_alu instid0(VALU_DEP_1) | instskip(NEXT) | instid1(VALU_DEP_1)
	v_cmp_ge_f32_e64 s3, |v10|, 0.5
	v_cndmask_b32_e64 v10, 0, 1.0, s3
	s_delay_alu instid0(VALU_DEP_3) | instskip(NEXT) | instid1(VALU_DEP_2)
	v_cmp_ge_f32_e64 s3, |v11|, 0.5
	v_bfi_b32 v6, 0x7fffffff, v10, v6
	s_delay_alu instid0(VALU_DEP_2) | instskip(SKIP_2) | instid1(VALU_DEP_3)
	v_cndmask_b32_e64 v11, 0, 1.0, s3
	v_sub_f32_e32 v10, v4, v12
	v_cmp_ge_f32_e64 s3, |v13|, 0.5
	v_bfi_b32 v3, 0x7fffffff, v11, v3
	v_add_f32_e32 v6, v9, v6
	s_delay_alu instid0(VALU_DEP_3) | instskip(SKIP_1) | instid1(VALU_DEP_4)
	v_cndmask_b32_e64 v13, 0, 1.0, s3
	v_cmp_ge_f32_e64 s3, |v10|, 0.5
	v_add_f32_e32 v3, v8, v3
	s_delay_alu instid0(VALU_DEP_4) | instskip(NEXT) | instid1(VALU_DEP_4)
	v_cvt_i32_f32_e32 v6, v6
	v_bfi_b32 v2, 0x7fffffff, v13, v2
	s_delay_alu instid0(VALU_DEP_4) | instskip(NEXT) | instid1(VALU_DEP_4)
	v_cndmask_b32_e64 v9, 0, 1.0, s3
	v_cvt_i32_f32_e32 v3, v3
	s_delay_alu instid0(VALU_DEP_4) | instskip(NEXT) | instid1(VALU_DEP_3)
	v_and_b32_e32 v6, 0xff, v6
	v_bfi_b32 v4, 0x7fffffff, v9, v4
	v_add_f32_e32 v2, v7, v2
	s_delay_alu instid0(VALU_DEP_4) | instskip(NEXT) | instid1(VALU_DEP_3)
	v_and_b32_e32 v3, 0xff, v3
	v_dual_lshlrev_b32 v6, 16, v6 :: v_dual_add_f32 v4, v12, v4
	s_delay_alu instid0(VALU_DEP_3) | instskip(NEXT) | instid1(VALU_DEP_3)
	v_cvt_i32_f32_e32 v2, v2
	v_lshlrev_b32_e32 v3, 8, v3
	s_delay_alu instid0(VALU_DEP_3) | instskip(NEXT) | instid1(VALU_DEP_3)
	v_cvt_i32_f32_e32 v4, v4
	v_lshl_or_b32 v2, v2, 24, v6
	s_delay_alu instid0(VALU_DEP_2) | instskip(NEXT) | instid1(VALU_DEP_1)
	v_and_b32_e32 v4, 0xff, v4
	v_or3_b32 v7, v2, v3, v4
.LBB18_5:
	s_or_b32 exec_lo, exec_lo, s20
	v_dual_lshlrev_b32 v3, 2, v183 :: v_dual_bitop2_b32 v2, 7, v183 bitop3:0x40
	s_delay_alu instid0(VALU_DEP_1)
	v_cmp_eq_u32_e32 vcc_lo, 0, v2
	ds_store_b32 v3, v7
	s_and_b32 exec_lo, exec_lo, vcc_lo
	s_cbranch_execz .LBB18_7
; %bb.6:
	s_wait_dscnt 0x1
	v_add_f32_e32 v1, v1, v5
	ds_store_b64 v183, v[0:1] offset:128
.LBB18_7:
	s_or_b32 exec_lo, exec_lo, s22
	v_dual_mov_b32 v189, 0 :: v_dual_bitop2_b32 v9, 1, v183 bitop3:0x40
	s_wait_dscnt 0x0
	s_barrier_signal -1
	s_barrier_wait -1
	s_delay_alu instid0(VALU_DEP_1)
	v_lshlrev_b32_e32 v20, 2, v9
	s_ashr_i32 s29, s28, 31
	s_ashr_i32 s3, s27, 31
	;; [unrolled: 1-line block ×3, first 2 shown]
	ds_load_2addr_b32 v[22:23], v20 offset1:2
	ds_load_2addr_b32 v[24:25], v20 offset0:4 offset1:6
	ds_load_2addr_b32 v[26:27], v20 offset0:8 offset1:10
	;; [unrolled: 1-line block ×3, first 2 shown]
	ds_load_b128 v[0:3], v189 offset:128
	ds_load_b128 v[4:7], v189 offset:144
	ds_load_2addr_b32 v[30:31], v20 offset0:16 offset1:18
	ds_load_2addr_b32 v[32:33], v20 offset0:20 offset1:22
	;; [unrolled: 1-line block ×4, first 2 shown]
	s_mul_u64 s[46:47], s[40:41], s[44:45]
	s_mul_u64 s[42:43], s[38:39], s[42:43]
	s_wait_kmcnt 0x0
	s_cmp_eq_u64 s[14:15], 0
	s_wait_dscnt 0x0
	s_barrier_signal -1
	s_barrier_wait -1
	s_cbranch_scc1 .LBB18_9
; %bb.8:
	s_load_b32 s4, s[0:1], 0xd0
	s_wait_kmcnt 0x0
	s_mul_i32 s4, s4, s26
	s_delay_alu instid0(SALU_CYCLE_1)
	s_add_co_i32 s4, s4, s31
	s_load_b32 s30, s[14:15], s4 offset:0x0 scale_offset
.LBB18_9:
	v_dual_lshlrev_b32 v8, 5, v182 :: v_dual_lshlrev_b32 v188, 2, v183
	s_wait_xcnt 0x0
	s_bfe_u32 s4, ttmp6, 0x40010
	s_and_b32 s5, ttmp7, 0xffff
	s_add_co_i32 s4, s4, 1
	s_bfe_u32 s14, ttmp6, 0x40004
	s_mul_i32 s4, s5, s4
	v_add_nc_u32_e32 v186, v8, v183
	s_add_co_i32 s14, s14, s4
	s_cmp_eq_u32 s33, 0
	s_cselect_b32 s33, s5, s14
	s_delay_alu instid0(VALU_DEP_1)
	v_lshlrev_b32_e32 v187, 1, v186
	s_lshl_b32 s34, s33, 7
	s_mov_b32 s5, 0
	s_wait_kmcnt 0x0
	s_cmp_ge_i32 s34, s30
	s_cbranch_scc1 .LBB18_25
; %bb.10:
	s_load_b128 s[20:23], s[0:1], 0x98
	s_mul_i32 s39, s47, s48
	s_xor_b32 s3, s29, s3
	s_sub_co_i32 s39, s40, s39
	s_add_co_i32 s4, s47, 1
	s_sub_co_i32 s40, s39, s48
	s_cmp_ge_u32 s39, s48
	s_clause 0x2
	s_load_b64 s[44:45], s[0:1], 0xa8
	s_load_b64 s[14:15], s[0:1], 0xc8
	s_load_b32 s49, s[0:1], 0xd4
	s_cselect_b32 s4, s4, s47
	s_load_b64 s[46:47], s[0:1], 0x8c
	v_dual_add_nc_u32 v13, 31, v8 :: v_dual_add_nc_u32 v17, 30, v8
	v_dual_mov_b32 v21, 0 :: v_dual_bitop2_b32 v10, 12, v188 bitop3:0x40
	v_bfe_u32 v11, v183, 3, 27
	v_dual_add_nc_u32 v19, 29, v8 :: v_dual_add_nc_u32 v39, 28, v8
	s_cselect_b32 s39, s40, s39
	s_add_co_i32 s40, s4, 1
	s_delay_alu instid0(VALU_DEP_2)
	v_mul_hi_u32_u24_e32 v15, 22, v11
	s_wait_kmcnt 0x0
	v_mul_lo_u32 v12, v8, s22
	v_mul_lo_u32 v18, s22, v13
	v_mul_u32_u24_e32 v14, 22, v11
	v_mov_b32_e32 v11, v21
	v_mul_lo_u32 v44, s22, v39
	v_mul_lo_u32 v40, s22, v19
	s_cmp_ge_u32 s39, s48
	v_mad_nc_u64_u32 v[14:15], s44, s26, v[14:15]
	s_cselect_b32 s4, s40, s4
	v_mul_lo_u32 v38, s22, v17
	s_xor_b32 s4, s4, s3
	v_add_nc_u32_e32 v16, s22, v12
	s_sub_co_i32 s3, s4, s3
	s_mul_i32 s4, s45, s26
	s_mul_i32 s40, s3, s23
	;; [unrolled: 1-line block ×3, first 2 shown]
	v_dual_add_nc_u32 v42, s22, v16 :: v_dual_ashrrev_i32 v19, 31, v18
	s_delay_alu instid0(VALU_DEP_4) | instskip(SKIP_2) | instid1(VALU_DEP_3)
	v_add3_u32 v15, s23, s4, v15
	s_ashr_i32 s41, s40, 31
	v_dual_add_nc_u32 v49, 27, v8 :: v_dual_add_nc_u32 v55, 26, v8
	v_dual_add_nc_u32 v46, s22, v42 :: v_dual_ashrrev_i32 v13, 31, v12
	s_delay_alu instid0(VALU_DEP_3) | instskip(SKIP_1) | instid1(VALU_DEP_3)
	v_add_nc_u64_e32 v[10:11], v[14:15], v[10:11]
	v_add_nc_u64_e32 v[50:51], s[40:41], v[14:15]
	v_dual_ashrrev_i32 v45, 31, v44 :: v_dual_add_nc_u32 v48, s22, v46
	s_delay_alu instid0(VALU_DEP_4) | instskip(SKIP_1) | instid1(VALU_DEP_3)
	v_add_nc_u64_e32 v[14:15], v[14:15], v[12:13]
	v_dual_ashrrev_i32 v39, 31, v38 :: v_dual_ashrrev_i32 v41, 31, v40
	v_dual_ashrrev_i32 v43, 31, v42 :: v_dual_add_nc_u32 v52, s22, v48
	v_add_nc_u64_e32 v[12:13], v[10:11], v[12:13]
	v_add_nc_u64_e32 v[10:11], s[40:41], v[10:11]
	s_delay_alu instid0(VALU_DEP_4) | instskip(NEXT) | instid1(VALU_DEP_4)
	v_add_nc_u64_e32 v[70:71], v[50:51], v[38:39]
	v_dual_ashrrev_i32 v47, 31, v46 :: v_dual_add_nc_u32 v54, s22, v52
	v_ashrrev_i32_e32 v17, 31, v16
	v_add_nc_u64_e32 v[74:75], v[50:51], v[40:41]
	v_add_nc_u64_e32 v[78:79], v[50:51], v[44:45]
	;; [unrolled: 1-line block ×3, first 2 shown]
	v_add_nc_u32_e32 v58, s22, v54
	v_add_nc_u64_e32 v[64:65], v[10:11], v[40:41]
	v_mul_lo_u32 v40, s22, v49
	v_add_nc_u64_e32 v[68:69], v[10:11], v[44:45]
	s_delay_alu instid0(VALU_DEP_4) | instskip(SKIP_2) | instid1(VALU_DEP_3)
	v_dual_ashrrev_i32 v49, 31, v48 :: v_dual_add_nc_u32 v60, s22, v58
	v_mul_lo_u32 v44, s22, v55
	v_dual_ashrrev_i32 v59, 31, v58 :: v_dual_add_nc_u32 v45, 25, v8
	v_dual_ashrrev_i32 v55, 31, v54 :: v_dual_add_nc_u32 v38, s22, v60
	v_ashrrev_i32_e32 v53, 31, v52
	v_dual_add_nc_u32 v81, 24, v8 :: v_dual_add_nc_u32 v98, 23, v8
	s_delay_alu instid0(VALU_DEP_4) | instskip(NEXT) | instid1(VALU_DEP_4)
	v_mul_lo_u32 v80, s22, v45
	v_dual_add_nc_u32 v72, s22, v38 :: v_dual_add_nc_u32 v99, 22, v8
	v_add_nc_u32_e32 v103, 21, v8
	s_delay_alu instid0(VALU_DEP_4) | instskip(SKIP_1) | instid1(VALU_DEP_4)
	v_mul_lo_u32 v90, s22, v81
	v_dual_ashrrev_i32 v61, 31, v60 :: v_dual_ashrrev_i32 v39, 31, v38
	v_dual_add_nc_u32 v76, s22, v72 :: v_dual_ashrrev_i32 v73, 31, v72
	v_mul_lo_u32 v102, s22, v99
	v_mul_lo_u32 v106, s22, v103
	v_ashrrev_i32_e32 v81, 31, v80
	s_delay_alu instid0(VALU_DEP_4) | instskip(SKIP_2) | instid1(VALU_DEP_3)
	v_dual_add_nc_u32 v82, s22, v76 :: v_dual_ashrrev_i32 v77, 31, v76
	v_ashrrev_i32_e32 v41, 31, v40
	v_dual_ashrrev_i32 v45, 31, v44 :: v_dual_ashrrev_i32 v91, 31, v90
	v_ashrrev_i32_e32 v83, 31, v82
	v_add_nc_u64_e32 v[94:95], v[10:11], v[80:81]
	s_delay_alu instid0(VALU_DEP_4)
	v_add_nc_u64_e32 v[84:85], v[10:11], v[40:41]
	v_add_nc_u64_e32 v[86:87], v[50:51], v[40:41]
	v_add_nc_u32_e32 v40, s22, v82
	v_add_nc_u64_e32 v[88:89], v[10:11], v[44:45]
	v_add_nc_u64_e32 v[92:93], v[50:51], v[44:45]
	;; [unrolled: 1-line block ×4, first 2 shown]
	v_dual_add_nc_u32 v44, s22, v40 :: v_dual_ashrrev_i32 v41, 31, v40
	v_add_nc_u32_e32 v99, 20, v8
	v_add_nc_u64_e32 v[108:109], v[50:51], v[90:91]
	v_add_nc_u32_e32 v91, 19, v8
	s_delay_alu instid0(VALU_DEP_4) | instskip(SKIP_3) | instid1(VALU_DEP_1)
	v_dual_add_nc_u32 v80, s22, v44 :: v_dual_ashrrev_i32 v45, 31, v44
	s_mul_i32 s4, s43, s36
	s_mul_i32 s42, s3, s47
	s_sub_co_i32 s3, s38, s4
	v_dual_ashrrev_i32 v81, 31, v80 :: v_dual_add_nc_u32 v104, s22, v80
	v_mul_lo_u32 v98, s22, v98
	v_mul_lo_u32 v110, s22, v99
	;; [unrolled: 1-line block ×3, first 2 shown]
	s_delay_alu instid0(VALU_DEP_4)
	v_dual_ashrrev_i32 v103, 31, v102 :: v_dual_ashrrev_i32 v105, 31, v104
	v_add_nc_u32_e32 v90, s22, v104
	v_add_nc_u64_e32 v[160:161], v[10:11], v[38:39]
	v_add_nc_u64_e32 v[162:163], v[50:51], v[38:39]
	v_and_b32_e32 v38, 30, v184
	s_ashr_i32 s43, s42, 31
	s_sub_co_i32 s4, s3, s36
	s_cmp_ge_u32 s3, s36
	v_dual_ashrrev_i32 v91, 31, v90 :: v_dual_add_nc_u32 v118, s22, v90
	s_cselect_b32 s3, s4, s3
	v_dual_ashrrev_i32 v107, 31, v106 :: v_dual_bitop2_b32 v39, 1, v184 bitop3:0x14
	v_add_nc_u32_e32 v38, 2, v38
	s_sub_co_i32 s4, s3, s36
	s_cmp_ge_u32 s3, s36
	v_dual_ashrrev_i32 v99, 31, v98 :: v_dual_ashrrev_i32 v113, 31, v112
	s_cselect_b32 s3, s4, s3
	v_cmp_lt_i32_e32 vcc_lo, v39, v38
	v_ashrrev_i32_e32 v119, 31, v118
	s_xor_b32 s4, s3, s27
	v_cmp_eq_u32_e64 s3, 0, v9
	v_and_b32_e32 v9, 0x7e, v183
	v_ashrrev_i32_e32 v111, 31, v110
	v_add_nc_u64_e32 v[56:57], v[50:51], v[16:17]
	v_add_nc_u64_e32 v[66:67], v[50:51], v[18:19]
	;; [unrolled: 1-line block ×28, first 2 shown]
	v_add_nc_u32_e32 v43, v8, v9
	v_cndmask_b32_e32 v9, v184, v39, vcc_lo
	v_add_nc_u64_e32 v[158:159], v[50:51], v[72:73]
	v_xor_b32_e32 v38, 4, v184
	v_add_nc_u64_e32 v[198:199], v[50:51], v[46:47]
	v_mul_lo_u32 v72, v43, s46
	v_dual_lshlrev_b32 v190, 2, v9 :: v_dual_bitop2_b32 v9, 2, v184 bitop3:0x14
	v_add_nc_u64_e32 v[146:147], v[50:51], v[40:41]
	s_mul_u64 s[38:39], s[20:21], s[26:27]
	s_sub_co_i32 s44, s4, s27
	s_mul_i32 s50, s37, s31
	v_cmp_gt_i32_e32 vcc_lo, 32, v9
	v_lshlrev_b32_e32 v195, 1, v8
	s_ashr_i32 s45, s44, 31
	s_ashr_i32 s51, s50, 31
	v_dual_ashrrev_i32 v73, 31, v72 :: v_dual_add_nc_u32 v46, s46, v72
	v_dual_cndmask_b32 v9, v184, v9, vcc_lo :: v_dual_bitop2_b32 v39, 8, v184 bitop3:0x14
	v_cmp_gt_i32_e32 vcc_lo, 32, v38
	s_cmp_lg_u64 s[10:11], 0
	s_delay_alu instid0(VALU_DEP_3)
	v_ashrrev_i32_e32 v47, 31, v46
	s_cselect_b32 s27, -1, 0
	v_dual_cndmask_b32 v38, v184, v38 :: v_dual_lshlrev_b32 v191, 2, v9
	v_cmp_gt_i32_e32 vcc_lo, 32, v39
	v_xor_b32_e32 v40, 16, v184
	v_add_nc_u64_e32 v[8:9], s[38:39], v[20:21]
	s_lshl_b32 s20, s49, 7
	s_mul_u64 s[44:45], s[14:15], s[44:45]
	v_cndmask_b32_e32 v39, v184, v39, vcc_lo
	v_cmp_gt_i32_e32 vcc_lo, 32, v40
	v_lshlrev_b32_e32 v192, 2, v38
	s_mul_i32 s14, s46, s34
	s_mul_i32 s36, s20, s46
	s_lshl_b32 s46, s34, 1
	v_dual_cndmask_b32 v40, v184, v40, vcc_lo :: v_dual_add_f32 v38, v7, v7
	s_mov_b32 s47, s5
	v_add_nc_u64_e32 v[142:143], v[50:51], v[44:45]
	v_add_nc_u64_e32 v[196:197], v[50:51], v[48:49]
	s_delay_alu instid0(VALU_DEP_3)
	v_dual_lshlrev_b32 v194, 2, v40 :: v_dual_add_f32 v40, v5, v5
	v_dual_mov_b32 v45, v21 :: v_dual_lshlrev_b32 v44, 1, v43
	v_add_nc_u64_e32 v[48:49], v[8:9], v[46:47]
	v_add_nc_u64_e32 v[8:9], s[42:43], v[8:9]
	s_add_nc_u64 s[44:45], s[44:45], s[46:47]
	s_add_nc_u64 s[10:11], s[10:11], s[50:51]
	v_add_nc_u64_e32 v[98:99], v[50:51], v[98:99]
	s_add_nc_u64 s[10:11], s[10:11], s[44:45]
	v_add_nc_u64_e32 v[102:103], v[50:51], v[102:103]
	v_add_nc_u64_e32 v[106:107], v[50:51], v[106:107]
	;; [unrolled: 1-line block ×13, first 2 shown]
	s_add_nc_u64 s[10:11], s[8:9], s[40:41]
	v_add_nc_u64_e32 v[8:9], v[8:9], v[72:73]
	v_add_nc_u64_e32 v[12:13], s[10:11], v[12:13]
	;; [unrolled: 1-line block ×3, first 2 shown]
	s_add_nc_u64 s[44:45], s[6:7], s[42:43]
	v_add_nc_u64_e32 v[82:83], s[8:9], v[86:87]
	v_add_nc_u64_e32 v[44:45], s[44:45], v[48:49]
	;; [unrolled: 1-line block ×9, first 2 shown]
	s_add_nc_u64 s[10:11], s[38:39], s[42:43]
	v_add_nc_u64_e32 v[86:87], s[8:9], v[92:93]
	s_add_nc_u64 s[6:7], s[6:7], s[10:11]
	v_add_nc_u64_e32 v[64:65], 6, v[8:9]
	v_add_nc_u64_e32 v[8:9], s[8:9], v[68:69]
	;; [unrolled: 1-line block ×23, first 2 shown]
	v_dual_add_f32 v42, v3, v3 :: v_dual_mov_b32 v3, v2
	v_add_nc_u64_e32 v[100:101], 6, v[8:9]
	v_add_nc_u64_e32 v[8:9], s[8:9], v[124:125]
	;; [unrolled: 1-line block ×38, first 2 shown]
	v_and_b32_e32 v196, 28, v188
	s_add_nc_u64 s[40:41], s[44:45], s[38:39]
	v_add_nc_u64_e32 v[160:161], 6, v[8:9]
	v_add_nc_u64_e32 v[8:9], s[8:9], v[176:177]
	;; [unrolled: 1-line block ×28, first 2 shown]
	v_dual_lshlrev_b32 v193, 2, v39 :: v_dual_mov_b32 v7, v6
	v_dual_mov_b32 v39, v38 :: v_dual_mov_b32 v5, v4
	v_dual_mov_b32 v41, v40 :: v_dual_mov_b32 v43, v42
	v_dual_add_f32 v1, v1, v1 :: v_dual_bitop2_b32 v197, 8, v20 bitop3:0x54
	v_dual_mov_b32 v189, v21 :: v_dual_bitop2_b32 v198, 16, v20 bitop3:0x54
	v_or_b32_e32 v199, 24, v20
	v_and_b32_e32 v200, 4, v183
	v_dual_mov_b32 v9, 0xfeffffff :: v_dual_mov_b32 v8, v21
	v_or_b32_e32 v201, 1, v196
	v_or_b32_e32 v202, 2, v196
	v_or_b32_e32 v203, 3, v196
	s_mov_b32 s21, s5
	s_mul_i32 s4, s22, s34
	s_mov_b32 s15, s5
	s_mov_b32 s37, s5
	s_mul_i32 s22, s20, s22
	s_mov_b32 s23, s5
	s_lshl_b64 s[6:7], s[20:21], 1
	s_mov_b32 s8, 0xbbbac73d
.LBB18_11:                              ; =>This Inner Loop Header: Depth=1
	v_add_nc_u64_e32 v[12:13], s[14:15], v[56:57]
	v_add_nc_u64_e32 v[10:11], s[14:15], v[62:63]
	global_load_b32 v14, v[12:13], off offset:6
	global_load_b32 v15, v[10:11], off offset:2
	s_wait_loadcnt 0x1
	v_and_b32_e32 v18, 0xf0f0f0f, v14
	s_wait_loadcnt 0x0
	v_dual_ashrrev_i32 v16, v20, v15 :: v_dual_lshrrev_b32 v14, 4, v14
	s_delay_alu instid0(VALU_DEP_1) | instskip(NEXT) | instid1(VALU_DEP_2)
	v_lshlrev_b32_e32 v17, 4, v16
	v_and_b32_e32 v14, 0xf0f0f0f, v14
	s_delay_alu instid0(VALU_DEP_2) | instskip(SKIP_1) | instid1(VALU_DEP_2)
	v_dual_lshlrev_b32 v19, 11, v16 :: v_dual_bitop2_b32 v17, 16, v17 bitop3:0x40
	v_dual_lshlrev_b32 v204, 18, v16 :: v_dual_lshlrev_b32 v16, 25, v16
	v_and_b32_e32 v19, 0x1000, v19
	s_delay_alu instid0(VALU_DEP_2) | instskip(NEXT) | instid1(VALU_DEP_3)
	v_and_b32_e32 v204, 0x100000, v204
	v_and_b32_e32 v16, 0x10000000, v16
	s_delay_alu instid0(VALU_DEP_1)
	v_or3_b32 v16, v16, v18, v204
	global_load_b32 v18, v[12:13], off offset:14
	v_or3_b32 v16, v16, v17, v19
	global_load_u16 v17, v[10:11], off
	v_ashrrev_i32_e32 v19, v197, v15
	v_dot4_i32_iu8 v16, v16, v22, 0 neg_lo:[1,1,0]
	s_delay_alu instid0(VALU_DEP_2) | instskip(SKIP_1) | instid1(VALU_DEP_3)
	v_dual_lshlrev_b32 v204, 4, v19 :: v_dual_lshlrev_b32 v206, 11, v19
	v_lshlrev_b32_e32 v207, 18, v19
	v_cvt_f32_i32_e32 v16, v16
	s_delay_alu instid0(VALU_DEP_3) | instskip(NEXT) | instid1(VALU_DEP_4)
	v_dual_lshlrev_b32 v19, 25, v19 :: v_dual_bitop2_b32 v204, 16, v204 bitop3:0x40
	v_and_b32_e32 v206, 0x1000, v206
	s_delay_alu instid0(VALU_DEP_4) | instskip(NEXT) | instid1(VALU_DEP_4)
	v_and_b32_e32 v207, 0x100000, v207
	v_fma_f32 v16, v0, v16, -v1
	s_delay_alu instid0(VALU_DEP_4) | instskip(NEXT) | instid1(VALU_DEP_1)
	v_and_b32_e32 v19, 0x10000000, v19
	v_or3_b32 v19, v207, v19, v204
	s_wait_loadcnt 0x1
	v_and_b32_e32 v205, 0xf0f0f0f, v18
	s_delay_alu instid0(VALU_DEP_1) | instskip(SKIP_2) | instid1(VALU_DEP_2)
	v_or3_b32 v19, v19, v206, v205
	s_wait_loadcnt 0x0
	v_fma_mix_f32 v16, v16, v17, 0 op_sel_hi:[0,1,0]
	v_dot4_i32_iu8 v19, v19, v23, 0 neg_lo:[1,1,0]
	s_delay_alu instid0(VALU_DEP_1) | instskip(NEXT) | instid1(VALU_DEP_1)
	v_cvt_f32_i32_e32 v19, v19
	v_fma_f32 v19, v0, v19, -v1
	s_delay_alu instid0(VALU_DEP_1) | instskip(SKIP_1) | instid1(VALU_DEP_1)
	v_fma_mix_f32 v16, v19, v17, v16 op_sel_hi:[0,1,0]
	v_dual_ashrrev_i32 v19, v198, v15 :: v_dual_ashrrev_i32 v15, v199, v15
	v_dual_lshlrev_b32 v204, 4, v19 :: v_dual_lshlrev_b32 v205, 11, v19
	v_dual_lshlrev_b32 v206, 18, v19 :: v_dual_lshlrev_b32 v19, 25, v19
	s_delay_alu instid0(VALU_DEP_2) | instskip(NEXT) | instid1(VALU_DEP_3)
	v_and_b32_e32 v204, 16, v204
	v_and_b32_e32 v205, 0x1000, v205
	s_delay_alu instid0(VALU_DEP_3) | instskip(NEXT) | instid1(VALU_DEP_4)
	v_and_b32_e32 v206, 0x100000, v206
	v_and_b32_e32 v19, 0x10000000, v19
	s_delay_alu instid0(VALU_DEP_1) | instskip(SKIP_1) | instid1(VALU_DEP_2)
	v_or3_b32 v14, v19, v14, v206
	v_lshlrev_b32_e32 v19, 11, v15
	v_or3_b32 v14, v14, v204, v205
	v_lshlrev_b32_e32 v204, 18, v15
	s_delay_alu instid0(VALU_DEP_3) | instskip(NEXT) | instid1(VALU_DEP_3)
	v_and_b32_e32 v19, 0x1000, v19
	v_dot4_i32_iu8 v14, v14, v24, 0 neg_lo:[1,1,0]
	s_delay_alu instid0(VALU_DEP_3) | instskip(NEXT) | instid1(VALU_DEP_2)
	v_and_b32_e32 v204, 0x100000, v204
	v_cvt_f32_i32_e32 v14, v14
	s_delay_alu instid0(VALU_DEP_1) | instskip(NEXT) | instid1(VALU_DEP_1)
	v_fma_f32 v14, v0, v14, -v1
	v_fma_mix_f32 v14, v14, v17, v16 op_sel_hi:[0,1,0]
	v_dual_lshrrev_b32 v16, 4, v18 :: v_dual_lshlrev_b32 v18, 4, v15
	v_lshlrev_b32_e32 v15, 25, v15
	s_delay_alu instid0(VALU_DEP_2) | instskip(NEXT) | instid1(VALU_DEP_3)
	v_and_b32_e32 v16, 0xf0f0f0f, v16
	v_and_b32_e32 v18, 16, v18
	s_delay_alu instid0(VALU_DEP_3) | instskip(NEXT) | instid1(VALU_DEP_1)
	v_and_b32_e32 v15, 0x10000000, v15
	v_or3_b32 v15, v204, v15, v18
	s_delay_alu instid0(VALU_DEP_1) | instskip(NEXT) | instid1(VALU_DEP_1)
	v_or3_b32 v15, v15, v19, v16
	v_dot4_i32_iu8 v15, v15, v25, 0 neg_lo:[1,1,0]
	s_delay_alu instid0(VALU_DEP_1) | instskip(NEXT) | instid1(VALU_DEP_1)
	v_cvt_f32_i32_e32 v15, v15
	v_fma_f32 v15, v0, v15, -v1
	s_delay_alu instid0(VALU_DEP_1)
	v_fma_mix_f32 v15, v15, v17, v14 op_sel_hi:[0,1,0]
	global_load_b32 v16, v[12:13], off offset:28
	global_load_b32 v17, v[10:11], off offset:24
	s_wait_loadcnt 0x1
	v_and_b32_e32 v19, 0xf0f0f0f, v16
	s_wait_loadcnt 0x0
	v_ashrrev_i32_e32 v14, v20, v17
	s_delay_alu instid0(VALU_DEP_1) | instskip(SKIP_1) | instid1(VALU_DEP_2)
	v_dual_lshlrev_b32 v18, 4, v14 :: v_dual_lshlrev_b32 v204, 11, v14
	v_dual_lshlrev_b32 v205, 18, v14 :: v_dual_lshlrev_b32 v14, 25, v14
	v_and_b32_e32 v18, 16, v18
	s_delay_alu instid0(VALU_DEP_3) | instskip(NEXT) | instid1(VALU_DEP_3)
	v_and_b32_e32 v204, 0x1000, v204
	v_and_b32_e32 v205, 0x100000, v205
	s_delay_alu instid0(VALU_DEP_4) | instskip(NEXT) | instid1(VALU_DEP_1)
	v_and_b32_e32 v14, 0x10000000, v14
	v_or3_b32 v14, v14, v19, v205
	global_load_u16 v19, v[10:11], off offset:22
	v_or3_b32 v14, v14, v18, v204
	v_ashrrev_i32_e32 v204, v197, v17
	s_delay_alu instid0(VALU_DEP_2) | instskip(NEXT) | instid1(VALU_DEP_2)
	v_dot4_i32_iu8 v18, v14, v26, 0 neg_lo:[1,1,0]
	v_dual_lshlrev_b32 v205, 4, v204 :: v_dual_lshlrev_b32 v207, 11, v204
	v_dual_lshlrev_b32 v208, 18, v204 :: v_dual_lshlrev_b32 v204, 25, v204
	s_delay_alu instid0(VALU_DEP_3) | instskip(NEXT) | instid1(VALU_DEP_3)
	v_cvt_f32_i32_e32 v18, v18
	v_and_b32_e32 v205, 16, v205
	s_delay_alu instid0(VALU_DEP_4) | instskip(NEXT) | instid1(VALU_DEP_4)
	v_and_b32_e32 v207, 0x1000, v207
	v_and_b32_e32 v208, 0x100000, v208
	;; [unrolled: 1-line block ×3, first 2 shown]
	v_fma_f32 v18, v2, v18, -v42
	s_delay_alu instid0(VALU_DEP_2) | instskip(SKIP_1) | instid1(VALU_DEP_2)
	v_or3_b32 v204, v208, v204, v205
	s_wait_loadcnt 0x0
	v_fma_mix_f32 v15, v18, v19, v15 op_sel_hi:[0,1,0]
	global_load_b32 v18, v[12:13], off offset:36
	v_cvt_f32_f16_e32 v14, v19
	s_wait_loadcnt 0x0
	v_and_b32_e32 v206, 0xf0f0f0f, v18
	s_delay_alu instid0(VALU_DEP_1) | instskip(NEXT) | instid1(VALU_DEP_1)
	v_or3_b32 v204, v204, v207, v206
	v_dot4_i32_iu8 v204, v204, v27, 0 neg_lo:[1,1,0]
	s_delay_alu instid0(VALU_DEP_1) | instskip(NEXT) | instid1(VALU_DEP_1)
	v_cvt_f32_i32_e32 v204, v204
	v_fma_f32 v204, v2, v204, -v42
	s_delay_alu instid0(VALU_DEP_1) | instskip(SKIP_1) | instid1(VALU_DEP_1)
	v_fma_mix_f32 v19, v204, v19, v15 op_sel_hi:[0,1,0]
	v_dual_lshrrev_b32 v15, 4, v16 :: v_dual_ashrrev_i32 v16, v198, v17
	v_dual_ashrrev_i32 v17, v199, v17 :: v_dual_lshlrev_b32 v204, 4, v16
	v_dual_lshlrev_b32 v205, 11, v16 :: v_dual_lshlrev_b32 v206, 18, v16
	v_lshlrev_b32_e32 v16, 25, v16
	s_delay_alu instid0(VALU_DEP_4) | instskip(NEXT) | instid1(VALU_DEP_4)
	v_and_b32_e32 v15, 0xf0f0f0f, v15
	v_and_b32_e32 v204, 16, v204
	s_delay_alu instid0(VALU_DEP_4) | instskip(SKIP_2) | instid1(VALU_DEP_1)
	v_and_b32_e32 v205, 0x1000, v205
	v_and_b32_e32 v206, 0x100000, v206
	;; [unrolled: 1-line block ×3, first 2 shown]
	v_or3_b32 v15, v16, v15, v206
	v_dual_lshrrev_b32 v16, 4, v18 :: v_dual_lshlrev_b32 v18, 4, v17
	s_delay_alu instid0(VALU_DEP_2) | instskip(NEXT) | instid1(VALU_DEP_2)
	v_or3_b32 v15, v15, v204, v205
	v_dual_lshlrev_b32 v204, 11, v17 :: v_dual_bitop2_b32 v18, 16, v18 bitop3:0x40
	v_dual_lshlrev_b32 v205, 18, v17 :: v_dual_lshlrev_b32 v17, 25, v17
	s_delay_alu instid0(VALU_DEP_4) | instskip(NEXT) | instid1(VALU_DEP_3)
	v_and_b32_e32 v16, 0xf0f0f0f, v16
	v_and_b32_e32 v204, 0x1000, v204
	v_dot4_i32_iu8 v15, v15, v28, 0 neg_lo:[1,1,0]
	s_delay_alu instid0(VALU_DEP_4) | instskip(SKIP_1) | instid1(VALU_DEP_1)
	v_and_b32_e32 v205, 0x100000, v205
	v_and_b32_e32 v17, 0x10000000, v17
	v_or3_b32 v17, v205, v17, v18
	s_delay_alu instid0(VALU_DEP_1) | instskip(NEXT) | instid1(VALU_DEP_1)
	v_or3_b32 v16, v17, v204, v16
	v_dot4_i32_iu8 v16, v16, v29, 0 neg_lo:[1,1,0]
	s_delay_alu instid0(VALU_DEP_1) | instskip(SKIP_1) | instid1(VALU_DEP_1)
	v_cvt_f32_i32_e32 v17, v16
	v_cvt_f32_i32_e32 v16, v15
	v_pk_fma_f32 v[16:17], v[2:3], v[16:17], v[42:43] neg_lo:[0,0,1] neg_hi:[0,0,1]
	s_delay_alu instid0(VALU_DEP_1) | instskip(NEXT) | instid1(VALU_DEP_1)
	v_pk_mul_f32 v[14:15], v[16:17], v[14:15] op_sel_hi:[1,0]
	v_add_f32_e32 v14, v14, v19
	global_load_b32 v18, v[12:13], off offset:50
	global_load_b32 v19, v[10:11], off offset:46
	v_add_f32_e32 v15, v14, v15
	s_wait_loadcnt 0x1
	v_and_b32_e32 v17, 0xf0f0f0f, v18
	s_wait_loadcnt 0x0
	v_ashrrev_i32_e32 v14, v20, v19
	s_delay_alu instid0(VALU_DEP_1) | instskip(SKIP_1) | instid1(VALU_DEP_2)
	v_dual_lshlrev_b32 v16, 4, v14 :: v_dual_lshlrev_b32 v204, 11, v14
	v_dual_lshlrev_b32 v205, 18, v14 :: v_dual_lshlrev_b32 v14, 25, v14
	v_and_b32_e32 v16, 16, v16
	s_delay_alu instid0(VALU_DEP_3) | instskip(NEXT) | instid1(VALU_DEP_3)
	v_and_b32_e32 v204, 0x1000, v204
	v_and_b32_e32 v205, 0x100000, v205
	s_delay_alu instid0(VALU_DEP_4) | instskip(NEXT) | instid1(VALU_DEP_1)
	v_and_b32_e32 v14, 0x10000000, v14
	v_or3_b32 v14, v14, v17, v205
	v_ashrrev_i32_e32 v17, v197, v19
	s_delay_alu instid0(VALU_DEP_2)
	v_or3_b32 v14, v14, v16, v204
	global_load_b32 v204, v[12:13], off offset:58
	v_dual_lshlrev_b32 v205, 4, v17 :: v_dual_lshlrev_b32 v207, 11, v17
	v_lshlrev_b32_e32 v208, 18, v17
	v_dot4_i32_iu8 v16, v14, v30, 0 neg_lo:[1,1,0]
	global_load_u16 v14, v[10:11], off offset:44
	v_lshlrev_b32_e32 v17, 25, v17
	v_and_b32_e32 v205, 16, v205
	v_and_b32_e32 v208, 0x100000, v208
	;; [unrolled: 1-line block ×3, first 2 shown]
	v_cvt_f32_i32_e32 v16, v16
	v_and_b32_e32 v17, 0x10000000, v17
	s_delay_alu instid0(VALU_DEP_1) | instskip(SKIP_2) | instid1(VALU_DEP_1)
	v_or3_b32 v17, v208, v17, v205
	s_wait_loadcnt 0x1
	v_and_b32_e32 v206, 0xf0f0f0f, v204
	v_or3_b32 v17, v17, v207, v206
	s_wait_loadcnt 0x0
	v_cvt_f32_f16_e32 v14, v14
	s_delay_alu instid0(VALU_DEP_2) | instskip(NEXT) | instid1(VALU_DEP_1)
	v_dot4_i32_iu8 v17, v17, v31, 0 neg_lo:[1,1,0]
	v_cvt_f32_i32_e32 v17, v17
	s_delay_alu instid0(VALU_DEP_1) | instskip(NEXT) | instid1(VALU_DEP_1)
	v_pk_fma_f32 v[16:17], v[4:5], v[16:17], v[40:41] neg_lo:[0,0,1] neg_hi:[0,0,1]
	v_pk_mul_f32 v[16:17], v[16:17], v[14:15] op_sel_hi:[1,0]
	s_delay_alu instid0(VALU_DEP_1) | instskip(NEXT) | instid1(VALU_DEP_1)
	v_dual_add_f32 v15, v15, v16 :: v_dual_ashrrev_i32 v16, v198, v19
	v_dual_add_f32 v205, v15, v17 :: v_dual_lshlrev_b32 v17, 4, v16
	v_dual_lshrrev_b32 v15, 4, v18 :: v_dual_lshlrev_b32 v18, 11, v16
	v_dual_lshlrev_b32 v206, 18, v16 :: v_dual_lshlrev_b32 v16, 25, v16
	s_delay_alu instid0(VALU_DEP_3) | instskip(NEXT) | instid1(VALU_DEP_3)
	v_and_b32_e32 v17, 16, v17
	v_and_b32_e32 v15, 0xf0f0f0f, v15
	s_delay_alu instid0(VALU_DEP_4) | instskip(NEXT) | instid1(VALU_DEP_4)
	v_and_b32_e32 v18, 0x1000, v18
	v_and_b32_e32 v206, 0x100000, v206
	;; [unrolled: 1-line block ×3, first 2 shown]
	s_delay_alu instid0(VALU_DEP_1) | instskip(NEXT) | instid1(VALU_DEP_1)
	v_or3_b32 v15, v16, v15, v206
	v_or3_b32 v15, v15, v17, v18
	v_dual_ashrrev_i32 v17, v199, v19 :: v_dual_lshrrev_b32 v16, 4, v204
	s_delay_alu instid0(VALU_DEP_2) | instskip(NEXT) | instid1(VALU_DEP_2)
	v_dot4_i32_iu8 v15, v15, v32, 0 neg_lo:[1,1,0]
	v_dual_lshlrev_b32 v18, 4, v17 :: v_dual_lshlrev_b32 v19, 11, v17
	v_dual_lshlrev_b32 v204, 18, v17 :: v_dual_lshlrev_b32 v17, 25, v17
	s_delay_alu instid0(VALU_DEP_4) | instskip(NEXT) | instid1(VALU_DEP_3)
	v_and_b32_e32 v16, 0xf0f0f0f, v16
	v_and_b32_e32 v18, 16, v18
	s_delay_alu instid0(VALU_DEP_4) | instskip(NEXT) | instid1(VALU_DEP_4)
	v_and_b32_e32 v19, 0x1000, v19
	v_and_b32_e32 v204, 0x100000, v204
	v_and_b32_e32 v17, 0x10000000, v17
	s_delay_alu instid0(VALU_DEP_1) | instskip(NEXT) | instid1(VALU_DEP_1)
	v_or3_b32 v17, v204, v17, v18
	v_or3_b32 v16, v17, v19, v16
	s_delay_alu instid0(VALU_DEP_1) | instskip(NEXT) | instid1(VALU_DEP_1)
	v_dot4_i32_iu8 v16, v16, v33, 0 neg_lo:[1,1,0]
	v_cvt_f32_i32_e32 v17, v16
	v_cvt_f32_i32_e32 v16, v15
	s_delay_alu instid0(VALU_DEP_1) | instskip(NEXT) | instid1(VALU_DEP_1)
	v_pk_fma_f32 v[16:17], v[4:5], v[16:17], v[40:41] neg_lo:[0,0,1] neg_hi:[0,0,1]
	v_pk_mul_f32 v[14:15], v[16:17], v[14:15] op_sel_hi:[1,0]
	s_delay_alu instid0(VALU_DEP_1) | instskip(NEXT) | instid1(VALU_DEP_1)
	v_add_f32_e32 v14, v14, v205
	v_add_f32_e32 v14, v14, v15
	global_load_b32 v15, v[12:13], off offset:72
	s_clause 0x1
	global_load_b32 v16, v[10:11], off offset:68
	global_load_u16 v10, v[10:11], off offset:66
	global_load_b32 v11, v[12:13], off offset:80
	s_wait_loadcnt 0x3
	v_and_b32_e32 v19, 0xf0f0f0f, v15
	s_wait_loadcnt 0x2
	s_wait_xcnt 0x0
	v_dual_ashrrev_i32 v17, v20, v16 :: v_dual_ashrrev_i32 v12, v197, v16
	s_wait_loadcnt 0x1
	v_cvt_f32_f16_e32 v10, v10
	s_delay_alu instid0(VALU_DEP_2) | instskip(SKIP_1) | instid1(VALU_DEP_2)
	v_dual_lshlrev_b32 v18, 4, v17 :: v_dual_lshlrev_b32 v204, 11, v17
	v_dual_lshlrev_b32 v205, 18, v17 :: v_dual_lshlrev_b32 v17, 25, v17
	v_dual_lshlrev_b32 v13, 4, v12 :: v_dual_bitop2_b32 v18, 16, v18 bitop3:0x40
	s_delay_alu instid0(VALU_DEP_3) | instskip(NEXT) | instid1(VALU_DEP_3)
	v_and_b32_e32 v204, 0x1000, v204
	v_and_b32_e32 v205, 0x100000, v205
	s_delay_alu instid0(VALU_DEP_4) | instskip(NEXT) | instid1(VALU_DEP_4)
	v_and_b32_e32 v17, 0x10000000, v17
	v_and_b32_e32 v13, 16, v13
	s_delay_alu instid0(VALU_DEP_2) | instskip(SKIP_1) | instid1(VALU_DEP_2)
	v_or3_b32 v17, v17, v19, v205
	v_lshlrev_b32_e32 v19, 11, v12
	v_or3_b32 v17, v17, v18, v204
	v_dual_lshlrev_b32 v204, 18, v12 :: v_dual_lshlrev_b32 v12, 25, v12
	s_wait_loadcnt 0x0
	v_and_b32_e32 v18, 0xf0f0f0f, v11
	v_and_b32_e32 v19, 0x1000, v19
	v_dot4_i32_iu8 v17, v17, v34, 0 neg_lo:[1,1,0]
	v_and_b32_e32 v204, 0x100000, v204
	v_and_b32_e32 v12, 0x10000000, v12
	s_delay_alu instid0(VALU_DEP_1) | instskip(NEXT) | instid1(VALU_DEP_1)
	v_or3_b32 v12, v204, v12, v13
	v_or3_b32 v12, v12, v19, v18
	s_delay_alu instid0(VALU_DEP_1) | instskip(NEXT) | instid1(VALU_DEP_1)
	v_dot4_i32_iu8 v12, v12, v35, 0 neg_lo:[1,1,0]
	v_cvt_f32_i32_e32 v13, v12
	v_cvt_f32_i32_e32 v12, v17
	s_delay_alu instid0(VALU_DEP_1) | instskip(NEXT) | instid1(VALU_DEP_1)
	v_pk_fma_f32 v[12:13], v[6:7], v[12:13], v[38:39] neg_lo:[0,0,1] neg_hi:[0,0,1]
	v_pk_mul_f32 v[12:13], v[12:13], v[10:11] op_sel_hi:[1,0]
	s_delay_alu instid0(VALU_DEP_1) | instskip(NEXT) | instid1(VALU_DEP_1)
	v_dual_add_f32 v12, v14, v12 :: v_dual_lshrrev_b32 v11, 4, v11
	v_and_b32_e32 v11, 0xf0f0f0f, v11
	s_delay_alu instid0(VALU_DEP_2) | instskip(SKIP_1) | instid1(VALU_DEP_2)
	v_dual_add_f32 v14, v12, v13 :: v_dual_lshrrev_b32 v12, 4, v15
	v_ashrrev_i32_e32 v13, v198, v16
	v_and_b32_e32 v12, 0xf0f0f0f, v12
	s_delay_alu instid0(VALU_DEP_2) | instskip(NEXT) | instid1(VALU_DEP_1)
	v_lshlrev_b32_e32 v15, 4, v13
	v_dual_lshlrev_b32 v17, 11, v13 :: v_dual_bitop2_b32 v15, 16, v15 bitop3:0x40
	v_dual_lshlrev_b32 v18, 18, v13 :: v_dual_lshlrev_b32 v13, 25, v13
	s_delay_alu instid0(VALU_DEP_2) | instskip(NEXT) | instid1(VALU_DEP_2)
	v_and_b32_e32 v17, 0x1000, v17
	v_and_b32_e32 v18, 0x100000, v18
	s_delay_alu instid0(VALU_DEP_3) | instskip(NEXT) | instid1(VALU_DEP_1)
	v_and_b32_e32 v13, 0x10000000, v13
	v_or3_b32 v12, v13, v12, v18
	v_ashrrev_i32_e32 v13, v199, v16
	s_delay_alu instid0(VALU_DEP_2) | instskip(NEXT) | instid1(VALU_DEP_2)
	v_or3_b32 v12, v12, v15, v17
	v_lshlrev_b32_e32 v15, 4, v13
	s_delay_alu instid0(VALU_DEP_2) | instskip(NEXT) | instid1(VALU_DEP_2)
	v_dot4_i32_iu8 v12, v12, v36, 0 neg_lo:[1,1,0]
	v_dual_lshlrev_b32 v16, 11, v13 :: v_dual_bitop2_b32 v15, 16, v15 bitop3:0x40
	v_dual_lshlrev_b32 v17, 18, v13 :: v_dual_lshlrev_b32 v13, 25, v13
	s_delay_alu instid0(VALU_DEP_3) | instskip(NEXT) | instid1(VALU_DEP_3)
	v_cvt_f32_i32_e32 v12, v12
	v_and_b32_e32 v16, 0x1000, v16
	s_delay_alu instid0(VALU_DEP_3) | instskip(NEXT) | instid1(VALU_DEP_4)
	v_and_b32_e32 v17, 0x100000, v17
	v_and_b32_e32 v13, 0x10000000, v13
	s_delay_alu instid0(VALU_DEP_1) | instskip(NEXT) | instid1(VALU_DEP_1)
	v_or3_b32 v13, v17, v13, v15
	v_or3_b32 v11, v13, v16, v11
	s_delay_alu instid0(VALU_DEP_1) | instskip(NEXT) | instid1(VALU_DEP_1)
	v_dot4_i32_iu8 v11, v11, v37, 0 neg_lo:[1,1,0]
	v_cvt_f32_i32_e32 v13, v11
	s_delay_alu instid0(VALU_DEP_1) | instskip(NEXT) | instid1(VALU_DEP_1)
	v_pk_fma_f32 v[12:13], v[6:7], v[12:13], v[38:39] neg_lo:[0,0,1] neg_hi:[0,0,1]
	v_pk_mul_f32 v[10:11], v[12:13], v[10:11] op_sel_hi:[1,0]
	s_delay_alu instid0(VALU_DEP_1) | instskip(NEXT) | instid1(VALU_DEP_1)
	v_add_f32_e32 v10, v10, v14
	v_add_f32_e32 v10, v10, v11
	ds_bpermute_b32 v11, v190, v10
	s_wait_dscnt 0x0
	v_add_f32_e32 v10, v10, v11
                                        ; implicit-def: $vgpr11
	s_delay_alu instid0(VALU_DEP_1) | instskip(SKIP_1) | instid1(SALU_CYCLE_1)
	v_cmp_ngt_f32_e64 s9, 0x3f200000, |v10|
	s_and_saveexec_b32 s10, s9
	s_xor_b32 s9, exec_lo, s10
	s_cbranch_execz .LBB18_13
; %bb.12:                               ;   in Loop: Header=BB18_11 Depth=1
	v_add_f32_e64 v11, |v10|, |v10|
	s_delay_alu instid0(VALU_DEP_1) | instskip(SKIP_1) | instid1(VALU_DEP_2)
	v_mul_f32_e32 v12, 0x3fb8aa3b, v11
	v_cmp_ngt_f32_e32 vcc_lo, 0xc2ce8ed0, v11
	v_rndne_f32_e32 v13, v12
	v_fma_f32 v14, 0x3fb8aa3b, v11, -v12
	s_delay_alu instid0(VALU_DEP_2) | instskip(NEXT) | instid1(VALU_DEP_2)
	v_sub_f32_e32 v12, v12, v13
	v_fmac_f32_e32 v14, 0x32a5705f, v11
	v_cvt_i32_f32_e32 v13, v13
	s_delay_alu instid0(VALU_DEP_2) | instskip(NEXT) | instid1(VALU_DEP_1)
	v_add_f32_e32 v12, v12, v14
	v_exp_f32_e32 v12, v12
	v_nop
	s_delay_alu instid0(TRANS32_DEP_1) | instskip(NEXT) | instid1(VALU_DEP_1)
	v_ldexp_f32 v12, v12, v13
	v_cndmask_b32_e32 v12, 0, v12, vcc_lo
	v_cmp_nlt_f32_e32 vcc_lo, 0x42b17218, v11
	s_delay_alu instid0(VALU_DEP_2) | instskip(NEXT) | instid1(VALU_DEP_1)
	v_cndmask_b32_e32 v11, 0x7f800000, v12, vcc_lo
	v_add_f32_e32 v11, 1.0, v11
	s_delay_alu instid0(VALU_DEP_1) | instskip(SKIP_1) | instid1(TRANS32_DEP_1)
	v_rcp_f32_e32 v11, v11
	v_nop
	v_fma_f32 v11, v11, -2.0, 1.0
.LBB18_13:                              ;   in Loop: Header=BB18_11 Depth=1
	s_and_not1_saveexec_b32 s9, s9
	s_cbranch_execz .LBB18_15
; %bb.14:                               ;   in Loop: Header=BB18_11 Depth=1
	v_mul_f32_e32 v11, v10, v10
	s_delay_alu instid0(VALU_DEP_1) | instskip(NEXT) | instid1(VALU_DEP_1)
	v_fmaak_f32 v12, s8, v11, 0x3ca908c9
	v_fmaak_f32 v12, v11, v12, 0xbd5c1c4e
	s_delay_alu instid0(VALU_DEP_1) | instskip(NEXT) | instid1(VALU_DEP_1)
	v_fmaak_f32 v12, v11, v12, 0x3e088382
	v_fmaak_f32 v12, v11, v12, 0xbeaaaa99
	s_delay_alu instid0(VALU_DEP_1) | instskip(NEXT) | instid1(VALU_DEP_1)
	v_mul_f32_e64 v12, |v10|, v12
	v_fma_f32 v11, v11, v12, |v10|
.LBB18_15:                              ;   in Loop: Header=BB18_11 Depth=1
	s_or_b32 exec_lo, exec_lo, s9
	s_delay_alu instid0(VALU_DEP_1) | instskip(SKIP_1) | instid1(VALU_DEP_1)
	v_bfi_b32 v10, 0x7fffffff, v11, v10
	s_and_not1_b32 vcc_lo, exec_lo, s27
	v_mul_f32_e32 v10, s35, v10
	s_cbranch_vccnz .LBB18_17
; %bb.16:                               ;   in Loop: Header=BB18_11 Depth=1
	global_load_u16 v11, v[48:49], off offset:-2
	s_wait_loadcnt 0x0
	v_fma_mix_f32 v10, v185, v11, v10 op_sel_hi:[0,1,0]
.LBB18_17:                              ;   in Loop: Header=BB18_11 Depth=1
	v_add_nc_u64_e32 v[14:15], s[14:15], v[44:45]
	v_add_nc_u64_e32 v[12:13], s[14:15], v[46:47]
	global_load_b32 v11, v[14:15], off offset:6
	global_load_b32 v16, v[12:13], off offset:2
	s_wait_loadcnt 0x1
	v_and_b32_e32 v19, 0xf0f0f0f, v11
	s_wait_loadcnt 0x0
	v_dual_ashrrev_i32 v17, v20, v16 :: v_dual_lshrrev_b32 v11, 4, v11
	s_delay_alu instid0(VALU_DEP_1) | instskip(NEXT) | instid1(VALU_DEP_2)
	v_lshlrev_b32_e32 v18, 4, v17
	v_and_b32_e32 v11, 0xf0f0f0f, v11
	s_delay_alu instid0(VALU_DEP_2) | instskip(SKIP_1) | instid1(VALU_DEP_2)
	v_dual_lshlrev_b32 v204, 11, v17 :: v_dual_bitop2_b32 v18, 16, v18 bitop3:0x40
	v_dual_lshlrev_b32 v205, 18, v17 :: v_dual_lshlrev_b32 v17, 25, v17
	v_and_b32_e32 v204, 0x1000, v204
	s_delay_alu instid0(VALU_DEP_2) | instskip(NEXT) | instid1(VALU_DEP_3)
	v_and_b32_e32 v205, 0x100000, v205
	v_and_b32_e32 v17, 0x10000000, v17
	s_delay_alu instid0(VALU_DEP_1)
	v_or3_b32 v17, v17, v19, v205
	global_load_b32 v19, v[14:15], off offset:14
	v_or3_b32 v17, v17, v18, v204
	global_load_u16 v18, v[12:13], off
	v_ashrrev_i32_e32 v204, v197, v16
	v_dot4_i32_iu8 v17, v17, v22, 0 neg_lo:[1,1,0]
	s_delay_alu instid0(VALU_DEP_2) | instskip(SKIP_1) | instid1(VALU_DEP_3)
	v_dual_lshlrev_b32 v205, 4, v204 :: v_dual_lshlrev_b32 v207, 11, v204
	v_lshlrev_b32_e32 v208, 18, v204
	v_cvt_f32_i32_e32 v17, v17
	s_delay_alu instid0(VALU_DEP_3) | instskip(NEXT) | instid1(VALU_DEP_4)
	v_dual_lshlrev_b32 v204, 25, v204 :: v_dual_bitop2_b32 v205, 16, v205 bitop3:0x40
	v_and_b32_e32 v207, 0x1000, v207
	s_delay_alu instid0(VALU_DEP_4) | instskip(NEXT) | instid1(VALU_DEP_4)
	v_and_b32_e32 v208, 0x100000, v208
	v_fma_f32 v17, v0, v17, -v1
	s_delay_alu instid0(VALU_DEP_4) | instskip(NEXT) | instid1(VALU_DEP_1)
	v_and_b32_e32 v204, 0x10000000, v204
	v_or3_b32 v204, v208, v204, v205
	s_wait_loadcnt 0x1
	v_and_b32_e32 v206, 0xf0f0f0f, v19
	s_delay_alu instid0(VALU_DEP_1) | instskip(SKIP_2) | instid1(VALU_DEP_2)
	v_or3_b32 v204, v204, v207, v206
	s_wait_loadcnt 0x0
	v_fma_mix_f32 v17, v17, v18, 0 op_sel_hi:[0,1,0]
	v_dot4_i32_iu8 v204, v204, v23, 0 neg_lo:[1,1,0]
	s_delay_alu instid0(VALU_DEP_1) | instskip(NEXT) | instid1(VALU_DEP_1)
	v_cvt_f32_i32_e32 v204, v204
	v_fma_f32 v204, v0, v204, -v1
	s_delay_alu instid0(VALU_DEP_1) | instskip(SKIP_1) | instid1(VALU_DEP_1)
	v_fma_mix_f32 v17, v204, v18, v17 op_sel_hi:[0,1,0]
	v_dual_ashrrev_i32 v204, v198, v16 :: v_dual_ashrrev_i32 v16, v199, v16
	v_dual_lshlrev_b32 v205, 4, v204 :: v_dual_lshlrev_b32 v206, 11, v204
	v_dual_lshlrev_b32 v207, 18, v204 :: v_dual_lshlrev_b32 v204, 25, v204
	s_delay_alu instid0(VALU_DEP_2) | instskip(NEXT) | instid1(VALU_DEP_3)
	v_and_b32_e32 v205, 16, v205
	v_and_b32_e32 v206, 0x1000, v206
	s_delay_alu instid0(VALU_DEP_3) | instskip(NEXT) | instid1(VALU_DEP_4)
	v_and_b32_e32 v207, 0x100000, v207
	v_and_b32_e32 v204, 0x10000000, v204
	s_delay_alu instid0(VALU_DEP_1) | instskip(SKIP_1) | instid1(VALU_DEP_2)
	v_or3_b32 v11, v204, v11, v207
	v_lshlrev_b32_e32 v204, 11, v16
	v_or3_b32 v11, v11, v205, v206
	v_lshlrev_b32_e32 v205, 18, v16
	s_delay_alu instid0(VALU_DEP_3) | instskip(NEXT) | instid1(VALU_DEP_3)
	v_and_b32_e32 v204, 0x1000, v204
	v_dot4_i32_iu8 v11, v11, v24, 0 neg_lo:[1,1,0]
	s_delay_alu instid0(VALU_DEP_3) | instskip(NEXT) | instid1(VALU_DEP_2)
	v_and_b32_e32 v205, 0x100000, v205
	v_cvt_f32_i32_e32 v11, v11
	s_delay_alu instid0(VALU_DEP_1) | instskip(NEXT) | instid1(VALU_DEP_1)
	v_fma_f32 v11, v0, v11, -v1
	v_fma_mix_f32 v11, v11, v18, v17 op_sel_hi:[0,1,0]
	v_dual_lshrrev_b32 v17, 4, v19 :: v_dual_lshlrev_b32 v19, 4, v16
	v_lshlrev_b32_e32 v16, 25, v16
	s_delay_alu instid0(VALU_DEP_2) | instskip(NEXT) | instid1(VALU_DEP_3)
	v_and_b32_e32 v17, 0xf0f0f0f, v17
	v_and_b32_e32 v19, 16, v19
	s_delay_alu instid0(VALU_DEP_3) | instskip(NEXT) | instid1(VALU_DEP_1)
	v_and_b32_e32 v16, 0x10000000, v16
	v_or3_b32 v16, v205, v16, v19
	s_delay_alu instid0(VALU_DEP_1) | instskip(NEXT) | instid1(VALU_DEP_1)
	v_or3_b32 v16, v16, v204, v17
	v_dot4_i32_iu8 v16, v16, v25, 0 neg_lo:[1,1,0]
	s_delay_alu instid0(VALU_DEP_1) | instskip(NEXT) | instid1(VALU_DEP_1)
	v_cvt_f32_i32_e32 v16, v16
	v_fma_f32 v16, v0, v16, -v1
	s_delay_alu instid0(VALU_DEP_1)
	v_fma_mix_f32 v11, v16, v18, v11 op_sel_hi:[0,1,0]
	global_load_b32 v17, v[14:15], off offset:28
	global_load_b32 v18, v[12:13], off offset:24
	s_wait_loadcnt 0x1
	v_and_b32_e32 v204, 0xf0f0f0f, v17
	s_wait_loadcnt 0x0
	v_ashrrev_i32_e32 v16, v20, v18
	s_delay_alu instid0(VALU_DEP_1) | instskip(SKIP_1) | instid1(VALU_DEP_2)
	v_dual_lshlrev_b32 v19, 4, v16 :: v_dual_lshlrev_b32 v205, 11, v16
	v_dual_lshlrev_b32 v206, 18, v16 :: v_dual_lshlrev_b32 v16, 25, v16
	v_and_b32_e32 v19, 16, v19
	s_delay_alu instid0(VALU_DEP_3) | instskip(NEXT) | instid1(VALU_DEP_3)
	v_and_b32_e32 v205, 0x1000, v205
	v_and_b32_e32 v206, 0x100000, v206
	s_delay_alu instid0(VALU_DEP_4) | instskip(NEXT) | instid1(VALU_DEP_1)
	v_and_b32_e32 v16, 0x10000000, v16
	v_or3_b32 v16, v16, v204, v206
	global_load_u16 v204, v[12:13], off offset:22
	v_or3_b32 v16, v16, v19, v205
	v_ashrrev_i32_e32 v205, v197, v18
	s_delay_alu instid0(VALU_DEP_2) | instskip(NEXT) | instid1(VALU_DEP_2)
	v_dot4_i32_iu8 v19, v16, v26, 0 neg_lo:[1,1,0]
	v_dual_lshlrev_b32 v206, 4, v205 :: v_dual_lshlrev_b32 v208, 11, v205
	v_dual_lshlrev_b32 v209, 18, v205 :: v_dual_lshlrev_b32 v205, 25, v205
	s_delay_alu instid0(VALU_DEP_3) | instskip(NEXT) | instid1(VALU_DEP_3)
	v_cvt_f32_i32_e32 v19, v19
	v_and_b32_e32 v206, 16, v206
	s_delay_alu instid0(VALU_DEP_4) | instskip(NEXT) | instid1(VALU_DEP_4)
	v_and_b32_e32 v208, 0x1000, v208
	v_and_b32_e32 v209, 0x100000, v209
	;; [unrolled: 1-line block ×3, first 2 shown]
	v_fma_f32 v19, v2, v19, -v42
	s_delay_alu instid0(VALU_DEP_2) | instskip(SKIP_1) | instid1(VALU_DEP_2)
	v_or3_b32 v205, v209, v205, v206
	s_wait_loadcnt 0x0
	v_fma_mix_f32 v11, v19, v204, v11 op_sel_hi:[0,1,0]
	global_load_b32 v19, v[14:15], off offset:36
	v_cvt_f32_f16_e64 v16, v204
	s_wait_loadcnt 0x0
	v_and_b32_e32 v207, 0xf0f0f0f, v19
	v_lshrrev_b32_e32 v19, 4, v19
	s_delay_alu instid0(VALU_DEP_2) | instskip(NEXT) | instid1(VALU_DEP_2)
	v_or3_b32 v205, v205, v208, v207
	v_and_b32_e32 v19, 0xf0f0f0f, v19
	s_delay_alu instid0(VALU_DEP_2) | instskip(NEXT) | instid1(VALU_DEP_1)
	v_dot4_i32_iu8 v205, v205, v27, 0 neg_lo:[1,1,0]
	v_cvt_f32_i32_e32 v205, v205
	s_delay_alu instid0(VALU_DEP_1) | instskip(NEXT) | instid1(VALU_DEP_1)
	v_fma_f32 v205, v2, v205, -v42
	v_fma_mix_f32 v11, v205, v204, v11 op_sel_hi:[0,1,0]
	v_dual_ashrrev_i32 v204, v198, v18 :: v_dual_lshrrev_b32 v17, 4, v17
	s_delay_alu instid0(VALU_DEP_1) | instskip(SKIP_2) | instid1(VALU_DEP_4)
	v_dual_ashrrev_i32 v18, v199, v18 :: v_dual_lshlrev_b32 v205, 4, v204
	v_dual_lshlrev_b32 v206, 11, v204 :: v_dual_lshlrev_b32 v207, 18, v204
	v_lshlrev_b32_e32 v204, 25, v204
	v_and_b32_e32 v17, 0xf0f0f0f, v17
	s_delay_alu instid0(VALU_DEP_4) | instskip(NEXT) | instid1(VALU_DEP_4)
	v_and_b32_e32 v205, 16, v205
	v_and_b32_e32 v206, 0x1000, v206
	;; [unrolled: 1-line block ×4, first 2 shown]
	s_delay_alu instid0(VALU_DEP_1) | instskip(SKIP_1) | instid1(VALU_DEP_2)
	v_or3_b32 v17, v204, v17, v207
	v_lshlrev_b32_e32 v204, 4, v18
	v_or3_b32 v17, v17, v205, v206
	s_delay_alu instid0(VALU_DEP_2) | instskip(SKIP_1) | instid1(VALU_DEP_3)
	v_dual_lshlrev_b32 v205, 11, v18 :: v_dual_bitop2_b32 v204, 16, v204 bitop3:0x40
	v_dual_lshlrev_b32 v206, 18, v18 :: v_dual_lshlrev_b32 v18, 25, v18
	v_dot4_i32_iu8 v17, v17, v28, 0 neg_lo:[1,1,0]
	s_delay_alu instid0(VALU_DEP_3) | instskip(NEXT) | instid1(VALU_DEP_3)
	v_and_b32_e32 v205, 0x1000, v205
	v_and_b32_e32 v206, 0x100000, v206
	s_delay_alu instid0(VALU_DEP_4) | instskip(NEXT) | instid1(VALU_DEP_1)
	v_and_b32_e32 v18, 0x10000000, v18
	v_or3_b32 v18, v206, v18, v204
	s_delay_alu instid0(VALU_DEP_1) | instskip(NEXT) | instid1(VALU_DEP_1)
	v_or3_b32 v18, v18, v205, v19
	v_dot4_i32_iu8 v18, v18, v29, 0 neg_lo:[1,1,0]
	s_delay_alu instid0(VALU_DEP_1) | instskip(SKIP_1) | instid1(VALU_DEP_1)
	v_cvt_f32_i32_e32 v19, v18
	v_cvt_f32_i32_e32 v18, v17
	v_pk_fma_f32 v[18:19], v[2:3], v[18:19], v[42:43] neg_lo:[0,0,1] neg_hi:[0,0,1]
	s_delay_alu instid0(VALU_DEP_1) | instskip(NEXT) | instid1(VALU_DEP_1)
	v_pk_mul_f32 v[16:17], v[18:19], v[16:17] op_sel_hi:[1,0]
	v_add_f32_e32 v11, v16, v11
	s_delay_alu instid0(VALU_DEP_1)
	v_add_f32_e32 v11, v11, v17
	global_load_b32 v17, v[14:15], off offset:50
	global_load_b32 v204, v[12:13], off offset:46
	s_wait_loadcnt 0x1
	v_and_b32_e32 v19, 0xf0f0f0f, v17
	s_wait_loadcnt 0x0
	v_ashrrev_i32_e32 v16, v20, v204
	s_delay_alu instid0(VALU_DEP_1) | instskip(SKIP_1) | instid1(VALU_DEP_2)
	v_dual_lshlrev_b32 v18, 4, v16 :: v_dual_lshlrev_b32 v205, 11, v16
	v_dual_lshlrev_b32 v206, 18, v16 :: v_dual_lshlrev_b32 v16, 25, v16
	v_and_b32_e32 v18, 16, v18
	s_delay_alu instid0(VALU_DEP_3) | instskip(NEXT) | instid1(VALU_DEP_3)
	v_and_b32_e32 v205, 0x1000, v205
	v_and_b32_e32 v206, 0x100000, v206
	s_delay_alu instid0(VALU_DEP_4) | instskip(NEXT) | instid1(VALU_DEP_1)
	v_and_b32_e32 v16, 0x10000000, v16
	v_or3_b32 v16, v16, v19, v206
	v_ashrrev_i32_e32 v19, v197, v204
	s_delay_alu instid0(VALU_DEP_2)
	v_or3_b32 v16, v16, v18, v205
	global_load_b32 v205, v[14:15], off offset:58
	v_lshlrev_b32_e32 v206, 4, v19
	v_dot4_i32_iu8 v18, v16, v30, 0 neg_lo:[1,1,0]
	global_load_u16 v16, v[12:13], off offset:44
	v_dual_lshlrev_b32 v208, 11, v19 :: v_dual_bitop2_b32 v206, 16, v206 bitop3:0x40
	v_dual_lshlrev_b32 v209, 18, v19 :: v_dual_lshlrev_b32 v19, 25, v19
	v_cvt_f32_i32_e32 v18, v18
	s_delay_alu instid0(VALU_DEP_3) | instskip(NEXT) | instid1(VALU_DEP_3)
	v_and_b32_e32 v208, 0x1000, v208
	v_and_b32_e32 v209, 0x100000, v209
	s_delay_alu instid0(VALU_DEP_4) | instskip(NEXT) | instid1(VALU_DEP_1)
	v_and_b32_e32 v19, 0x10000000, v19
	v_or3_b32 v19, v209, v19, v206
	s_wait_loadcnt 0x1
	v_and_b32_e32 v207, 0xf0f0f0f, v205
	s_delay_alu instid0(VALU_DEP_1) | instskip(SKIP_2) | instid1(VALU_DEP_2)
	v_or3_b32 v19, v19, v208, v207
	s_wait_loadcnt 0x0
	v_cvt_f32_f16_e32 v16, v16
	v_dot4_i32_iu8 v19, v19, v31, 0 neg_lo:[1,1,0]
	s_delay_alu instid0(VALU_DEP_1) | instskip(NEXT) | instid1(VALU_DEP_1)
	v_cvt_f32_i32_e32 v19, v19
	v_pk_fma_f32 v[18:19], v[4:5], v[18:19], v[40:41] neg_lo:[0,0,1] neg_hi:[0,0,1]
	s_delay_alu instid0(VALU_DEP_1) | instskip(NEXT) | instid1(VALU_DEP_1)
	v_pk_mul_f32 v[18:19], v[18:19], v[16:17] op_sel_hi:[1,0]
	v_dual_lshrrev_b32 v17, 4, v17 :: v_dual_add_f32 v11, v11, v18
	v_ashrrev_i32_e32 v18, v198, v204
	s_delay_alu instid0(VALU_DEP_2) | instskip(NEXT) | instid1(VALU_DEP_2)
	v_and_b32_e32 v17, 0xf0f0f0f, v17
	v_dual_add_f32 v11, v11, v19 :: v_dual_lshlrev_b32 v19, 4, v18
	v_dual_lshlrev_b32 v206, 11, v18 :: v_dual_lshlrev_b32 v207, 18, v18
	s_delay_alu instid0(VALU_DEP_2) | instskip(NEXT) | instid1(VALU_DEP_2)
	v_dual_lshlrev_b32 v18, 25, v18 :: v_dual_bitop2_b32 v19, 16, v19 bitop3:0x40
	v_and_b32_e32 v206, 0x1000, v206
	s_delay_alu instid0(VALU_DEP_3) | instskip(NEXT) | instid1(VALU_DEP_3)
	v_and_b32_e32 v207, 0x100000, v207
	v_and_b32_e32 v18, 0x10000000, v18
	s_delay_alu instid0(VALU_DEP_1) | instskip(NEXT) | instid1(VALU_DEP_1)
	v_or3_b32 v17, v18, v17, v207
	v_or3_b32 v17, v17, v19, v206
	v_dual_ashrrev_i32 v19, v199, v204 :: v_dual_lshrrev_b32 v18, 4, v205
	s_delay_alu instid0(VALU_DEP_2) | instskip(NEXT) | instid1(VALU_DEP_2)
	v_dot4_i32_iu8 v17, v17, v32, 0 neg_lo:[1,1,0]
	v_dual_lshlrev_b32 v204, 4, v19 :: v_dual_lshlrev_b32 v205, 11, v19
	v_dual_lshlrev_b32 v206, 18, v19 :: v_dual_lshlrev_b32 v19, 25, v19
	s_delay_alu instid0(VALU_DEP_4) | instskip(NEXT) | instid1(VALU_DEP_3)
	v_and_b32_e32 v18, 0xf0f0f0f, v18
	v_and_b32_e32 v204, 16, v204
	s_delay_alu instid0(VALU_DEP_4) | instskip(NEXT) | instid1(VALU_DEP_4)
	v_and_b32_e32 v205, 0x1000, v205
	v_and_b32_e32 v206, 0x100000, v206
	;; [unrolled: 1-line block ×3, first 2 shown]
	s_delay_alu instid0(VALU_DEP_1) | instskip(NEXT) | instid1(VALU_DEP_1)
	v_or3_b32 v19, v206, v19, v204
	v_or3_b32 v18, v19, v205, v18
	s_delay_alu instid0(VALU_DEP_1) | instskip(NEXT) | instid1(VALU_DEP_1)
	v_dot4_i32_iu8 v18, v18, v33, 0 neg_lo:[1,1,0]
	v_cvt_f32_i32_e32 v19, v18
	v_cvt_f32_i32_e32 v18, v17
	s_delay_alu instid0(VALU_DEP_1) | instskip(NEXT) | instid1(VALU_DEP_1)
	v_pk_fma_f32 v[18:19], v[4:5], v[18:19], v[40:41] neg_lo:[0,0,1] neg_hi:[0,0,1]
	v_pk_mul_f32 v[16:17], v[18:19], v[16:17] op_sel_hi:[1,0]
	s_delay_alu instid0(VALU_DEP_1) | instskip(NEXT) | instid1(VALU_DEP_1)
	v_add_f32_e32 v11, v16, v11
	v_add_f32_e32 v11, v11, v17
	global_load_b32 v16, v[14:15], off offset:72
	s_clause 0x1
	global_load_b32 v17, v[12:13], off offset:68
	global_load_u16 v12, v[12:13], off offset:66
	global_load_b32 v13, v[14:15], off offset:80
	s_wait_loadcnt 0x3
	v_and_b32_e32 v204, 0xf0f0f0f, v16
	s_wait_loadcnt 0x2
	s_wait_xcnt 0x0
	v_dual_ashrrev_i32 v18, v20, v17 :: v_dual_ashrrev_i32 v14, v197, v17
	s_wait_loadcnt 0x1
	v_cvt_f32_f16_e32 v12, v12
	s_delay_alu instid0(VALU_DEP_2) | instskip(SKIP_1) | instid1(VALU_DEP_2)
	v_dual_lshlrev_b32 v19, 4, v18 :: v_dual_lshlrev_b32 v205, 11, v18
	v_dual_lshlrev_b32 v206, 18, v18 :: v_dual_lshlrev_b32 v18, 25, v18
	v_dual_lshlrev_b32 v15, 4, v14 :: v_dual_bitop2_b32 v19, 16, v19 bitop3:0x40
	s_delay_alu instid0(VALU_DEP_3) | instskip(NEXT) | instid1(VALU_DEP_3)
	v_and_b32_e32 v205, 0x1000, v205
	v_and_b32_e32 v206, 0x100000, v206
	s_delay_alu instid0(VALU_DEP_4) | instskip(NEXT) | instid1(VALU_DEP_4)
	v_and_b32_e32 v18, 0x10000000, v18
	v_and_b32_e32 v15, 16, v15
	s_delay_alu instid0(VALU_DEP_2) | instskip(SKIP_1) | instid1(VALU_DEP_2)
	v_or3_b32 v18, v18, v204, v206
	v_lshlrev_b32_e32 v204, 11, v14
	v_or3_b32 v18, v18, v19, v205
	v_dual_lshlrev_b32 v205, 18, v14 :: v_dual_lshlrev_b32 v14, 25, v14
	s_wait_loadcnt 0x0
	v_and_b32_e32 v19, 0xf0f0f0f, v13
	v_and_b32_e32 v204, 0x1000, v204
	v_dot4_i32_iu8 v18, v18, v34, 0 neg_lo:[1,1,0]
	v_and_b32_e32 v205, 0x100000, v205
	v_and_b32_e32 v14, 0x10000000, v14
	s_delay_alu instid0(VALU_DEP_1) | instskip(NEXT) | instid1(VALU_DEP_1)
	v_or3_b32 v14, v205, v14, v15
	v_or3_b32 v14, v14, v204, v19
	s_delay_alu instid0(VALU_DEP_1) | instskip(NEXT) | instid1(VALU_DEP_1)
	v_dot4_i32_iu8 v14, v14, v35, 0 neg_lo:[1,1,0]
	v_cvt_f32_i32_e32 v15, v14
	v_cvt_f32_i32_e32 v14, v18
	s_delay_alu instid0(VALU_DEP_1) | instskip(NEXT) | instid1(VALU_DEP_1)
	v_pk_fma_f32 v[14:15], v[6:7], v[14:15], v[38:39] neg_lo:[0,0,1] neg_hi:[0,0,1]
	v_pk_mul_f32 v[14:15], v[14:15], v[12:13] op_sel_hi:[1,0]
	s_delay_alu instid0(VALU_DEP_1) | instskip(SKIP_1) | instid1(VALU_DEP_2)
	v_dual_lshrrev_b32 v13, 4, v13 :: v_dual_add_f32 v11, v11, v14
	v_lshrrev_b32_e32 v14, 4, v16
	v_and_b32_e32 v13, 0xf0f0f0f, v13
	s_delay_alu instid0(VALU_DEP_3) | instskip(NEXT) | instid1(VALU_DEP_3)
	v_dual_add_f32 v11, v11, v15 :: v_dual_ashrrev_i32 v15, v198, v17
	v_and_b32_e32 v14, 0xf0f0f0f, v14
	s_delay_alu instid0(VALU_DEP_2) | instskip(SKIP_1) | instid1(VALU_DEP_2)
	v_dual_lshlrev_b32 v16, 4, v15 :: v_dual_lshlrev_b32 v18, 11, v15
	v_dual_lshlrev_b32 v19, 18, v15 :: v_dual_lshlrev_b32 v15, 25, v15
	v_and_b32_e32 v16, 16, v16
	s_delay_alu instid0(VALU_DEP_3) | instskip(NEXT) | instid1(VALU_DEP_3)
	v_and_b32_e32 v18, 0x1000, v18
	v_and_b32_e32 v19, 0x100000, v19
	s_delay_alu instid0(VALU_DEP_4) | instskip(NEXT) | instid1(VALU_DEP_1)
	v_and_b32_e32 v15, 0x10000000, v15
	v_or3_b32 v14, v15, v14, v19
	v_ashrrev_i32_e32 v15, v199, v17
	s_delay_alu instid0(VALU_DEP_2) | instskip(NEXT) | instid1(VALU_DEP_2)
	v_or3_b32 v14, v14, v16, v18
	v_lshlrev_b32_e32 v16, 4, v15
	s_delay_alu instid0(VALU_DEP_2) | instskip(NEXT) | instid1(VALU_DEP_2)
	v_dot4_i32_iu8 v14, v14, v36, 0 neg_lo:[1,1,0]
	v_dual_lshlrev_b32 v17, 11, v15 :: v_dual_bitop2_b32 v16, 16, v16 bitop3:0x40
	v_dual_lshlrev_b32 v18, 18, v15 :: v_dual_lshlrev_b32 v15, 25, v15
	s_delay_alu instid0(VALU_DEP_3) | instskip(NEXT) | instid1(VALU_DEP_3)
	v_cvt_f32_i32_e32 v14, v14
	v_and_b32_e32 v17, 0x1000, v17
	s_delay_alu instid0(VALU_DEP_3) | instskip(NEXT) | instid1(VALU_DEP_4)
	v_and_b32_e32 v18, 0x100000, v18
	v_and_b32_e32 v15, 0x10000000, v15
	s_delay_alu instid0(VALU_DEP_1) | instskip(NEXT) | instid1(VALU_DEP_1)
	v_or3_b32 v15, v18, v15, v16
	v_or3_b32 v13, v15, v17, v13
	s_delay_alu instid0(VALU_DEP_1) | instskip(NEXT) | instid1(VALU_DEP_1)
	v_dot4_i32_iu8 v13, v13, v37, 0 neg_lo:[1,1,0]
	v_cvt_f32_i32_e32 v15, v13
	s_delay_alu instid0(VALU_DEP_1) | instskip(NEXT) | instid1(VALU_DEP_1)
	v_pk_fma_f32 v[14:15], v[6:7], v[14:15], v[38:39] neg_lo:[0,0,1] neg_hi:[0,0,1]
	v_pk_mul_f32 v[12:13], v[14:15], v[12:13] op_sel_hi:[1,0]
	s_delay_alu instid0(VALU_DEP_1) | instskip(NEXT) | instid1(VALU_DEP_1)
	v_add_f32_e32 v11, v12, v11
	v_add_f32_e32 v11, v11, v13
	ds_bpermute_b32 v12, v190, v11
	s_wait_dscnt 0x0
	v_add_f32_e32 v11, v11, v12
                                        ; implicit-def: $vgpr12
	s_delay_alu instid0(VALU_DEP_1) | instskip(SKIP_1) | instid1(SALU_CYCLE_1)
	v_cmp_ngt_f32_e64 s9, 0x3f200000, |v11|
	s_and_saveexec_b32 s10, s9
	s_xor_b32 s9, exec_lo, s10
	s_cbranch_execz .LBB18_19
; %bb.18:                               ;   in Loop: Header=BB18_11 Depth=1
	v_add_f32_e64 v12, |v11|, |v11|
	s_delay_alu instid0(VALU_DEP_1) | instskip(SKIP_1) | instid1(VALU_DEP_2)
	v_mul_f32_e32 v13, 0x3fb8aa3b, v12
	v_cmp_ngt_f32_e32 vcc_lo, 0xc2ce8ed0, v12
	v_rndne_f32_e32 v14, v13
	v_fma_f32 v15, 0x3fb8aa3b, v12, -v13
	s_delay_alu instid0(VALU_DEP_2) | instskip(NEXT) | instid1(VALU_DEP_2)
	v_sub_f32_e32 v13, v13, v14
	v_fmac_f32_e32 v15, 0x32a5705f, v12
	v_cvt_i32_f32_e32 v14, v14
	s_delay_alu instid0(VALU_DEP_2) | instskip(NEXT) | instid1(VALU_DEP_1)
	v_add_f32_e32 v13, v13, v15
	v_exp_f32_e32 v13, v13
	v_nop
	s_delay_alu instid0(TRANS32_DEP_1) | instskip(NEXT) | instid1(VALU_DEP_1)
	v_ldexp_f32 v13, v13, v14
	v_cndmask_b32_e32 v13, 0, v13, vcc_lo
	v_cmp_nlt_f32_e32 vcc_lo, 0x42b17218, v12
	s_delay_alu instid0(VALU_DEP_2) | instskip(NEXT) | instid1(VALU_DEP_1)
	v_cndmask_b32_e32 v12, 0x7f800000, v13, vcc_lo
	v_add_f32_e32 v12, 1.0, v12
	s_delay_alu instid0(VALU_DEP_1) | instskip(SKIP_1) | instid1(TRANS32_DEP_1)
	v_rcp_f32_e32 v12, v12
	v_nop
	v_fma_f32 v12, v12, -2.0, 1.0
.LBB18_19:                              ;   in Loop: Header=BB18_11 Depth=1
	s_and_not1_saveexec_b32 s9, s9
	s_cbranch_execz .LBB18_21
; %bb.20:                               ;   in Loop: Header=BB18_11 Depth=1
	v_mul_f32_e32 v12, v11, v11
	s_delay_alu instid0(VALU_DEP_1) | instskip(NEXT) | instid1(VALU_DEP_1)
	v_fmaak_f32 v13, s8, v12, 0x3ca908c9
	v_fmaak_f32 v13, v12, v13, 0xbd5c1c4e
	s_delay_alu instid0(VALU_DEP_1) | instskip(NEXT) | instid1(VALU_DEP_1)
	v_fmaak_f32 v13, v12, v13, 0x3e088382
	v_fmaak_f32 v13, v12, v13, 0xbeaaaa99
	s_delay_alu instid0(VALU_DEP_1) | instskip(NEXT) | instid1(VALU_DEP_1)
	v_mul_f32_e64 v13, |v11|, v13
	v_fma_f32 v12, v12, v13, |v11|
.LBB18_21:                              ;   in Loop: Header=BB18_11 Depth=1
	s_or_b32 exec_lo, exec_lo, s9
	s_delay_alu instid0(VALU_DEP_1) | instskip(SKIP_1) | instid1(VALU_DEP_1)
	v_bfi_b32 v11, 0x7fffffff, v12, v11
	s_and_not1_b32 vcc_lo, exec_lo, s27
	v_mul_f32_e32 v11, s35, v11
	s_cbranch_vccnz .LBB18_23
; %bb.22:                               ;   in Loop: Header=BB18_11 Depth=1
	global_load_u16 v12, v[48:49], off
	s_wait_loadcnt 0x0
	v_fma_mix_f32 v11, v185, v12, v11 op_sel_hi:[0,1,0]
.LBB18_23:                              ;   in Loop: Header=BB18_11 Depth=1
	s_delay_alu instid0(VALU_DEP_1)
	v_dual_add_f32 v12, 0x40051340, v10 :: v_dual_add_f32 v13, 0x40051340, v11
	v_add_nc_u64_e32 v[210:211], s[4:5], v[50:51]
	v_add_nc_u64_e32 v[212:213], s[4:5], v[52:53]
	;; [unrolled: 1-line block ×4, first 2 shown]
	v_max3_num_f32 v12, v9, v12, v13
	v_add_nc_u64_e32 v[48:49], s[6:7], v[48:49]
	v_add_nc_u64_e32 v[50:51], s[22:23], v[50:51]
	;; [unrolled: 1-line block ×4, first 2 shown]
	ds_bpermute_b32 v13, v191, v12
	v_add_nc_u64_e32 v[62:63], s[36:37], v[62:63]
	s_add_co_i32 s34, s34, s20
	v_cndmask_b32_e64 v10, v11, v10, s3
	s_cmp_ge_i32 s34, s30
	s_wait_dscnt 0x0
	v_max_num_f32_e32 v13, v13, v13
	s_delay_alu instid0(VALU_DEP_1) | instskip(SKIP_3) | instid1(VALU_DEP_1)
	v_max_num_f32_e32 v12, v12, v13
	ds_bpermute_b32 v13, v192, v12
	s_wait_dscnt 0x0
	v_max_num_f32_e32 v13, v13, v13
	v_max_num_f32_e32 v12, v12, v13
	ds_bpermute_b32 v13, v193, v12
	s_wait_dscnt 0x0
	v_max_num_f32_e32 v13, v13, v13
	s_delay_alu instid0(VALU_DEP_1) | instskip(SKIP_3) | instid1(VALU_DEP_1)
	v_max_num_f32_e32 v12, v12, v13
	ds_bpermute_b32 v13, v194, v12
	s_wait_dscnt 0x0
	v_max_num_f32_e32 v13, v13, v13
	v_max_num_f32_e32 v204, v12, v13
	s_delay_alu instid0(VALU_DEP_1) | instskip(NEXT) | instid1(VALU_DEP_1)
	v_sub_f32_e32 v9, v9, v204
	v_mul_f32_e32 v11, 0x3fb8aa3b, v9
	v_cmp_ngt_f32_e32 vcc_lo, 0xc2ce8ed0, v9
	s_delay_alu instid0(VALU_DEP_2) | instskip(SKIP_1) | instid1(VALU_DEP_2)
	v_fma_f32 v12, 0x3fb8aa3b, v9, -v11
	v_rndne_f32_e32 v13, v11
	v_fmac_f32_e32 v12, 0x32a5705f, v9
	s_delay_alu instid0(VALU_DEP_2) | instskip(NEXT) | instid1(VALU_DEP_1)
	v_dual_sub_f32 v11, v11, v13 :: v_dual_sub_f32 v10, v10, v204
	v_add_f32_e32 v11, v11, v12
	v_cvt_i32_f32_e32 v12, v13
	s_delay_alu instid0(VALU_DEP_2) | instskip(SKIP_1) | instid1(TRANS32_DEP_1)
	v_exp_f32_e32 v11, v11
	v_nop
	v_ldexp_f32 v11, v11, v12
	s_delay_alu instid0(VALU_DEP_1) | instskip(SKIP_1) | instid1(VALU_DEP_2)
	v_cndmask_b32_e32 v11, 0, v11, vcc_lo
	v_cmp_nlt_f32_e32 vcc_lo, 0x42b17218, v9
	v_cndmask_b32_e32 v9, 0x7f800000, v11, vcc_lo
	v_mul_f32_e32 v11, 0x3fb8aa3b, v10
	v_cmp_ngt_f32_e32 vcc_lo, 0xc2ce8ed0, v10
	s_delay_alu instid0(VALU_DEP_2) | instskip(SKIP_1) | instid1(VALU_DEP_1)
	v_fma_f32 v12, 0x3fb8aa3b, v10, -v11
	v_rndne_f32_e32 v13, v11
	v_dual_fmac_f32 v12, 0x32a5705f, v10 :: v_dual_sub_f32 v11, v11, v13
	s_delay_alu instid0(VALU_DEP_1) | instskip(SKIP_1) | instid1(VALU_DEP_2)
	v_add_f32_e32 v11, v11, v12
	v_cvt_i32_f32_e32 v12, v13
	v_exp_f32_e32 v11, v11
	v_nop
	s_delay_alu instid0(TRANS32_DEP_1) | instskip(NEXT) | instid1(VALU_DEP_1)
	v_ldexp_f32 v11, v11, v12
	v_cndmask_b32_e32 v11, 0, v11, vcc_lo
	v_cmp_nlt_f32_e32 vcc_lo, 0x42b17218, v10
	s_delay_alu instid0(VALU_DEP_2) | instskip(NEXT) | instid1(VALU_DEP_1)
	v_cndmask_b32_e32 v10, 0x7f800000, v11, vcc_lo
	v_fma_f32 v189, v189, v9, v10
	v_cvt_f16_f32_e32 v9, v9
	s_delay_alu instid0(VALU_DEP_1) | instskip(NEXT) | instid1(VALU_DEP_1)
	v_and_b32_e32 v9, 0xffff, v9
	v_mul_u32_u24_e32 v9, 0x10001, v9
	s_delay_alu instid0(VALU_DEP_1)
	v_pk_mul_f16 v205, v8, v9
	v_cvt_f16_f32_e32 v8, v10
	v_pk_mul_f16 v21, v21, v9
	ds_store_b16 v187, v8
	ds_load_b128 v[206:209], v195
	ds_load_b128 v[16:19], v195 offset:16
	ds_load_b128 v[12:15], v195 offset:32
	;; [unrolled: 1-line block ×3, first 2 shown]
	global_load_b32 v212, v[212:213], off
	s_clause 0x1
	global_load_b32 v213, v[210:211], off offset:2
	global_load_u16 v210, v[210:211], off
	s_wait_dscnt 0x3
	v_lshrrev_b32_e32 v214, 16, v206
	v_and_b32_e32 v206, 0xffff, v206
	v_dual_lshrrev_b32 v215, 16, v207 :: v_dual_lshrrev_b32 v216, 16, v208
	v_lshrrev_b32_e32 v217, 16, v209
	s_delay_alu instid0(VALU_DEP_3)
	v_mul_u32_u24_e32 v206, 0x10001, v206
	s_wait_loadcnt 0x1
	v_dual_lshrrev_b32 v218, v196, v213 :: v_dual_lshrrev_b32 v219, v201, v213
	v_ashrrev_i32_e32 v212, v200, v212
	s_wait_loadcnt 0x0
	v_mul_u32_u24_e32 v210, 0x10001, v210
	s_delay_alu instid0(VALU_DEP_3) | instskip(NEXT) | instid1(VALU_DEP_3)
	v_dual_lshlrev_b32 v218, 4, v218 :: v_dual_lshlrev_b32 v219, 12, v219
	v_and_b32_e32 v212, 0xf0f0f0f, v212
	s_delay_alu instid0(VALU_DEP_2) | instskip(NEXT) | instid1(VALU_DEP_3)
	v_and_b32_e32 v218, 16, v218
	v_and_b32_e32 v219, 0x1000, v219
	s_delay_alu instid0(VALU_DEP_1) | instskip(SKIP_1) | instid1(VALU_DEP_1)
	v_or3_b32 v218, v218, v212, v219
	v_dual_lshrrev_b32 v219, v202, v213 :: v_dual_lshrrev_b32 v213, v203, v213
	v_dual_lshlrev_b32 v219, 20, v219 :: v_dual_lshlrev_b32 v213, 28, v213
	s_delay_alu instid0(VALU_DEP_1) | instskip(NEXT) | instid1(VALU_DEP_2)
	v_and_b32_e32 v219, 0x100000, v219
	v_and_b32_e32 v213, 0x10000000, v213
	s_delay_alu instid0(VALU_DEP_1) | instskip(SKIP_1) | instid1(VALU_DEP_1)
	v_or3_b32 v212, v212, v219, v213
	v_lshlrev_b16 v213, 8, v218
	v_add_nc_u16 v213, 0xf000, v213
	s_delay_alu instid0(VALU_DEP_1) | instskip(NEXT) | instid1(VALU_DEP_1)
	v_lshrrev_b16 v213, 8, v213
	v_bitop3_b16 v213, v218, v213, 0x1f00 bitop3:0xec
	s_delay_alu instid0(VALU_DEP_1) | instskip(NEXT) | instid1(VALU_DEP_1)
	v_add_nc_u16 v213, 0xf000, v213
	v_dual_lshrrev_b32 v212, 16, v212 :: v_dual_lshrrev_b32 v211, 8, v213
	s_delay_alu instid0(VALU_DEP_1) | instskip(SKIP_2) | instid1(VALU_DEP_4)
	v_lshlrev_b16 v218, 8, v212
	v_and_b32_e32 v212, 0x1f00, v212
	v_bfe_i32 v213, v213, 0, 8
	v_bfe_i32 v211, v211, 0, 8
	s_delay_alu instid0(VALU_DEP_4) | instskip(NEXT) | instid1(VALU_DEP_4)
	v_add_nc_u16 v218, 0xf000, v218
	v_add_nc_u16 v212, 0xf000, v212
	s_delay_alu instid0(VALU_DEP_4) | instskip(NEXT) | instid1(VALU_DEP_4)
	v_cvt_f16_i16_e64 v213, v213
	v_cvt_f16_i16_e64 v211, v211
	s_delay_alu instid0(VALU_DEP_3) | instskip(NEXT) | instid1(VALU_DEP_2)
	v_lshrrev_b32_e32 v212, 8, v212
	v_pack_b32_f16 v211, v213, v211
	v_ashrrev_i16 v213, 8, v218
	s_delay_alu instid0(VALU_DEP_3) | instskip(NEXT) | instid1(VALU_DEP_3)
	v_bfe_i32 v212, v212, 0, 8
	v_pk_mul_f16 v211, v211, v210
	s_delay_alu instid0(VALU_DEP_3) | instskip(NEXT) | instid1(VALU_DEP_3)
	v_cvt_f16_i16_e64 v213, v213
	v_cvt_f16_i16_e64 v212, v212
	s_delay_alu instid0(VALU_DEP_3) | instskip(NEXT) | instid1(VALU_DEP_2)
	v_pk_fma_f16 v205, v211, v206, v205
	v_pack_b32_f16 v212, v213, v212
	s_delay_alu instid0(VALU_DEP_1) | instskip(SKIP_2) | instid1(VALU_DEP_3)
	v_pk_mul_f16 v210, v212, v210
	v_add_nc_u64_e32 v[212:213], s[4:5], v[58:59]
	v_add_nc_u64_e32 v[58:59], s[22:23], v[58:59]
	v_pk_fma_f16 v21, v210, v206, v21
	v_add_nc_u64_e32 v[210:211], s[4:5], v[54:55]
	v_mul_u32_u24_e32 v206, 0x10001, v214
	global_load_b32 v212, v[212:213], off
	v_add_nc_u64_e32 v[54:55], s[22:23], v[54:55]
	s_clause 0x1
	global_load_b32 v213, v[210:211], off offset:2
	global_load_u16 v210, v[210:211], off
	s_wait_loadcnt 0x1
	v_lshrrev_b32_e32 v214, v196, v213
	v_dual_ashrrev_i32 v212, v200, v212 :: v_dual_lshrrev_b32 v218, v201, v213
	s_wait_loadcnt 0x0
	v_mul_u32_u24_e32 v210, 0x10001, v210
	s_delay_alu instid0(VALU_DEP_3) | instskip(NEXT) | instid1(VALU_DEP_3)
	v_lshlrev_b32_e32 v214, 4, v214
	v_and_b32_e32 v212, 0xf0f0f0f, v212
	v_lshlrev_b32_e32 v218, 12, v218
	s_delay_alu instid0(VALU_DEP_3) | instskip(NEXT) | instid1(VALU_DEP_2)
	v_and_b32_e32 v214, 16, v214
	v_and_b32_e32 v218, 0x1000, v218
	s_delay_alu instid0(VALU_DEP_1) | instskip(SKIP_1) | instid1(VALU_DEP_1)
	v_or3_b32 v214, v214, v212, v218
	v_dual_lshrrev_b32 v218, v202, v213 :: v_dual_lshrrev_b32 v213, v203, v213
	v_dual_lshlrev_b32 v213, 28, v213 :: v_dual_lshlrev_b32 v218, 20, v218
	s_delay_alu instid0(VALU_DEP_1) | instskip(NEXT) | instid1(VALU_DEP_2)
	v_and_b32_e32 v213, 0x10000000, v213
	v_and_b32_e32 v218, 0x100000, v218
	s_delay_alu instid0(VALU_DEP_1) | instskip(SKIP_1) | instid1(VALU_DEP_2)
	v_or3_b32 v212, v212, v218, v213
	v_lshlrev_b16 v213, 8, v214
	v_lshrrev_b32_e32 v212, 16, v212
	s_delay_alu instid0(VALU_DEP_2) | instskip(NEXT) | instid1(VALU_DEP_1)
	v_add_nc_u16 v213, 0xf000, v213
	v_lshrrev_b16 v213, 8, v213
	s_delay_alu instid0(VALU_DEP_1) | instskip(NEXT) | instid1(VALU_DEP_4)
	v_bitop3_b16 v213, v214, v213, 0x1f00 bitop3:0xec
	v_lshlrev_b16 v214, 8, v212
	v_and_b32_e32 v212, 0x1f00, v212
	s_delay_alu instid0(VALU_DEP_3) | instskip(NEXT) | instid1(VALU_DEP_3)
	v_add_nc_u16 v213, 0xf000, v213
	v_add_nc_u16 v214, 0xf000, v214
	s_delay_alu instid0(VALU_DEP_3) | instskip(NEXT) | instid1(VALU_DEP_3)
	v_add_nc_u16 v212, 0xf000, v212
	v_lshrrev_b32_e32 v211, 8, v213
	v_bfe_i32 v213, v213, 0, 8
	s_delay_alu instid0(VALU_DEP_3) | instskip(NEXT) | instid1(VALU_DEP_3)
	v_lshrrev_b32_e32 v212, 8, v212
	v_bfe_i32 v211, v211, 0, 8
	s_delay_alu instid0(VALU_DEP_3) | instskip(NEXT) | instid1(VALU_DEP_3)
	v_cvt_f16_i16_e64 v213, v213
	v_bfe_i32 v212, v212, 0, 8
	s_delay_alu instid0(VALU_DEP_3) | instskip(NEXT) | instid1(VALU_DEP_2)
	v_cvt_f16_i16_e64 v211, v211
	v_cvt_f16_i16_e64 v212, v212
	s_delay_alu instid0(VALU_DEP_2) | instskip(SKIP_1) | instid1(VALU_DEP_2)
	v_pack_b32_f16 v211, v213, v211
	v_ashrrev_i16 v213, 8, v214
	v_pk_mul_f16 v211, v211, v210
	s_delay_alu instid0(VALU_DEP_2) | instskip(NEXT) | instid1(VALU_DEP_2)
	v_cvt_f16_i16_e64 v213, v213
	v_pk_fma_f16 v205, v211, v206, v205
	s_delay_alu instid0(VALU_DEP_2) | instskip(NEXT) | instid1(VALU_DEP_1)
	v_pack_b32_f16 v212, v213, v212
	v_pk_mul_f16 v210, v212, v210
	s_delay_alu instid0(VALU_DEP_1) | instskip(SKIP_3) | instid1(VALU_DEP_3)
	v_pk_fma_f16 v21, v210, v206, v21
	v_and_b32_e32 v206, 0xffff, v207
	v_add_nc_u64_e32 v[210:211], s[4:5], v[180:181]
	v_add_nc_u64_e32 v[180:181], s[22:23], v[180:181]
	v_mul_u32_u24_e32 v212, 0x10001, v206
	v_add_nc_u64_e32 v[206:207], s[4:5], v[60:61]
	v_add_nc_u64_e32 v[60:61], s[22:23], v[60:61]
	global_load_b32 v210, v[210:211], off
	s_clause 0x1
	global_load_b32 v211, v[206:207], off offset:2
	global_load_u16 v206, v[206:207], off
	s_wait_loadcnt 0x1
	v_dual_lshrrev_b32 v213, v196, v211 :: v_dual_lshrrev_b32 v214, v201, v211
	v_ashrrev_i32_e32 v210, v200, v210
	s_wait_loadcnt 0x0
	v_mul_u32_u24_e32 v206, 0x10001, v206
	s_delay_alu instid0(VALU_DEP_3) | instskip(NEXT) | instid1(VALU_DEP_3)
	v_dual_lshlrev_b32 v213, 4, v213 :: v_dual_lshlrev_b32 v214, 12, v214
	v_and_b32_e32 v210, 0xf0f0f0f, v210
	s_delay_alu instid0(VALU_DEP_2) | instskip(NEXT) | instid1(VALU_DEP_3)
	v_and_b32_e32 v213, 16, v213
	v_and_b32_e32 v214, 0x1000, v214
	s_delay_alu instid0(VALU_DEP_1) | instskip(SKIP_1) | instid1(VALU_DEP_1)
	v_or3_b32 v213, v213, v210, v214
	v_dual_lshrrev_b32 v214, v202, v211 :: v_dual_lshrrev_b32 v211, v203, v211
	v_dual_lshlrev_b32 v214, 20, v214 :: v_dual_lshlrev_b32 v211, 28, v211
	s_delay_alu instid0(VALU_DEP_1) | instskip(NEXT) | instid1(VALU_DEP_2)
	v_and_b32_e32 v214, 0x100000, v214
	v_and_b32_e32 v211, 0x10000000, v211
	s_delay_alu instid0(VALU_DEP_1) | instskip(SKIP_1) | instid1(VALU_DEP_1)
	v_or3_b32 v210, v210, v214, v211
	v_lshlrev_b16 v211, 8, v213
	v_add_nc_u16 v211, 0xf000, v211
	s_delay_alu instid0(VALU_DEP_1) | instskip(NEXT) | instid1(VALU_DEP_1)
	v_lshrrev_b16 v211, 8, v211
	v_bitop3_b16 v211, v213, v211, 0x1f00 bitop3:0xec
	s_delay_alu instid0(VALU_DEP_1) | instskip(NEXT) | instid1(VALU_DEP_1)
	v_add_nc_u16 v211, 0xf000, v211
	v_dual_lshrrev_b32 v210, 16, v210 :: v_dual_lshrrev_b32 v207, 8, v211
	s_delay_alu instid0(VALU_DEP_1) | instskip(SKIP_2) | instid1(VALU_DEP_4)
	v_lshlrev_b16 v213, 8, v210
	v_and_b32_e32 v210, 0x1f00, v210
	v_bfe_i32 v211, v211, 0, 8
	v_bfe_i32 v207, v207, 0, 8
	s_delay_alu instid0(VALU_DEP_4) | instskip(NEXT) | instid1(VALU_DEP_4)
	v_add_nc_u16 v213, 0xf000, v213
	v_add_nc_u16 v210, 0xf000, v210
	s_delay_alu instid0(VALU_DEP_4) | instskip(NEXT) | instid1(VALU_DEP_4)
	v_cvt_f16_i16_e64 v211, v211
	v_cvt_f16_i16_e64 v207, v207
	s_delay_alu instid0(VALU_DEP_3) | instskip(NEXT) | instid1(VALU_DEP_2)
	v_lshrrev_b32_e32 v210, 8, v210
	v_pack_b32_f16 v207, v211, v207
	v_ashrrev_i16 v211, 8, v213
	s_delay_alu instid0(VALU_DEP_3) | instskip(NEXT) | instid1(VALU_DEP_3)
	v_bfe_i32 v210, v210, 0, 8
	v_pk_mul_f16 v207, v207, v206
	s_delay_alu instid0(VALU_DEP_3) | instskip(NEXT) | instid1(VALU_DEP_3)
	v_cvt_f16_i16_e64 v211, v211
	v_cvt_f16_i16_e64 v210, v210
	s_delay_alu instid0(VALU_DEP_3) | instskip(NEXT) | instid1(VALU_DEP_2)
	v_pk_fma_f16 v205, v207, v212, v205
	v_pack_b32_f16 v210, v211, v210
	s_delay_alu instid0(VALU_DEP_1) | instskip(SKIP_2) | instid1(VALU_DEP_3)
	v_pk_mul_f16 v206, v210, v206
	v_add_nc_u64_e32 v[210:211], s[4:5], v[176:177]
	v_add_nc_u64_e32 v[176:177], s[22:23], v[176:177]
	v_pk_fma_f16 v21, v206, v212, v21
	v_add_nc_u64_e32 v[206:207], s[4:5], v[178:179]
	v_mul_u32_u24_e32 v212, 0x10001, v215
	global_load_b32 v210, v[210:211], off
	v_add_nc_u64_e32 v[178:179], s[22:23], v[178:179]
	s_clause 0x1
	global_load_b32 v211, v[206:207], off offset:2
	global_load_u16 v206, v[206:207], off
	s_wait_loadcnt 0x1
	v_lshrrev_b32_e32 v213, v196, v211
	v_dual_ashrrev_i32 v210, v200, v210 :: v_dual_lshrrev_b32 v214, v201, v211
	s_wait_loadcnt 0x0
	v_mul_u32_u24_e32 v206, 0x10001, v206
	s_delay_alu instid0(VALU_DEP_3) | instskip(NEXT) | instid1(VALU_DEP_3)
	v_lshlrev_b32_e32 v213, 4, v213
	v_and_b32_e32 v210, 0xf0f0f0f, v210
	s_delay_alu instid0(VALU_DEP_2) | instskip(NEXT) | instid1(VALU_DEP_1)
	v_dual_lshlrev_b32 v214, 12, v214 :: v_dual_bitop2_b32 v213, 16, v213 bitop3:0x40
	v_and_b32_e32 v214, 0x1000, v214
	s_delay_alu instid0(VALU_DEP_1) | instskip(SKIP_1) | instid1(VALU_DEP_1)
	v_or3_b32 v213, v213, v210, v214
	v_dual_lshrrev_b32 v214, v202, v211 :: v_dual_lshrrev_b32 v211, v203, v211
	v_dual_lshlrev_b32 v211, 28, v211 :: v_dual_lshlrev_b32 v214, 20, v214
	s_delay_alu instid0(VALU_DEP_1) | instskip(NEXT) | instid1(VALU_DEP_2)
	v_and_b32_e32 v211, 0x10000000, v211
	v_and_b32_e32 v214, 0x100000, v214
	s_delay_alu instid0(VALU_DEP_1) | instskip(SKIP_1) | instid1(VALU_DEP_2)
	v_or3_b32 v210, v210, v214, v211
	v_lshlrev_b16 v211, 8, v213
	v_lshrrev_b32_e32 v210, 16, v210
	s_delay_alu instid0(VALU_DEP_2) | instskip(NEXT) | instid1(VALU_DEP_1)
	v_add_nc_u16 v211, 0xf000, v211
	v_lshrrev_b16 v211, 8, v211
	s_delay_alu instid0(VALU_DEP_1) | instskip(NEXT) | instid1(VALU_DEP_4)
	v_bitop3_b16 v211, v213, v211, 0x1f00 bitop3:0xec
	v_lshlrev_b16 v213, 8, v210
	v_and_b32_e32 v210, 0x1f00, v210
	s_delay_alu instid0(VALU_DEP_3) | instskip(NEXT) | instid1(VALU_DEP_3)
	v_add_nc_u16 v211, 0xf000, v211
	v_add_nc_u16 v213, 0xf000, v213
	s_delay_alu instid0(VALU_DEP_3) | instskip(NEXT) | instid1(VALU_DEP_3)
	v_add_nc_u16 v210, 0xf000, v210
	v_lshrrev_b32_e32 v207, 8, v211
	v_bfe_i32 v211, v211, 0, 8
	s_delay_alu instid0(VALU_DEP_3) | instskip(NEXT) | instid1(VALU_DEP_3)
	v_lshrrev_b32_e32 v210, 8, v210
	v_bfe_i32 v207, v207, 0, 8
	s_delay_alu instid0(VALU_DEP_3) | instskip(NEXT) | instid1(VALU_DEP_3)
	v_cvt_f16_i16_e64 v211, v211
	v_bfe_i32 v210, v210, 0, 8
	s_delay_alu instid0(VALU_DEP_3) | instskip(NEXT) | instid1(VALU_DEP_2)
	v_cvt_f16_i16_e64 v207, v207
	v_cvt_f16_i16_e64 v210, v210
	s_delay_alu instid0(VALU_DEP_2) | instskip(SKIP_1) | instid1(VALU_DEP_2)
	v_pack_b32_f16 v207, v211, v207
	v_ashrrev_i16 v211, 8, v213
	v_pk_mul_f16 v207, v207, v206
	s_delay_alu instid0(VALU_DEP_2) | instskip(NEXT) | instid1(VALU_DEP_2)
	v_cvt_f16_i16_e64 v211, v211
	v_pk_fma_f16 v205, v207, v212, v205
	s_delay_alu instid0(VALU_DEP_2) | instskip(NEXT) | instid1(VALU_DEP_1)
	v_pack_b32_f16 v210, v211, v210
	v_pk_mul_f16 v206, v210, v206
	v_add_nc_u64_e32 v[210:211], s[4:5], v[172:173]
	v_add_nc_u64_e32 v[172:173], s[22:23], v[172:173]
	s_delay_alu instid0(VALU_DEP_3)
	v_pk_fma_f16 v21, v206, v212, v21
	v_and_b32_e32 v206, 0xffff, v208
	global_load_b32 v210, v[210:211], off
	v_mul_u32_u24_e32 v208, 0x10001, v206
	v_add_nc_u64_e32 v[206:207], s[4:5], v[174:175]
	v_add_nc_u64_e32 v[174:175], s[22:23], v[174:175]
	s_clause 0x1
	global_load_b32 v211, v[206:207], off offset:2
	global_load_u16 v206, v[206:207], off
	s_wait_loadcnt 0x1
	v_dual_lshrrev_b32 v212, v196, v211 :: v_dual_lshrrev_b32 v213, v201, v211
	s_wait_loadcnt 0x0
	v_mul_u32_u24_e32 v206, 0x10001, v206
	s_delay_alu instid0(VALU_DEP_2) | instskip(NEXT) | instid1(VALU_DEP_1)
	v_dual_lshlrev_b32 v212, 4, v212 :: v_dual_ashrrev_i32 v210, v200, v210
	v_dual_lshlrev_b32 v213, 12, v213 :: v_dual_bitop2_b32 v212, 16, v212 bitop3:0x40
	s_delay_alu instid0(VALU_DEP_2) | instskip(NEXT) | instid1(VALU_DEP_2)
	v_and_b32_e32 v210, 0xf0f0f0f, v210
	v_and_b32_e32 v213, 0x1000, v213
	s_delay_alu instid0(VALU_DEP_1) | instskip(SKIP_1) | instid1(VALU_DEP_1)
	v_or3_b32 v212, v212, v210, v213
	v_dual_lshrrev_b32 v213, v202, v211 :: v_dual_lshrrev_b32 v211, v203, v211
	v_dual_lshlrev_b32 v213, 20, v213 :: v_dual_lshlrev_b32 v211, 28, v211
	s_delay_alu instid0(VALU_DEP_1) | instskip(NEXT) | instid1(VALU_DEP_2)
	v_and_b32_e32 v213, 0x100000, v213
	v_and_b32_e32 v211, 0x10000000, v211
	s_delay_alu instid0(VALU_DEP_1) | instskip(SKIP_1) | instid1(VALU_DEP_2)
	v_or3_b32 v210, v210, v213, v211
	v_lshlrev_b16 v211, 8, v212
	v_lshrrev_b32_e32 v210, 16, v210
	s_delay_alu instid0(VALU_DEP_2) | instskip(NEXT) | instid1(VALU_DEP_1)
	v_add_nc_u16 v211, 0xf000, v211
	v_lshrrev_b16 v211, 8, v211
	s_delay_alu instid0(VALU_DEP_1) | instskip(NEXT) | instid1(VALU_DEP_4)
	v_bitop3_b16 v211, v212, v211, 0x1f00 bitop3:0xec
	v_lshlrev_b16 v212, 8, v210
	v_and_b32_e32 v210, 0x1f00, v210
	s_delay_alu instid0(VALU_DEP_3) | instskip(NEXT) | instid1(VALU_DEP_3)
	v_add_nc_u16 v211, 0xf000, v211
	v_add_nc_u16 v212, 0xf000, v212
	s_delay_alu instid0(VALU_DEP_3) | instskip(NEXT) | instid1(VALU_DEP_3)
	v_add_nc_u16 v210, 0xf000, v210
	v_lshrrev_b32_e32 v207, 8, v211
	v_bfe_i32 v211, v211, 0, 8
	s_delay_alu instid0(VALU_DEP_3) | instskip(NEXT) | instid1(VALU_DEP_3)
	v_lshrrev_b32_e32 v210, 8, v210
	v_bfe_i32 v207, v207, 0, 8
	s_delay_alu instid0(VALU_DEP_3) | instskip(NEXT) | instid1(VALU_DEP_3)
	v_cvt_f16_i16_e64 v211, v211
	v_bfe_i32 v210, v210, 0, 8
	s_delay_alu instid0(VALU_DEP_3) | instskip(NEXT) | instid1(VALU_DEP_2)
	v_cvt_f16_i16_e64 v207, v207
	v_cvt_f16_i16_e64 v210, v210
	s_delay_alu instid0(VALU_DEP_2) | instskip(SKIP_1) | instid1(VALU_DEP_2)
	v_pack_b32_f16 v207, v211, v207
	v_ashrrev_i16 v211, 8, v212
	v_pk_mul_f16 v207, v207, v206
	s_delay_alu instid0(VALU_DEP_2) | instskip(NEXT) | instid1(VALU_DEP_2)
	v_cvt_f16_i16_e64 v211, v211
	v_pk_fma_f16 v205, v207, v208, v205
	s_delay_alu instid0(VALU_DEP_2) | instskip(NEXT) | instid1(VALU_DEP_1)
	v_pack_b32_f16 v210, v211, v210
	v_pk_mul_f16 v206, v210, v206
	v_add_nc_u64_e32 v[210:211], s[4:5], v[168:169]
	v_add_nc_u64_e32 v[168:169], s[22:23], v[168:169]
	s_delay_alu instid0(VALU_DEP_3)
	v_pk_fma_f16 v21, v206, v208, v21
	v_add_nc_u64_e32 v[206:207], s[4:5], v[170:171]
	v_mul_u32_u24_e32 v208, 0x10001, v216
	global_load_b32 v210, v[210:211], off
	v_add_nc_u64_e32 v[170:171], s[22:23], v[170:171]
	s_clause 0x1
	global_load_b32 v211, v[206:207], off offset:2
	global_load_u16 v206, v[206:207], off
	s_wait_loadcnt 0x1
	v_lshrrev_b32_e32 v212, v196, v211
	v_dual_ashrrev_i32 v210, v200, v210 :: v_dual_lshrrev_b32 v213, v201, v211
	s_wait_loadcnt 0x0
	v_mul_u32_u24_e32 v206, 0x10001, v206
	s_delay_alu instid0(VALU_DEP_3) | instskip(NEXT) | instid1(VALU_DEP_3)
	v_lshlrev_b32_e32 v212, 4, v212
	v_and_b32_e32 v210, 0xf0f0f0f, v210
	s_delay_alu instid0(VALU_DEP_2) | instskip(NEXT) | instid1(VALU_DEP_1)
	v_dual_lshlrev_b32 v213, 12, v213 :: v_dual_bitop2_b32 v212, 16, v212 bitop3:0x40
	v_and_b32_e32 v213, 0x1000, v213
	s_delay_alu instid0(VALU_DEP_1) | instskip(SKIP_1) | instid1(VALU_DEP_1)
	v_or3_b32 v212, v212, v210, v213
	v_dual_lshrrev_b32 v213, v202, v211 :: v_dual_lshrrev_b32 v211, v203, v211
	v_dual_lshlrev_b32 v211, 28, v211 :: v_dual_lshlrev_b32 v213, 20, v213
	s_delay_alu instid0(VALU_DEP_1) | instskip(NEXT) | instid1(VALU_DEP_2)
	v_and_b32_e32 v211, 0x10000000, v211
	v_and_b32_e32 v213, 0x100000, v213
	s_delay_alu instid0(VALU_DEP_1) | instskip(SKIP_2) | instid1(VALU_DEP_2)
	v_or3_b32 v210, v210, v213, v211
	v_lshlrev_b16 v211, 8, v212
	s_wait_dscnt 0x2
	v_dual_lshrrev_b32 v213, 16, v19 :: v_dual_lshrrev_b32 v210, 16, v210
	s_delay_alu instid0(VALU_DEP_2) | instskip(NEXT) | instid1(VALU_DEP_1)
	v_add_nc_u16 v211, 0xf000, v211
	v_lshrrev_b16 v211, 8, v211
	s_delay_alu instid0(VALU_DEP_1) | instskip(NEXT) | instid1(VALU_DEP_4)
	v_bitop3_b16 v211, v212, v211, 0x1f00 bitop3:0xec
	v_lshlrev_b16 v212, 8, v210
	v_and_b32_e32 v210, 0x1f00, v210
	s_delay_alu instid0(VALU_DEP_3) | instskip(NEXT) | instid1(VALU_DEP_3)
	v_add_nc_u16 v211, 0xf000, v211
	v_add_nc_u16 v212, 0xf000, v212
	s_delay_alu instid0(VALU_DEP_3) | instskip(NEXT) | instid1(VALU_DEP_3)
	v_add_nc_u16 v210, 0xf000, v210
	v_lshrrev_b32_e32 v207, 8, v211
	v_bfe_i32 v211, v211, 0, 8
	s_delay_alu instid0(VALU_DEP_3) | instskip(NEXT) | instid1(VALU_DEP_3)
	v_lshrrev_b32_e32 v210, 8, v210
	v_bfe_i32 v207, v207, 0, 8
	s_delay_alu instid0(VALU_DEP_3) | instskip(NEXT) | instid1(VALU_DEP_3)
	v_cvt_f16_i16_e64 v211, v211
	v_bfe_i32 v210, v210, 0, 8
	s_delay_alu instid0(VALU_DEP_3) | instskip(NEXT) | instid1(VALU_DEP_2)
	v_cvt_f16_i16_e64 v207, v207
	v_cvt_f16_i16_e64 v210, v210
	s_delay_alu instid0(VALU_DEP_2) | instskip(SKIP_1) | instid1(VALU_DEP_2)
	v_pack_b32_f16 v207, v211, v207
	v_ashrrev_i16 v211, 8, v212
	v_pk_mul_f16 v207, v207, v206
	s_delay_alu instid0(VALU_DEP_2) | instskip(NEXT) | instid1(VALU_DEP_2)
	v_cvt_f16_i16_e64 v211, v211
	v_pk_fma_f16 v205, v207, v208, v205
	s_delay_alu instid0(VALU_DEP_2) | instskip(NEXT) | instid1(VALU_DEP_1)
	v_pack_b32_f16 v210, v211, v210
	v_pk_mul_f16 v206, v210, v206
	s_delay_alu instid0(VALU_DEP_1) | instskip(SKIP_3) | instid1(VALU_DEP_3)
	v_pk_fma_f16 v21, v206, v208, v21
	v_and_b32_e32 v206, 0xffff, v209
	v_add_nc_u64_e32 v[208:209], s[4:5], v[164:165]
	v_add_nc_u64_e32 v[164:165], s[22:23], v[164:165]
	v_mul_u32_u24_e32 v210, 0x10001, v206
	v_add_nc_u64_e32 v[206:207], s[4:5], v[166:167]
	v_add_nc_u64_e32 v[166:167], s[22:23], v[166:167]
	global_load_b32 v208, v[208:209], off
	s_clause 0x1
	global_load_b32 v209, v[206:207], off offset:2
	global_load_u16 v206, v[206:207], off
	s_wait_loadcnt 0x1
	v_dual_lshrrev_b32 v211, v196, v209 :: v_dual_lshrrev_b32 v212, v201, v209
	v_ashrrev_i32_e32 v208, v200, v208
	s_wait_loadcnt 0x0
	v_mul_u32_u24_e32 v206, 0x10001, v206
	s_delay_alu instid0(VALU_DEP_3) | instskip(NEXT) | instid1(VALU_DEP_3)
	v_dual_lshlrev_b32 v211, 4, v211 :: v_dual_lshlrev_b32 v212, 12, v212
	v_and_b32_e32 v208, 0xf0f0f0f, v208
	s_delay_alu instid0(VALU_DEP_2) | instskip(NEXT) | instid1(VALU_DEP_3)
	v_and_b32_e32 v211, 16, v211
	v_and_b32_e32 v212, 0x1000, v212
	s_delay_alu instid0(VALU_DEP_1) | instskip(SKIP_1) | instid1(VALU_DEP_1)
	v_or3_b32 v211, v211, v208, v212
	v_dual_lshrrev_b32 v212, v202, v209 :: v_dual_lshrrev_b32 v209, v203, v209
	v_dual_lshlrev_b32 v212, 20, v212 :: v_dual_lshlrev_b32 v209, 28, v209
	s_delay_alu instid0(VALU_DEP_1) | instskip(NEXT) | instid1(VALU_DEP_2)
	v_and_b32_e32 v212, 0x100000, v212
	v_and_b32_e32 v209, 0x10000000, v209
	s_delay_alu instid0(VALU_DEP_1) | instskip(SKIP_1) | instid1(VALU_DEP_1)
	v_or3_b32 v208, v208, v212, v209
	v_lshlrev_b16 v209, 8, v211
	v_add_nc_u16 v209, 0xf000, v209
	s_delay_alu instid0(VALU_DEP_1) | instskip(NEXT) | instid1(VALU_DEP_1)
	v_lshrrev_b16 v209, 8, v209
	v_bitop3_b16 v209, v211, v209, 0x1f00 bitop3:0xec
	s_delay_alu instid0(VALU_DEP_1) | instskip(NEXT) | instid1(VALU_DEP_1)
	v_add_nc_u16 v209, 0xf000, v209
	v_dual_lshrrev_b32 v208, 16, v208 :: v_dual_lshrrev_b32 v207, 8, v209
	s_delay_alu instid0(VALU_DEP_1) | instskip(SKIP_2) | instid1(VALU_DEP_4)
	v_lshlrev_b16 v211, 8, v208
	v_and_b32_e32 v208, 0x1f00, v208
	v_bfe_i32 v209, v209, 0, 8
	v_bfe_i32 v207, v207, 0, 8
	s_delay_alu instid0(VALU_DEP_4) | instskip(NEXT) | instid1(VALU_DEP_4)
	v_add_nc_u16 v211, 0xf000, v211
	v_add_nc_u16 v208, 0xf000, v208
	s_delay_alu instid0(VALU_DEP_4) | instskip(NEXT) | instid1(VALU_DEP_4)
	v_cvt_f16_i16_e64 v209, v209
	v_cvt_f16_i16_e64 v207, v207
	s_delay_alu instid0(VALU_DEP_3) | instskip(NEXT) | instid1(VALU_DEP_2)
	v_lshrrev_b32_e32 v208, 8, v208
	v_pack_b32_f16 v207, v209, v207
	v_ashrrev_i16 v209, 8, v211
	s_delay_alu instid0(VALU_DEP_3) | instskip(NEXT) | instid1(VALU_DEP_3)
	v_bfe_i32 v208, v208, 0, 8
	v_pk_mul_f16 v207, v207, v206
	s_delay_alu instid0(VALU_DEP_3) | instskip(NEXT) | instid1(VALU_DEP_3)
	v_cvt_f16_i16_e64 v209, v209
	v_cvt_f16_i16_e64 v208, v208
	s_delay_alu instid0(VALU_DEP_3) | instskip(NEXT) | instid1(VALU_DEP_2)
	v_pk_fma_f16 v205, v207, v210, v205
	v_pack_b32_f16 v208, v209, v208
	s_delay_alu instid0(VALU_DEP_1) | instskip(SKIP_2) | instid1(VALU_DEP_3)
	v_pk_mul_f16 v206, v208, v206
	v_add_nc_u64_e32 v[208:209], s[4:5], v[160:161]
	v_add_nc_u64_e32 v[160:161], s[22:23], v[160:161]
	v_pk_fma_f16 v21, v206, v210, v21
	v_add_nc_u64_e32 v[206:207], s[4:5], v[162:163]
	v_mul_u32_u24_e32 v210, 0x10001, v217
	global_load_b32 v208, v[208:209], off
	v_add_nc_u64_e32 v[162:163], s[22:23], v[162:163]
	s_clause 0x1
	global_load_b32 v209, v[206:207], off offset:2
	global_load_u16 v206, v[206:207], off
	s_wait_loadcnt 0x1
	v_lshrrev_b32_e32 v211, v196, v209
	v_dual_ashrrev_i32 v208, v200, v208 :: v_dual_lshrrev_b32 v212, v201, v209
	s_wait_loadcnt 0x0
	v_mul_u32_u24_e32 v206, 0x10001, v206
	s_delay_alu instid0(VALU_DEP_3) | instskip(NEXT) | instid1(VALU_DEP_3)
	v_lshlrev_b32_e32 v211, 4, v211
	v_and_b32_e32 v208, 0xf0f0f0f, v208
	s_delay_alu instid0(VALU_DEP_2) | instskip(NEXT) | instid1(VALU_DEP_1)
	v_dual_lshlrev_b32 v212, 12, v212 :: v_dual_bitop2_b32 v211, 16, v211 bitop3:0x40
	v_and_b32_e32 v212, 0x1000, v212
	s_delay_alu instid0(VALU_DEP_1) | instskip(SKIP_1) | instid1(VALU_DEP_1)
	v_or3_b32 v211, v211, v208, v212
	v_dual_lshrrev_b32 v212, v202, v209 :: v_dual_lshrrev_b32 v209, v203, v209
	v_dual_lshlrev_b32 v209, 28, v209 :: v_dual_lshlrev_b32 v212, 20, v212
	s_delay_alu instid0(VALU_DEP_1) | instskip(NEXT) | instid1(VALU_DEP_2)
	v_and_b32_e32 v209, 0x10000000, v209
	v_and_b32_e32 v212, 0x100000, v212
	s_delay_alu instid0(VALU_DEP_1) | instskip(SKIP_1) | instid1(VALU_DEP_2)
	v_or3_b32 v208, v208, v212, v209
	v_lshlrev_b16 v209, 8, v211
	v_dual_lshrrev_b32 v212, 16, v18 :: v_dual_lshrrev_b32 v208, 16, v208
	s_delay_alu instid0(VALU_DEP_2) | instskip(NEXT) | instid1(VALU_DEP_1)
	v_add_nc_u16 v209, 0xf000, v209
	v_lshrrev_b16 v209, 8, v209
	s_delay_alu instid0(VALU_DEP_1) | instskip(NEXT) | instid1(VALU_DEP_4)
	v_bitop3_b16 v209, v211, v209, 0x1f00 bitop3:0xec
	v_lshlrev_b16 v211, 8, v208
	s_delay_alu instid0(VALU_DEP_2) | instskip(NEXT) | instid1(VALU_DEP_2)
	v_add_nc_u16 v209, 0xf000, v209
	v_add_nc_u16 v211, 0xf000, v211
	s_delay_alu instid0(VALU_DEP_2) | instskip(SKIP_1) | instid1(VALU_DEP_2)
	v_lshrrev_b32_e32 v207, 8, v209
	v_bfe_i32 v209, v209, 0, 8
	v_bfe_i32 v207, v207, 0, 8
	s_delay_alu instid0(VALU_DEP_2) | instskip(NEXT) | instid1(VALU_DEP_2)
	v_cvt_f16_i16_e64 v209, v209
	v_cvt_f16_i16_e64 v207, v207
	s_delay_alu instid0(VALU_DEP_1) | instskip(SKIP_3) | instid1(VALU_DEP_4)
	v_pack_b32_f16 v207, v209, v207
	v_ashrrev_i16 v209, 8, v211
	v_lshrrev_b32_e32 v211, 16, v17
	v_and_b32_e32 v208, 0x1f00, v208
	v_pk_mul_f16 v207, v207, v206
	s_delay_alu instid0(VALU_DEP_4) | instskip(NEXT) | instid1(VALU_DEP_3)
	v_cvt_f16_i16_e64 v209, v209
	v_add_nc_u16 v208, 0xf000, v208
	s_delay_alu instid0(VALU_DEP_3) | instskip(NEXT) | instid1(VALU_DEP_2)
	v_pk_fma_f16 v205, v207, v210, v205
	v_lshrrev_b32_e32 v208, 8, v208
	s_delay_alu instid0(VALU_DEP_1) | instskip(NEXT) | instid1(VALU_DEP_1)
	v_bfe_i32 v208, v208, 0, 8
	v_cvt_f16_i16_e64 v208, v208
	s_delay_alu instid0(VALU_DEP_1) | instskip(NEXT) | instid1(VALU_DEP_1)
	v_pack_b32_f16 v208, v209, v208
	v_pk_mul_f16 v206, v208, v206
	v_add_nc_u64_e32 v[208:209], s[4:5], v[156:157]
	v_add_nc_u64_e32 v[156:157], s[22:23], v[156:157]
	s_delay_alu instid0(VALU_DEP_3)
	v_pk_fma_f16 v21, v206, v210, v21
	v_add_nc_u64_e32 v[206:207], s[4:5], v[158:159]
	v_lshrrev_b32_e32 v210, 16, v16
	global_load_b32 v208, v[208:209], off
	v_and_b32_e32 v16, 0xffff, v16
	v_add_nc_u64_e32 v[158:159], s[22:23], v[158:159]
	s_clause 0x1
	global_load_b32 v209, v[206:207], off offset:2
	global_load_u16 v206, v[206:207], off
	v_mul_u32_u24_e32 v16, 0x10001, v16
	s_wait_loadcnt 0x1
	v_dual_lshrrev_b32 v214, v196, v209 :: v_dual_lshrrev_b32 v215, v201, v209
	v_ashrrev_i32_e32 v208, v200, v208
	s_wait_loadcnt 0x0
	v_mul_u32_u24_e32 v206, 0x10001, v206
	s_delay_alu instid0(VALU_DEP_3) | instskip(NEXT) | instid1(VALU_DEP_3)
	v_dual_lshlrev_b32 v214, 4, v214 :: v_dual_lshlrev_b32 v215, 12, v215
	v_and_b32_e32 v208, 0xf0f0f0f, v208
	s_delay_alu instid0(VALU_DEP_2) | instskip(NEXT) | instid1(VALU_DEP_3)
	v_and_b32_e32 v214, 16, v214
	v_and_b32_e32 v215, 0x1000, v215
	s_delay_alu instid0(VALU_DEP_1) | instskip(SKIP_1) | instid1(VALU_DEP_1)
	v_or3_b32 v214, v214, v208, v215
	v_dual_lshrrev_b32 v215, v202, v209 :: v_dual_lshrrev_b32 v209, v203, v209
	v_dual_lshlrev_b32 v215, 20, v215 :: v_dual_lshlrev_b32 v209, 28, v209
	s_delay_alu instid0(VALU_DEP_1) | instskip(NEXT) | instid1(VALU_DEP_2)
	v_and_b32_e32 v215, 0x100000, v215
	v_and_b32_e32 v209, 0x10000000, v209
	s_delay_alu instid0(VALU_DEP_1) | instskip(SKIP_1) | instid1(VALU_DEP_1)
	v_or3_b32 v208, v208, v215, v209
	v_lshlrev_b16 v209, 8, v214
	v_add_nc_u16 v209, 0xf000, v209
	s_delay_alu instid0(VALU_DEP_1) | instskip(NEXT) | instid1(VALU_DEP_1)
	v_lshrrev_b16 v209, 8, v209
	v_bitop3_b16 v209, v214, v209, 0x1f00 bitop3:0xec
	s_delay_alu instid0(VALU_DEP_1) | instskip(NEXT) | instid1(VALU_DEP_1)
	v_add_nc_u16 v209, 0xf000, v209
	v_dual_lshrrev_b32 v208, 16, v208 :: v_dual_lshrrev_b32 v207, 8, v209
	s_delay_alu instid0(VALU_DEP_1) | instskip(SKIP_2) | instid1(VALU_DEP_4)
	v_lshlrev_b16 v214, 8, v208
	v_and_b32_e32 v208, 0x1f00, v208
	v_bfe_i32 v209, v209, 0, 8
	v_bfe_i32 v207, v207, 0, 8
	s_delay_alu instid0(VALU_DEP_4) | instskip(NEXT) | instid1(VALU_DEP_4)
	v_add_nc_u16 v214, 0xf000, v214
	v_add_nc_u16 v208, 0xf000, v208
	s_delay_alu instid0(VALU_DEP_4) | instskip(NEXT) | instid1(VALU_DEP_4)
	v_cvt_f16_i16_e64 v209, v209
	v_cvt_f16_i16_e64 v207, v207
	s_delay_alu instid0(VALU_DEP_3) | instskip(NEXT) | instid1(VALU_DEP_2)
	v_lshrrev_b32_e32 v208, 8, v208
	v_pack_b32_f16 v207, v209, v207
	v_ashrrev_i16 v209, 8, v214
	s_delay_alu instid0(VALU_DEP_3) | instskip(NEXT) | instid1(VALU_DEP_3)
	v_bfe_i32 v208, v208, 0, 8
	v_pk_mul_f16 v207, v207, v206
	s_delay_alu instid0(VALU_DEP_3) | instskip(NEXT) | instid1(VALU_DEP_3)
	v_cvt_f16_i16_e64 v209, v209
	v_cvt_f16_i16_e64 v208, v208
	s_delay_alu instid0(VALU_DEP_3) | instskip(NEXT) | instid1(VALU_DEP_2)
	v_pk_fma_f16 v205, v207, v16, v205
	v_pack_b32_f16 v208, v209, v208
	s_delay_alu instid0(VALU_DEP_1) | instskip(SKIP_2) | instid1(VALU_DEP_3)
	v_pk_mul_f16 v206, v208, v206
	v_add_nc_u64_e32 v[208:209], s[4:5], v[152:153]
	v_add_nc_u64_e32 v[152:153], s[22:23], v[152:153]
	v_pk_fma_f16 v16, v206, v16, v21
	v_add_nc_u64_e32 v[206:207], s[4:5], v[154:155]
	v_mul_u32_u24_e32 v21, 0x10001, v210
	global_load_b32 v208, v[208:209], off
	v_add_nc_u64_e32 v[154:155], s[22:23], v[154:155]
	s_clause 0x1
	global_load_b32 v209, v[206:207], off offset:2
	global_load_u16 v206, v[206:207], off
	s_wait_loadcnt 0x1
	v_lshrrev_b32_e32 v210, v196, v209
	v_dual_ashrrev_i32 v208, v200, v208 :: v_dual_lshrrev_b32 v214, v201, v209
	s_wait_loadcnt 0x0
	v_mul_u32_u24_e32 v206, 0x10001, v206
	s_delay_alu instid0(VALU_DEP_3) | instskip(NEXT) | instid1(VALU_DEP_3)
	v_lshlrev_b32_e32 v210, 4, v210
	v_and_b32_e32 v208, 0xf0f0f0f, v208
	v_lshlrev_b32_e32 v214, 12, v214
	s_delay_alu instid0(VALU_DEP_3) | instskip(NEXT) | instid1(VALU_DEP_2)
	v_and_b32_e32 v210, 16, v210
	v_and_b32_e32 v214, 0x1000, v214
	s_delay_alu instid0(VALU_DEP_1) | instskip(SKIP_1) | instid1(VALU_DEP_1)
	v_or3_b32 v210, v210, v208, v214
	v_dual_lshrrev_b32 v214, v202, v209 :: v_dual_lshrrev_b32 v209, v203, v209
	v_dual_lshlrev_b32 v209, 28, v209 :: v_dual_lshlrev_b32 v214, 20, v214
	s_delay_alu instid0(VALU_DEP_1) | instskip(NEXT) | instid1(VALU_DEP_2)
	v_and_b32_e32 v209, 0x10000000, v209
	v_and_b32_e32 v214, 0x100000, v214
	s_delay_alu instid0(VALU_DEP_1) | instskip(SKIP_1) | instid1(VALU_DEP_2)
	v_or3_b32 v208, v208, v214, v209
	v_lshlrev_b16 v209, 8, v210
	v_lshrrev_b32_e32 v208, 16, v208
	s_delay_alu instid0(VALU_DEP_2) | instskip(NEXT) | instid1(VALU_DEP_1)
	v_add_nc_u16 v209, 0xf000, v209
	v_lshrrev_b16 v209, 8, v209
	s_delay_alu instid0(VALU_DEP_1) | instskip(NEXT) | instid1(VALU_DEP_4)
	v_bitop3_b16 v209, v210, v209, 0x1f00 bitop3:0xec
	v_lshlrev_b16 v210, 8, v208
	v_and_b32_e32 v208, 0x1f00, v208
	s_delay_alu instid0(VALU_DEP_3) | instskip(NEXT) | instid1(VALU_DEP_3)
	v_add_nc_u16 v209, 0xf000, v209
	v_add_nc_u16 v210, 0xf000, v210
	s_delay_alu instid0(VALU_DEP_3) | instskip(NEXT) | instid1(VALU_DEP_3)
	v_add_nc_u16 v208, 0xf000, v208
	v_lshrrev_b32_e32 v207, 8, v209
	v_bfe_i32 v209, v209, 0, 8
	s_delay_alu instid0(VALU_DEP_3) | instskip(NEXT) | instid1(VALU_DEP_3)
	v_lshrrev_b32_e32 v208, 8, v208
	v_bfe_i32 v207, v207, 0, 8
	s_delay_alu instid0(VALU_DEP_3) | instskip(NEXT) | instid1(VALU_DEP_3)
	v_cvt_f16_i16_e64 v209, v209
	v_bfe_i32 v208, v208, 0, 8
	s_delay_alu instid0(VALU_DEP_3) | instskip(NEXT) | instid1(VALU_DEP_2)
	v_cvt_f16_i16_e64 v207, v207
	v_cvt_f16_i16_e64 v208, v208
	s_delay_alu instid0(VALU_DEP_2) | instskip(SKIP_1) | instid1(VALU_DEP_2)
	v_pack_b32_f16 v207, v209, v207
	v_ashrrev_i16 v209, 8, v210
	v_pk_mul_f16 v207, v207, v206
	s_delay_alu instid0(VALU_DEP_2) | instskip(NEXT) | instid1(VALU_DEP_2)
	v_cvt_f16_i16_e64 v209, v209
	v_pk_fma_f16 v205, v207, v21, v205
	s_delay_alu instid0(VALU_DEP_2) | instskip(NEXT) | instid1(VALU_DEP_1)
	v_pack_b32_f16 v208, v209, v208
	v_pk_mul_f16 v206, v208, v206
	s_delay_alu instid0(VALU_DEP_1) | instskip(SKIP_3) | instid1(VALU_DEP_3)
	v_pk_fma_f16 v21, v206, v21, v16
	v_and_b32_e32 v16, 0xffff, v17
	v_add_nc_u64_e32 v[206:207], s[4:5], v[148:149]
	v_add_nc_u64_e32 v[148:149], s[22:23], v[148:149]
	v_mul_u32_u24_e32 v208, 0x10001, v16
	v_add_nc_u64_e32 v[16:17], s[4:5], v[150:151]
	v_add_nc_u64_e32 v[150:151], s[22:23], v[150:151]
	global_load_b32 v206, v[206:207], off
	s_clause 0x1
	global_load_b32 v207, v[16:17], off offset:2
	global_load_u16 v16, v[16:17], off
	s_wait_loadcnt 0x1
	v_dual_lshrrev_b32 v209, v196, v207 :: v_dual_lshrrev_b32 v210, v201, v207
	v_ashrrev_i32_e32 v206, v200, v206
	s_wait_loadcnt 0x0
	v_mul_u32_u24_e32 v16, 0x10001, v16
	s_delay_alu instid0(VALU_DEP_3) | instskip(NEXT) | instid1(VALU_DEP_3)
	v_dual_lshlrev_b32 v209, 4, v209 :: v_dual_lshlrev_b32 v210, 12, v210
	v_and_b32_e32 v206, 0xf0f0f0f, v206
	s_delay_alu instid0(VALU_DEP_2) | instskip(NEXT) | instid1(VALU_DEP_3)
	v_and_b32_e32 v209, 16, v209
	v_and_b32_e32 v210, 0x1000, v210
	s_delay_alu instid0(VALU_DEP_1) | instskip(SKIP_1) | instid1(VALU_DEP_1)
	v_or3_b32 v209, v209, v206, v210
	v_dual_lshrrev_b32 v210, v202, v207 :: v_dual_lshrrev_b32 v207, v203, v207
	v_dual_lshlrev_b32 v210, 20, v210 :: v_dual_lshlrev_b32 v207, 28, v207
	s_delay_alu instid0(VALU_DEP_1) | instskip(NEXT) | instid1(VALU_DEP_2)
	v_and_b32_e32 v210, 0x100000, v210
	v_and_b32_e32 v207, 0x10000000, v207
	s_delay_alu instid0(VALU_DEP_1) | instskip(SKIP_1) | instid1(VALU_DEP_1)
	v_or3_b32 v206, v206, v210, v207
	v_lshlrev_b16 v207, 8, v209
	v_add_nc_u16 v207, 0xf000, v207
	s_delay_alu instid0(VALU_DEP_1) | instskip(NEXT) | instid1(VALU_DEP_1)
	v_lshrrev_b16 v207, 8, v207
	v_bitop3_b16 v207, v209, v207, 0x1f00 bitop3:0xec
	s_delay_alu instid0(VALU_DEP_1) | instskip(NEXT) | instid1(VALU_DEP_1)
	v_add_nc_u16 v207, 0xf000, v207
	v_dual_lshrrev_b32 v206, 16, v206 :: v_dual_lshrrev_b32 v17, 8, v207
	s_delay_alu instid0(VALU_DEP_1) | instskip(SKIP_2) | instid1(VALU_DEP_4)
	v_lshlrev_b16 v209, 8, v206
	v_and_b32_e32 v206, 0x1f00, v206
	v_bfe_i32 v207, v207, 0, 8
	v_bfe_i32 v17, v17, 0, 8
	s_delay_alu instid0(VALU_DEP_4) | instskip(NEXT) | instid1(VALU_DEP_4)
	v_add_nc_u16 v209, 0xf000, v209
	v_add_nc_u16 v206, 0xf000, v206
	s_delay_alu instid0(VALU_DEP_4) | instskip(NEXT) | instid1(VALU_DEP_4)
	v_cvt_f16_i16_e64 v207, v207
	v_cvt_f16_i16_e32 v17, v17
	s_delay_alu instid0(VALU_DEP_3) | instskip(NEXT) | instid1(VALU_DEP_2)
	v_lshrrev_b32_e32 v206, 8, v206
	v_pack_b32_f16 v17, v207, v17
	v_ashrrev_i16 v207, 8, v209
	s_delay_alu instid0(VALU_DEP_3) | instskip(NEXT) | instid1(VALU_DEP_3)
	v_bfe_i32 v206, v206, 0, 8
	v_pk_mul_f16 v17, v17, v16
	s_delay_alu instid0(VALU_DEP_3) | instskip(NEXT) | instid1(VALU_DEP_3)
	v_cvt_f16_i16_e64 v207, v207
	v_cvt_f16_i16_e64 v206, v206
	s_delay_alu instid0(VALU_DEP_3) | instskip(NEXT) | instid1(VALU_DEP_2)
	v_pk_fma_f16 v205, v17, v208, v205
	v_pack_b32_f16 v206, v207, v206
	s_delay_alu instid0(VALU_DEP_1) | instskip(SKIP_2) | instid1(VALU_DEP_3)
	v_pk_mul_f16 v16, v206, v16
	v_add_nc_u64_e32 v[206:207], s[4:5], v[144:145]
	v_add_nc_u64_e32 v[144:145], s[22:23], v[144:145]
	v_pk_fma_f16 v21, v16, v208, v21
	v_add_nc_u64_e32 v[16:17], s[4:5], v[146:147]
	v_mul_u32_u24_e32 v208, 0x10001, v211
	global_load_b32 v206, v[206:207], off
	v_add_nc_u64_e32 v[146:147], s[22:23], v[146:147]
	s_clause 0x1
	global_load_b32 v207, v[16:17], off offset:2
	global_load_u16 v16, v[16:17], off
	s_wait_loadcnt 0x1
	v_lshrrev_b32_e32 v209, v196, v207
	v_dual_ashrrev_i32 v206, v200, v206 :: v_dual_lshrrev_b32 v210, v201, v207
	s_wait_loadcnt 0x0
	v_mul_u32_u24_e32 v16, 0x10001, v16
	s_delay_alu instid0(VALU_DEP_3) | instskip(NEXT) | instid1(VALU_DEP_3)
	v_lshlrev_b32_e32 v209, 4, v209
	v_and_b32_e32 v206, 0xf0f0f0f, v206
	s_delay_alu instid0(VALU_DEP_2) | instskip(NEXT) | instid1(VALU_DEP_1)
	v_dual_lshlrev_b32 v210, 12, v210 :: v_dual_bitop2_b32 v209, 16, v209 bitop3:0x40
	v_and_b32_e32 v210, 0x1000, v210
	s_delay_alu instid0(VALU_DEP_1) | instskip(SKIP_1) | instid1(VALU_DEP_1)
	v_or3_b32 v209, v209, v206, v210
	v_dual_lshrrev_b32 v210, v202, v207 :: v_dual_lshrrev_b32 v207, v203, v207
	v_dual_lshlrev_b32 v207, 28, v207 :: v_dual_lshlrev_b32 v210, 20, v210
	s_delay_alu instid0(VALU_DEP_1) | instskip(NEXT) | instid1(VALU_DEP_2)
	v_and_b32_e32 v207, 0x10000000, v207
	v_and_b32_e32 v210, 0x100000, v210
	s_delay_alu instid0(VALU_DEP_1) | instskip(SKIP_1) | instid1(VALU_DEP_2)
	v_or3_b32 v206, v206, v210, v207
	v_lshlrev_b16 v207, 8, v209
	v_lshrrev_b32_e32 v206, 16, v206
	s_delay_alu instid0(VALU_DEP_2) | instskip(NEXT) | instid1(VALU_DEP_1)
	v_add_nc_u16 v207, 0xf000, v207
	v_lshrrev_b16 v207, 8, v207
	s_delay_alu instid0(VALU_DEP_1) | instskip(NEXT) | instid1(VALU_DEP_4)
	v_bitop3_b16 v207, v209, v207, 0x1f00 bitop3:0xec
	v_lshlrev_b16 v209, 8, v206
	v_and_b32_e32 v206, 0x1f00, v206
	s_delay_alu instid0(VALU_DEP_3) | instskip(NEXT) | instid1(VALU_DEP_3)
	v_add_nc_u16 v207, 0xf000, v207
	v_add_nc_u16 v209, 0xf000, v209
	s_delay_alu instid0(VALU_DEP_3) | instskip(NEXT) | instid1(VALU_DEP_3)
	v_add_nc_u16 v206, 0xf000, v206
	v_lshrrev_b32_e32 v17, 8, v207
	v_bfe_i32 v207, v207, 0, 8
	s_delay_alu instid0(VALU_DEP_3) | instskip(NEXT) | instid1(VALU_DEP_3)
	v_lshrrev_b32_e32 v206, 8, v206
	v_bfe_i32 v17, v17, 0, 8
	s_delay_alu instid0(VALU_DEP_3) | instskip(NEXT) | instid1(VALU_DEP_3)
	v_cvt_f16_i16_e64 v207, v207
	v_bfe_i32 v206, v206, 0, 8
	s_delay_alu instid0(VALU_DEP_3) | instskip(NEXT) | instid1(VALU_DEP_2)
	v_cvt_f16_i16_e32 v17, v17
	v_cvt_f16_i16_e64 v206, v206
	s_delay_alu instid0(VALU_DEP_2) | instskip(SKIP_1) | instid1(VALU_DEP_2)
	v_pack_b32_f16 v17, v207, v17
	v_ashrrev_i16 v207, 8, v209
	v_pk_mul_f16 v17, v17, v16
	s_delay_alu instid0(VALU_DEP_2) | instskip(NEXT) | instid1(VALU_DEP_2)
	v_cvt_f16_i16_e64 v207, v207
	v_pk_fma_f16 v205, v17, v208, v205
	s_delay_alu instid0(VALU_DEP_2) | instskip(NEXT) | instid1(VALU_DEP_1)
	v_pack_b32_f16 v206, v207, v206
	v_pk_mul_f16 v16, v206, v16
	v_add_nc_u64_e32 v[206:207], s[4:5], v[140:141]
	v_add_nc_u64_e32 v[140:141], s[22:23], v[140:141]
	s_delay_alu instid0(VALU_DEP_3)
	v_pk_fma_f16 v21, v16, v208, v21
	v_and_b32_e32 v16, 0xffff, v18
	global_load_b32 v206, v[206:207], off
	v_mul_u32_u24_e32 v18, 0x10001, v16
	v_add_nc_u64_e32 v[16:17], s[4:5], v[142:143]
	v_add_nc_u64_e32 v[142:143], s[22:23], v[142:143]
	s_clause 0x1
	global_load_b32 v207, v[16:17], off offset:2
	global_load_u16 v16, v[16:17], off
	s_wait_loadcnt 0x1
	v_dual_lshrrev_b32 v208, v196, v207 :: v_dual_lshrrev_b32 v209, v201, v207
	s_wait_loadcnt 0x0
	v_mul_u32_u24_e32 v16, 0x10001, v16
	s_delay_alu instid0(VALU_DEP_2) | instskip(NEXT) | instid1(VALU_DEP_1)
	v_dual_lshlrev_b32 v208, 4, v208 :: v_dual_ashrrev_i32 v206, v200, v206
	v_dual_lshlrev_b32 v209, 12, v209 :: v_dual_bitop2_b32 v208, 16, v208 bitop3:0x40
	s_delay_alu instid0(VALU_DEP_2) | instskip(NEXT) | instid1(VALU_DEP_2)
	v_and_b32_e32 v206, 0xf0f0f0f, v206
	v_and_b32_e32 v209, 0x1000, v209
	s_delay_alu instid0(VALU_DEP_1) | instskip(SKIP_1) | instid1(VALU_DEP_1)
	v_or3_b32 v208, v208, v206, v209
	v_dual_lshrrev_b32 v209, v202, v207 :: v_dual_lshrrev_b32 v207, v203, v207
	v_dual_lshlrev_b32 v209, 20, v209 :: v_dual_lshlrev_b32 v207, 28, v207
	s_delay_alu instid0(VALU_DEP_1) | instskip(NEXT) | instid1(VALU_DEP_2)
	v_and_b32_e32 v209, 0x100000, v209
	v_and_b32_e32 v207, 0x10000000, v207
	s_delay_alu instid0(VALU_DEP_1) | instskip(SKIP_1) | instid1(VALU_DEP_2)
	v_or3_b32 v206, v206, v209, v207
	v_lshlrev_b16 v207, 8, v208
	v_lshrrev_b32_e32 v206, 16, v206
	s_delay_alu instid0(VALU_DEP_2) | instskip(NEXT) | instid1(VALU_DEP_1)
	v_add_nc_u16 v207, 0xf000, v207
	v_lshrrev_b16 v207, 8, v207
	s_delay_alu instid0(VALU_DEP_1) | instskip(NEXT) | instid1(VALU_DEP_4)
	v_bitop3_b16 v207, v208, v207, 0x1f00 bitop3:0xec
	v_lshlrev_b16 v208, 8, v206
	v_and_b32_e32 v206, 0x1f00, v206
	s_delay_alu instid0(VALU_DEP_3) | instskip(NEXT) | instid1(VALU_DEP_3)
	v_add_nc_u16 v207, 0xf000, v207
	v_add_nc_u16 v208, 0xf000, v208
	s_delay_alu instid0(VALU_DEP_3) | instskip(NEXT) | instid1(VALU_DEP_3)
	v_add_nc_u16 v206, 0xf000, v206
	v_lshrrev_b32_e32 v17, 8, v207
	v_bfe_i32 v207, v207, 0, 8
	s_delay_alu instid0(VALU_DEP_3) | instskip(NEXT) | instid1(VALU_DEP_3)
	v_lshrrev_b32_e32 v206, 8, v206
	v_bfe_i32 v17, v17, 0, 8
	s_delay_alu instid0(VALU_DEP_3) | instskip(NEXT) | instid1(VALU_DEP_3)
	v_cvt_f16_i16_e64 v207, v207
	v_bfe_i32 v206, v206, 0, 8
	s_delay_alu instid0(VALU_DEP_3) | instskip(NEXT) | instid1(VALU_DEP_2)
	v_cvt_f16_i16_e32 v17, v17
	v_cvt_f16_i16_e64 v206, v206
	s_delay_alu instid0(VALU_DEP_2) | instskip(SKIP_1) | instid1(VALU_DEP_2)
	v_pack_b32_f16 v17, v207, v17
	v_ashrrev_i16 v207, 8, v208
	v_pk_mul_f16 v17, v17, v16
	s_delay_alu instid0(VALU_DEP_2) | instskip(NEXT) | instid1(VALU_DEP_2)
	v_cvt_f16_i16_e64 v207, v207
	v_pk_fma_f16 v205, v17, v18, v205
	s_delay_alu instid0(VALU_DEP_2) | instskip(NEXT) | instid1(VALU_DEP_1)
	v_pack_b32_f16 v206, v207, v206
	v_pk_mul_f16 v16, v206, v16
	v_add_nc_u64_e32 v[206:207], s[4:5], v[136:137]
	v_add_nc_u64_e32 v[136:137], s[22:23], v[136:137]
	s_delay_alu instid0(VALU_DEP_3)
	v_pk_fma_f16 v18, v16, v18, v21
	v_add_nc_u64_e32 v[16:17], s[4:5], v[138:139]
	v_mul_u32_u24_e32 v21, 0x10001, v212
	global_load_b32 v206, v[206:207], off
	v_add_nc_u64_e32 v[138:139], s[22:23], v[138:139]
	s_clause 0x1
	global_load_b32 v207, v[16:17], off offset:2
	global_load_u16 v16, v[16:17], off
	s_wait_loadcnt 0x1
	v_lshrrev_b32_e32 v208, v196, v207
	v_dual_ashrrev_i32 v206, v200, v206 :: v_dual_lshrrev_b32 v209, v201, v207
	s_wait_loadcnt 0x0
	v_mul_u32_u24_e32 v16, 0x10001, v16
	s_delay_alu instid0(VALU_DEP_3) | instskip(NEXT) | instid1(VALU_DEP_3)
	v_lshlrev_b32_e32 v208, 4, v208
	v_and_b32_e32 v206, 0xf0f0f0f, v206
	s_delay_alu instid0(VALU_DEP_2) | instskip(NEXT) | instid1(VALU_DEP_1)
	v_dual_lshlrev_b32 v209, 12, v209 :: v_dual_bitop2_b32 v208, 16, v208 bitop3:0x40
	v_and_b32_e32 v209, 0x1000, v209
	s_delay_alu instid0(VALU_DEP_1) | instskip(SKIP_1) | instid1(VALU_DEP_1)
	v_or3_b32 v208, v208, v206, v209
	v_dual_lshrrev_b32 v209, v202, v207 :: v_dual_lshrrev_b32 v207, v203, v207
	v_dual_lshlrev_b32 v207, 28, v207 :: v_dual_lshlrev_b32 v209, 20, v209
	s_delay_alu instid0(VALU_DEP_1) | instskip(NEXT) | instid1(VALU_DEP_2)
	v_and_b32_e32 v207, 0x10000000, v207
	v_and_b32_e32 v209, 0x100000, v209
	s_delay_alu instid0(VALU_DEP_1) | instskip(SKIP_2) | instid1(VALU_DEP_2)
	v_or3_b32 v206, v206, v209, v207
	v_lshlrev_b16 v207, 8, v208
	s_wait_dscnt 0x1
	v_dual_lshrrev_b32 v209, 16, v15 :: v_dual_lshrrev_b32 v206, 16, v206
	s_delay_alu instid0(VALU_DEP_2) | instskip(NEXT) | instid1(VALU_DEP_1)
	v_add_nc_u16 v207, 0xf000, v207
	v_lshrrev_b16 v207, 8, v207
	s_delay_alu instid0(VALU_DEP_1) | instskip(NEXT) | instid1(VALU_DEP_4)
	v_bitop3_b16 v207, v208, v207, 0x1f00 bitop3:0xec
	v_lshlrev_b16 v208, 8, v206
	v_and_b32_e32 v206, 0x1f00, v206
	s_delay_alu instid0(VALU_DEP_3) | instskip(NEXT) | instid1(VALU_DEP_3)
	v_add_nc_u16 v207, 0xf000, v207
	v_add_nc_u16 v208, 0xf000, v208
	s_delay_alu instid0(VALU_DEP_3) | instskip(NEXT) | instid1(VALU_DEP_3)
	v_add_nc_u16 v206, 0xf000, v206
	v_lshrrev_b32_e32 v17, 8, v207
	v_bfe_i32 v207, v207, 0, 8
	s_delay_alu instid0(VALU_DEP_3) | instskip(NEXT) | instid1(VALU_DEP_3)
	v_lshrrev_b32_e32 v206, 8, v206
	v_bfe_i32 v17, v17, 0, 8
	s_delay_alu instid0(VALU_DEP_3) | instskip(NEXT) | instid1(VALU_DEP_3)
	v_cvt_f16_i16_e64 v207, v207
	v_bfe_i32 v206, v206, 0, 8
	s_delay_alu instid0(VALU_DEP_3) | instskip(NEXT) | instid1(VALU_DEP_2)
	v_cvt_f16_i16_e32 v17, v17
	v_cvt_f16_i16_e64 v206, v206
	s_delay_alu instid0(VALU_DEP_2) | instskip(SKIP_1) | instid1(VALU_DEP_2)
	v_pack_b32_f16 v17, v207, v17
	v_ashrrev_i16 v207, 8, v208
	v_pk_mul_f16 v17, v17, v16
	s_delay_alu instid0(VALU_DEP_2) | instskip(NEXT) | instid1(VALU_DEP_2)
	v_cvt_f16_i16_e64 v207, v207
	v_pk_fma_f16 v205, v17, v21, v205
	s_delay_alu instid0(VALU_DEP_2) | instskip(NEXT) | instid1(VALU_DEP_1)
	v_pack_b32_f16 v206, v207, v206
	v_pk_mul_f16 v16, v206, v16
	s_delay_alu instid0(VALU_DEP_1) | instskip(SKIP_3) | instid1(VALU_DEP_3)
	v_pk_fma_f16 v21, v16, v21, v18
	v_and_b32_e32 v16, 0xffff, v19
	v_add_nc_u64_e32 v[18:19], s[4:5], v[132:133]
	v_add_nc_u64_e32 v[132:133], s[22:23], v[132:133]
	v_mul_u32_u24_e32 v206, 0x10001, v16
	v_add_nc_u64_e32 v[16:17], s[4:5], v[134:135]
	v_add_nc_u64_e32 v[134:135], s[22:23], v[134:135]
	global_load_b32 v18, v[18:19], off
	s_clause 0x1
	global_load_b32 v19, v[16:17], off offset:2
	global_load_u16 v16, v[16:17], off
	s_wait_loadcnt 0x1
	v_dual_lshrrev_b32 v207, v196, v19 :: v_dual_lshrrev_b32 v208, v201, v19
	v_ashrrev_i32_e32 v18, v200, v18
	s_wait_loadcnt 0x0
	v_mul_u32_u24_e32 v16, 0x10001, v16
	s_delay_alu instid0(VALU_DEP_3) | instskip(NEXT) | instid1(VALU_DEP_3)
	v_dual_lshlrev_b32 v207, 4, v207 :: v_dual_lshlrev_b32 v208, 12, v208
	v_and_b32_e32 v18, 0xf0f0f0f, v18
	s_delay_alu instid0(VALU_DEP_2) | instskip(NEXT) | instid1(VALU_DEP_3)
	v_and_b32_e32 v207, 16, v207
	v_and_b32_e32 v208, 0x1000, v208
	s_delay_alu instid0(VALU_DEP_1) | instskip(SKIP_1) | instid1(VALU_DEP_1)
	v_or3_b32 v207, v207, v18, v208
	v_dual_lshrrev_b32 v208, v202, v19 :: v_dual_lshrrev_b32 v19, v203, v19
	v_dual_lshlrev_b32 v208, 20, v208 :: v_dual_lshlrev_b32 v19, 28, v19
	s_delay_alu instid0(VALU_DEP_1) | instskip(NEXT) | instid1(VALU_DEP_2)
	v_and_b32_e32 v208, 0x100000, v208
	v_and_b32_e32 v19, 0x10000000, v19
	s_delay_alu instid0(VALU_DEP_1) | instskip(SKIP_1) | instid1(VALU_DEP_1)
	v_or3_b32 v18, v18, v208, v19
	v_lshlrev_b16 v19, 8, v207
	v_add_nc_u16 v19, 0xf000, v19
	s_delay_alu instid0(VALU_DEP_1) | instskip(NEXT) | instid1(VALU_DEP_1)
	v_lshrrev_b16 v19, 8, v19
	v_bitop3_b16 v19, v207, v19, 0x1f00 bitop3:0xec
	s_delay_alu instid0(VALU_DEP_1) | instskip(NEXT) | instid1(VALU_DEP_1)
	v_add_nc_u16 v19, 0xf000, v19
	v_dual_lshrrev_b32 v18, 16, v18 :: v_dual_lshrrev_b32 v17, 8, v19
	s_delay_alu instid0(VALU_DEP_1) | instskip(SKIP_2) | instid1(VALU_DEP_4)
	v_lshlrev_b16 v207, 8, v18
	v_and_b32_e32 v18, 0x1f00, v18
	v_bfe_i32 v19, v19, 0, 8
	v_bfe_i32 v17, v17, 0, 8
	s_delay_alu instid0(VALU_DEP_4) | instskip(NEXT) | instid1(VALU_DEP_4)
	v_add_nc_u16 v207, 0xf000, v207
	v_add_nc_u16 v18, 0xf000, v18
	s_delay_alu instid0(VALU_DEP_4) | instskip(NEXT) | instid1(VALU_DEP_4)
	v_cvt_f16_i16_e32 v19, v19
	v_cvt_f16_i16_e32 v17, v17
	s_delay_alu instid0(VALU_DEP_3) | instskip(NEXT) | instid1(VALU_DEP_2)
	v_lshrrev_b32_e32 v18, 8, v18
	v_pack_b32_f16 v17, v19, v17
	v_ashrrev_i16 v19, 8, v207
	s_delay_alu instid0(VALU_DEP_3) | instskip(NEXT) | instid1(VALU_DEP_3)
	v_bfe_i32 v18, v18, 0, 8
	v_pk_mul_f16 v17, v17, v16
	s_delay_alu instid0(VALU_DEP_3) | instskip(NEXT) | instid1(VALU_DEP_3)
	v_cvt_f16_i16_e32 v19, v19
	v_cvt_f16_i16_e32 v18, v18
	s_delay_alu instid0(VALU_DEP_3) | instskip(NEXT) | instid1(VALU_DEP_2)
	v_pk_fma_f16 v205, v17, v206, v205
	v_pack_b32_f16 v18, v19, v18
	s_delay_alu instid0(VALU_DEP_1) | instskip(SKIP_2) | instid1(VALU_DEP_3)
	v_pk_mul_f16 v16, v18, v16
	v_add_nc_u64_e32 v[18:19], s[4:5], v[128:129]
	v_add_nc_u64_e32 v[128:129], s[22:23], v[128:129]
	v_pk_fma_f16 v21, v16, v206, v21
	v_add_nc_u64_e32 v[16:17], s[4:5], v[130:131]
	v_mul_u32_u24_e32 v206, 0x10001, v213
	global_load_b32 v18, v[18:19], off
	v_add_nc_u64_e32 v[130:131], s[22:23], v[130:131]
	s_clause 0x1
	global_load_b32 v19, v[16:17], off offset:2
	global_load_u16 v16, v[16:17], off
	s_wait_loadcnt 0x1
	v_lshrrev_b32_e32 v207, v196, v19
	v_dual_ashrrev_i32 v18, v200, v18 :: v_dual_lshrrev_b32 v208, v201, v19
	s_wait_loadcnt 0x0
	v_mul_u32_u24_e32 v16, 0x10001, v16
	s_delay_alu instid0(VALU_DEP_3) | instskip(NEXT) | instid1(VALU_DEP_3)
	v_lshlrev_b32_e32 v207, 4, v207
	v_and_b32_e32 v18, 0xf0f0f0f, v18
	s_delay_alu instid0(VALU_DEP_2) | instskip(NEXT) | instid1(VALU_DEP_1)
	v_dual_lshlrev_b32 v208, 12, v208 :: v_dual_bitop2_b32 v207, 16, v207 bitop3:0x40
	v_and_b32_e32 v208, 0x1000, v208
	s_delay_alu instid0(VALU_DEP_1) | instskip(SKIP_1) | instid1(VALU_DEP_1)
	v_or3_b32 v207, v207, v18, v208
	v_dual_lshrrev_b32 v208, v202, v19 :: v_dual_lshrrev_b32 v19, v203, v19
	v_dual_lshlrev_b32 v19, 28, v19 :: v_dual_lshlrev_b32 v208, 20, v208
	s_delay_alu instid0(VALU_DEP_1) | instskip(NEXT) | instid1(VALU_DEP_2)
	v_and_b32_e32 v19, 0x10000000, v19
	v_and_b32_e32 v208, 0x100000, v208
	s_delay_alu instid0(VALU_DEP_1) | instskip(SKIP_2) | instid1(VALU_DEP_3)
	v_or3_b32 v18, v18, v208, v19
	v_lshlrev_b16 v19, 8, v207
	v_lshrrev_b32_e32 v208, 16, v14
	v_lshrrev_b32_e32 v18, 16, v18
	s_delay_alu instid0(VALU_DEP_3) | instskip(NEXT) | instid1(VALU_DEP_1)
	v_add_nc_u16 v19, 0xf000, v19
	v_lshrrev_b16 v19, 8, v19
	s_delay_alu instid0(VALU_DEP_1) | instskip(NEXT) | instid1(VALU_DEP_4)
	v_bitop3_b16 v19, v207, v19, 0x1f00 bitop3:0xec
	v_lshlrev_b16 v207, 8, v18
	v_and_b32_e32 v18, 0x1f00, v18
	s_delay_alu instid0(VALU_DEP_3) | instskip(NEXT) | instid1(VALU_DEP_3)
	v_add_nc_u16 v19, 0xf000, v19
	v_add_nc_u16 v207, 0xf000, v207
	s_delay_alu instid0(VALU_DEP_3) | instskip(NEXT) | instid1(VALU_DEP_3)
	v_add_nc_u16 v18, 0xf000, v18
	v_lshrrev_b32_e32 v17, 8, v19
	v_bfe_i32 v19, v19, 0, 8
	s_delay_alu instid0(VALU_DEP_3) | instskip(NEXT) | instid1(VALU_DEP_3)
	v_lshrrev_b32_e32 v18, 8, v18
	v_bfe_i32 v17, v17, 0, 8
	s_delay_alu instid0(VALU_DEP_3) | instskip(NEXT) | instid1(VALU_DEP_3)
	v_cvt_f16_i16_e32 v19, v19
	v_bfe_i32 v18, v18, 0, 8
	s_delay_alu instid0(VALU_DEP_3) | instskip(NEXT) | instid1(VALU_DEP_2)
	v_cvt_f16_i16_e32 v17, v17
	v_cvt_f16_i16_e32 v18, v18
	s_delay_alu instid0(VALU_DEP_2) | instskip(SKIP_2) | instid1(VALU_DEP_3)
	v_pack_b32_f16 v17, v19, v17
	v_ashrrev_i16 v19, 8, v207
	v_lshrrev_b32_e32 v207, 16, v13
	v_pk_mul_f16 v17, v17, v16
	s_delay_alu instid0(VALU_DEP_3) | instskip(NEXT) | instid1(VALU_DEP_2)
	v_cvt_f16_i16_e32 v19, v19
	v_pk_fma_f16 v205, v17, v206, v205
	s_delay_alu instid0(VALU_DEP_2) | instskip(NEXT) | instid1(VALU_DEP_1)
	v_pack_b32_f16 v18, v19, v18
	v_pk_mul_f16 v16, v18, v16
	v_add_nc_u64_e32 v[18:19], s[4:5], v[124:125]
	v_add_nc_u64_e32 v[124:125], s[22:23], v[124:125]
	s_delay_alu instid0(VALU_DEP_3)
	v_pk_fma_f16 v21, v16, v206, v21
	v_add_nc_u64_e32 v[16:17], s[4:5], v[126:127]
	v_lshrrev_b32_e32 v206, 16, v12
	global_load_b32 v18, v[18:19], off
	v_and_b32_e32 v12, 0xffff, v12
	v_add_nc_u64_e32 v[126:127], s[22:23], v[126:127]
	s_clause 0x1
	global_load_b32 v19, v[16:17], off offset:2
	global_load_u16 v16, v[16:17], off
	v_mul_u32_u24_e32 v12, 0x10001, v12
	s_wait_loadcnt 0x1
	v_dual_ashrrev_i32 v18, v200, v18 :: v_dual_lshrrev_b32 v211, v201, v19
	v_lshrrev_b32_e32 v210, v196, v19
	s_delay_alu instid0(VALU_DEP_2) | instskip(SKIP_2) | instid1(VALU_DEP_3)
	v_and_b32_e32 v18, 0xf0f0f0f, v18
	s_wait_loadcnt 0x0
	v_mul_u32_u24_e32 v16, 0x10001, v16
	v_dual_lshlrev_b32 v211, 12, v211 :: v_dual_lshlrev_b32 v210, 4, v210
	s_delay_alu instid0(VALU_DEP_1) | instskip(NEXT) | instid1(VALU_DEP_2)
	v_and_b32_e32 v211, 0x1000, v211
	v_and_b32_e32 v210, 16, v210
	s_delay_alu instid0(VALU_DEP_1) | instskip(SKIP_1) | instid1(VALU_DEP_1)
	v_or3_b32 v210, v210, v18, v211
	v_dual_lshrrev_b32 v211, v202, v19 :: v_dual_lshrrev_b32 v19, v203, v19
	v_lshlrev_b32_e32 v211, 20, v211
	s_delay_alu instid0(VALU_DEP_2) | instskip(NEXT) | instid1(VALU_DEP_2)
	v_lshlrev_b32_e32 v19, 28, v19
	v_and_b32_e32 v211, 0x100000, v211
	s_delay_alu instid0(VALU_DEP_2) | instskip(NEXT) | instid1(VALU_DEP_1)
	v_and_b32_e32 v19, 0x10000000, v19
	v_or3_b32 v18, v18, v211, v19
	v_lshlrev_b16 v19, 8, v210
	s_delay_alu instid0(VALU_DEP_2) | instskip(NEXT) | instid1(VALU_DEP_2)
	v_lshrrev_b32_e32 v18, 16, v18
	v_add_nc_u16 v19, 0xf000, v19
	s_delay_alu instid0(VALU_DEP_1) | instskip(NEXT) | instid1(VALU_DEP_1)
	v_lshrrev_b16 v19, 8, v19
	v_bitop3_b16 v19, v210, v19, 0x1f00 bitop3:0xec
	s_delay_alu instid0(VALU_DEP_4) | instskip(SKIP_1) | instid1(VALU_DEP_3)
	v_lshlrev_b16 v210, 8, v18
	v_and_b32_e32 v18, 0x1f00, v18
	v_add_nc_u16 v19, 0xf000, v19
	s_delay_alu instid0(VALU_DEP_3) | instskip(NEXT) | instid1(VALU_DEP_3)
	v_add_nc_u16 v210, 0xf000, v210
	v_add_nc_u16 v18, 0xf000, v18
	s_delay_alu instid0(VALU_DEP_3) | instskip(SKIP_1) | instid1(VALU_DEP_3)
	v_lshrrev_b32_e32 v17, 8, v19
	v_bfe_i32 v19, v19, 0, 8
	v_lshrrev_b32_e32 v18, 8, v18
	s_delay_alu instid0(VALU_DEP_3) | instskip(NEXT) | instid1(VALU_DEP_3)
	v_bfe_i32 v17, v17, 0, 8
	v_cvt_f16_i16_e32 v19, v19
	s_delay_alu instid0(VALU_DEP_3) | instskip(NEXT) | instid1(VALU_DEP_3)
	v_bfe_i32 v18, v18, 0, 8
	v_cvt_f16_i16_e32 v17, v17
	s_delay_alu instid0(VALU_DEP_2) | instskip(NEXT) | instid1(VALU_DEP_2)
	v_cvt_f16_i16_e32 v18, v18
	v_pack_b32_f16 v17, v19, v17
	v_ashrrev_i16 v19, 8, v210
	s_delay_alu instid0(VALU_DEP_2) | instskip(NEXT) | instid1(VALU_DEP_2)
	v_pk_mul_f16 v17, v17, v16
	v_cvt_f16_i16_e32 v19, v19
	s_delay_alu instid0(VALU_DEP_2) | instskip(NEXT) | instid1(VALU_DEP_2)
	v_pk_fma_f16 v205, v17, v12, v205
	v_pack_b32_f16 v18, v19, v18
	s_delay_alu instid0(VALU_DEP_1) | instskip(SKIP_2) | instid1(VALU_DEP_3)
	v_pk_mul_f16 v16, v18, v16
	v_add_nc_u64_e32 v[18:19], s[4:5], v[120:121]
	v_add_nc_u64_e32 v[120:121], s[22:23], v[120:121]
	v_pk_fma_f16 v12, v16, v12, v21
	v_add_nc_u64_e32 v[16:17], s[4:5], v[122:123]
	v_mul_u32_u24_e32 v21, 0x10001, v206
	global_load_b32 v18, v[18:19], off
	v_add_nc_u64_e32 v[122:123], s[22:23], v[122:123]
	s_clause 0x1
	global_load_b32 v19, v[16:17], off offset:2
	global_load_u16 v16, v[16:17], off
	s_wait_loadcnt 0x2
	v_ashrrev_i32_e32 v18, v200, v18
	s_wait_loadcnt 0x1
	v_dual_lshrrev_b32 v206, v196, v19 :: v_dual_lshrrev_b32 v210, v201, v19
	s_delay_alu instid0(VALU_DEP_2) | instskip(SKIP_2) | instid1(VALU_DEP_3)
	v_and_b32_e32 v18, 0xf0f0f0f, v18
	s_wait_loadcnt 0x0
	v_mul_u32_u24_e32 v16, 0x10001, v16
	v_lshlrev_b32_e32 v206, 4, v206
	v_lshlrev_b32_e32 v210, 12, v210
	s_delay_alu instid0(VALU_DEP_2) | instskip(NEXT) | instid1(VALU_DEP_2)
	v_and_b32_e32 v206, 16, v206
	v_and_b32_e32 v210, 0x1000, v210
	s_delay_alu instid0(VALU_DEP_1) | instskip(SKIP_1) | instid1(VALU_DEP_1)
	v_or3_b32 v206, v206, v18, v210
	v_dual_lshrrev_b32 v210, v202, v19 :: v_dual_lshrrev_b32 v19, v203, v19
	v_dual_lshlrev_b32 v210, 20, v210 :: v_dual_lshlrev_b32 v19, 28, v19
	s_delay_alu instid0(VALU_DEP_1) | instskip(NEXT) | instid1(VALU_DEP_2)
	v_and_b32_e32 v210, 0x100000, v210
	v_and_b32_e32 v19, 0x10000000, v19
	s_delay_alu instid0(VALU_DEP_1) | instskip(SKIP_1) | instid1(VALU_DEP_2)
	v_or3_b32 v18, v18, v210, v19
	v_lshlrev_b16 v19, 8, v206
	v_lshrrev_b32_e32 v18, 16, v18
	s_delay_alu instid0(VALU_DEP_2) | instskip(NEXT) | instid1(VALU_DEP_1)
	v_add_nc_u16 v19, 0xf000, v19
	v_lshrrev_b16 v19, 8, v19
	s_delay_alu instid0(VALU_DEP_1) | instskip(NEXT) | instid1(VALU_DEP_4)
	v_bitop3_b16 v19, v206, v19, 0x1f00 bitop3:0xec
	v_lshlrev_b16 v206, 8, v18
	v_and_b32_e32 v18, 0x1f00, v18
	s_delay_alu instid0(VALU_DEP_3) | instskip(NEXT) | instid1(VALU_DEP_3)
	v_add_nc_u16 v19, 0xf000, v19
	v_add_nc_u16 v206, 0xf000, v206
	s_delay_alu instid0(VALU_DEP_3) | instskip(NEXT) | instid1(VALU_DEP_3)
	v_add_nc_u16 v18, 0xf000, v18
	v_lshrrev_b32_e32 v17, 8, v19
	v_bfe_i32 v19, v19, 0, 8
	s_delay_alu instid0(VALU_DEP_3) | instskip(NEXT) | instid1(VALU_DEP_3)
	v_lshrrev_b32_e32 v18, 8, v18
	v_bfe_i32 v17, v17, 0, 8
	s_delay_alu instid0(VALU_DEP_3) | instskip(NEXT) | instid1(VALU_DEP_3)
	v_cvt_f16_i16_e32 v19, v19
	v_bfe_i32 v18, v18, 0, 8
	s_delay_alu instid0(VALU_DEP_3) | instskip(NEXT) | instid1(VALU_DEP_2)
	v_cvt_f16_i16_e32 v17, v17
	v_cvt_f16_i16_e32 v18, v18
	s_delay_alu instid0(VALU_DEP_2) | instskip(SKIP_1) | instid1(VALU_DEP_2)
	v_pack_b32_f16 v17, v19, v17
	v_ashrrev_i16 v19, 8, v206
	v_pk_mul_f16 v17, v17, v16
	s_delay_alu instid0(VALU_DEP_2) | instskip(NEXT) | instid1(VALU_DEP_1)
	v_cvt_f16_i16_e32 v19, v19
	v_pack_b32_f16 v18, v19, v18
	s_delay_alu instid0(VALU_DEP_1) | instskip(NEXT) | instid1(VALU_DEP_4)
	v_pk_mul_f16 v16, v18, v16
	v_pk_fma_f16 v18, v17, v21, v205
	s_delay_alu instid0(VALU_DEP_2) | instskip(SKIP_3) | instid1(VALU_DEP_3)
	v_pk_fma_f16 v19, v16, v21, v12
	v_and_b32_e32 v12, 0xffff, v13
	v_add_nc_u64_e32 v[16:17], s[4:5], v[116:117]
	v_add_nc_u64_e32 v[116:117], s[22:23], v[116:117]
	v_mul_u32_u24_e32 v21, 0x10001, v12
	v_add_nc_u64_e32 v[12:13], s[4:5], v[118:119]
	v_add_nc_u64_e32 v[118:119], s[22:23], v[118:119]
	global_load_b32 v16, v[16:17], off
	s_clause 0x1
	global_load_b32 v17, v[12:13], off offset:2
	global_load_u16 v12, v[12:13], off
	s_wait_loadcnt 0x2
	v_ashrrev_i32_e32 v16, v200, v16
	s_wait_loadcnt 0x1
	v_dual_lshrrev_b32 v205, v196, v17 :: v_dual_lshrrev_b32 v206, v201, v17
	s_delay_alu instid0(VALU_DEP_2) | instskip(SKIP_2) | instid1(VALU_DEP_3)
	v_and_b32_e32 v16, 0xf0f0f0f, v16
	s_wait_loadcnt 0x0
	v_mul_u32_u24_e32 v12, 0x10001, v12
	v_dual_lshlrev_b32 v205, 4, v205 :: v_dual_lshlrev_b32 v206, 12, v206
	s_delay_alu instid0(VALU_DEP_1) | instskip(NEXT) | instid1(VALU_DEP_2)
	v_and_b32_e32 v205, 16, v205
	v_and_b32_e32 v206, 0x1000, v206
	s_delay_alu instid0(VALU_DEP_1) | instskip(SKIP_1) | instid1(VALU_DEP_1)
	v_or3_b32 v205, v205, v16, v206
	v_dual_lshrrev_b32 v206, v202, v17 :: v_dual_lshrrev_b32 v17, v203, v17
	v_dual_lshlrev_b32 v17, 28, v17 :: v_dual_lshlrev_b32 v206, 20, v206
	s_delay_alu instid0(VALU_DEP_1) | instskip(NEXT) | instid1(VALU_DEP_2)
	v_and_b32_e32 v17, 0x10000000, v17
	v_and_b32_e32 v206, 0x100000, v206
	s_delay_alu instid0(VALU_DEP_1) | instskip(SKIP_1) | instid1(VALU_DEP_1)
	v_or3_b32 v16, v16, v206, v17
	v_lshlrev_b16 v17, 8, v205
	v_add_nc_u16 v17, 0xf000, v17
	s_delay_alu instid0(VALU_DEP_1) | instskip(NEXT) | instid1(VALU_DEP_1)
	v_lshrrev_b16 v17, 8, v17
	v_bitop3_b16 v17, v205, v17, 0x1f00 bitop3:0xec
	s_delay_alu instid0(VALU_DEP_1) | instskip(NEXT) | instid1(VALU_DEP_1)
	v_add_nc_u16 v17, 0xf000, v17
	v_dual_lshrrev_b32 v16, 16, v16 :: v_dual_lshrrev_b32 v13, 8, v17
	s_delay_alu instid0(VALU_DEP_1) | instskip(SKIP_2) | instid1(VALU_DEP_4)
	v_lshlrev_b16 v205, 8, v16
	v_and_b32_e32 v16, 0x1f00, v16
	v_bfe_i32 v17, v17, 0, 8
	v_bfe_i32 v13, v13, 0, 8
	s_delay_alu instid0(VALU_DEP_4) | instskip(NEXT) | instid1(VALU_DEP_4)
	v_add_nc_u16 v205, 0xf000, v205
	v_add_nc_u16 v16, 0xf000, v16
	s_delay_alu instid0(VALU_DEP_4) | instskip(NEXT) | instid1(VALU_DEP_4)
	v_cvt_f16_i16_e32 v17, v17
	v_cvt_f16_i16_e32 v13, v13
	s_delay_alu instid0(VALU_DEP_3) | instskip(NEXT) | instid1(VALU_DEP_2)
	v_lshrrev_b32_e32 v16, 8, v16
	v_pack_b32_f16 v13, v17, v13
	v_ashrrev_i16 v17, 8, v205
	s_delay_alu instid0(VALU_DEP_3) | instskip(NEXT) | instid1(VALU_DEP_3)
	v_bfe_i32 v16, v16, 0, 8
	v_pk_mul_f16 v13, v13, v12
	s_delay_alu instid0(VALU_DEP_3) | instskip(NEXT) | instid1(VALU_DEP_3)
	v_cvt_f16_i16_e32 v17, v17
	v_cvt_f16_i16_e32 v16, v16
	s_delay_alu instid0(VALU_DEP_3) | instskip(NEXT) | instid1(VALU_DEP_2)
	v_pk_fma_f16 v18, v13, v21, v18
	v_pack_b32_f16 v16, v17, v16
	s_delay_alu instid0(VALU_DEP_1) | instskip(SKIP_2) | instid1(VALU_DEP_3)
	v_pk_mul_f16 v12, v16, v12
	v_add_nc_u64_e32 v[16:17], s[4:5], v[112:113]
	v_add_nc_u64_e32 v[112:113], s[22:23], v[112:113]
	v_pk_fma_f16 v19, v12, v21, v19
	v_add_nc_u64_e32 v[12:13], s[4:5], v[114:115]
	v_mul_u32_u24_e32 v21, 0x10001, v207
	global_load_b32 v16, v[16:17], off
	v_add_nc_u64_e32 v[114:115], s[22:23], v[114:115]
	s_clause 0x1
	global_load_b32 v17, v[12:13], off offset:2
	global_load_u16 v12, v[12:13], off
	s_wait_loadcnt 0x1
	v_lshrrev_b32_e32 v205, v196, v17
	v_dual_ashrrev_i32 v16, v200, v16 :: v_dual_lshrrev_b32 v206, v201, v17
	s_wait_loadcnt 0x0
	v_mul_u32_u24_e32 v12, 0x10001, v12
	s_delay_alu instid0(VALU_DEP_3) | instskip(NEXT) | instid1(VALU_DEP_3)
	v_lshlrev_b32_e32 v205, 4, v205
	v_and_b32_e32 v16, 0xf0f0f0f, v16
	s_delay_alu instid0(VALU_DEP_2) | instskip(NEXT) | instid1(VALU_DEP_1)
	v_dual_lshlrev_b32 v206, 12, v206 :: v_dual_bitop2_b32 v205, 16, v205 bitop3:0x40
	v_and_b32_e32 v206, 0x1000, v206
	s_delay_alu instid0(VALU_DEP_1) | instskip(SKIP_1) | instid1(VALU_DEP_1)
	v_or3_b32 v205, v205, v16, v206
	v_dual_lshrrev_b32 v206, v202, v17 :: v_dual_lshrrev_b32 v17, v203, v17
	v_dual_lshlrev_b32 v17, 28, v17 :: v_dual_lshlrev_b32 v206, 20, v206
	s_delay_alu instid0(VALU_DEP_1) | instskip(NEXT) | instid1(VALU_DEP_2)
	v_and_b32_e32 v17, 0x10000000, v17
	v_and_b32_e32 v206, 0x100000, v206
	s_delay_alu instid0(VALU_DEP_1) | instskip(SKIP_1) | instid1(VALU_DEP_2)
	v_or3_b32 v16, v16, v206, v17
	v_lshlrev_b16 v17, 8, v205
	v_lshrrev_b32_e32 v16, 16, v16
	s_delay_alu instid0(VALU_DEP_2) | instskip(NEXT) | instid1(VALU_DEP_1)
	v_add_nc_u16 v17, 0xf000, v17
	v_lshrrev_b16 v17, 8, v17
	s_delay_alu instid0(VALU_DEP_1) | instskip(NEXT) | instid1(VALU_DEP_4)
	v_bitop3_b16 v17, v205, v17, 0x1f00 bitop3:0xec
	v_lshlrev_b16 v205, 8, v16
	v_and_b32_e32 v16, 0x1f00, v16
	s_delay_alu instid0(VALU_DEP_3) | instskip(NEXT) | instid1(VALU_DEP_3)
	v_add_nc_u16 v17, 0xf000, v17
	v_add_nc_u16 v205, 0xf000, v205
	s_delay_alu instid0(VALU_DEP_3) | instskip(NEXT) | instid1(VALU_DEP_3)
	v_add_nc_u16 v16, 0xf000, v16
	v_lshrrev_b32_e32 v13, 8, v17
	v_bfe_i32 v17, v17, 0, 8
	s_delay_alu instid0(VALU_DEP_3) | instskip(NEXT) | instid1(VALU_DEP_3)
	v_lshrrev_b32_e32 v16, 8, v16
	v_bfe_i32 v13, v13, 0, 8
	s_delay_alu instid0(VALU_DEP_3) | instskip(NEXT) | instid1(VALU_DEP_3)
	v_cvt_f16_i16_e32 v17, v17
	v_bfe_i32 v16, v16, 0, 8
	s_delay_alu instid0(VALU_DEP_3) | instskip(NEXT) | instid1(VALU_DEP_2)
	v_cvt_f16_i16_e32 v13, v13
	v_cvt_f16_i16_e32 v16, v16
	s_delay_alu instid0(VALU_DEP_2) | instskip(SKIP_1) | instid1(VALU_DEP_2)
	v_pack_b32_f16 v13, v17, v13
	v_ashrrev_i16 v17, 8, v205
	v_pk_mul_f16 v13, v13, v12
	s_delay_alu instid0(VALU_DEP_2) | instskip(NEXT) | instid1(VALU_DEP_2)
	v_cvt_f16_i16_e32 v17, v17
	v_pk_fma_f16 v18, v13, v21, v18
	s_delay_alu instid0(VALU_DEP_2) | instskip(NEXT) | instid1(VALU_DEP_1)
	v_pack_b32_f16 v16, v17, v16
	v_pk_mul_f16 v12, v16, v12
	v_add_nc_u64_e32 v[16:17], s[4:5], v[108:109]
	v_add_nc_u64_e32 v[108:109], s[22:23], v[108:109]
	s_delay_alu instid0(VALU_DEP_3)
	v_pk_fma_f16 v19, v12, v21, v19
	v_and_b32_e32 v12, 0xffff, v14
	global_load_b32 v16, v[16:17], off
	v_mul_u32_u24_e32 v14, 0x10001, v12
	v_add_nc_u64_e32 v[12:13], s[4:5], v[110:111]
	v_add_nc_u64_e32 v[110:111], s[22:23], v[110:111]
	s_clause 0x1
	global_load_b32 v17, v[12:13], off offset:2
	global_load_u16 v12, v[12:13], off
	s_wait_loadcnt 0x1
	v_dual_lshrrev_b32 v21, v196, v17 :: v_dual_lshrrev_b32 v205, v201, v17
	v_ashrrev_i32_e32 v16, v200, v16
	s_wait_loadcnt 0x0
	v_mul_u32_u24_e32 v12, 0x10001, v12
	s_delay_alu instid0(VALU_DEP_3) | instskip(SKIP_2) | instid1(VALU_DEP_3)
	v_lshlrev_b32_e32 v21, 4, v21
	v_lshlrev_b32_e32 v205, 12, v205
	v_and_b32_e32 v16, 0xf0f0f0f, v16
	v_and_b32_e32 v21, 16, v21
	s_delay_alu instid0(VALU_DEP_3) | instskip(NEXT) | instid1(VALU_DEP_1)
	v_and_b32_e32 v205, 0x1000, v205
	v_or3_b32 v21, v21, v16, v205
	v_dual_lshrrev_b32 v205, v202, v17 :: v_dual_lshrrev_b32 v17, v203, v17
	s_delay_alu instid0(VALU_DEP_1) | instskip(NEXT) | instid1(VALU_DEP_2)
	v_lshlrev_b32_e32 v205, 20, v205
	v_lshlrev_b32_e32 v17, 28, v17
	s_delay_alu instid0(VALU_DEP_2) | instskip(NEXT) | instid1(VALU_DEP_2)
	v_and_b32_e32 v205, 0x100000, v205
	v_and_b32_e32 v17, 0x10000000, v17
	s_delay_alu instid0(VALU_DEP_1) | instskip(SKIP_1) | instid1(VALU_DEP_2)
	v_or3_b32 v16, v16, v205, v17
	v_lshlrev_b16 v17, 8, v21
	v_lshrrev_b32_e32 v16, 16, v16
	s_delay_alu instid0(VALU_DEP_2) | instskip(NEXT) | instid1(VALU_DEP_1)
	v_add_nc_u16 v17, 0xf000, v17
	v_lshrrev_b16 v17, 8, v17
	s_delay_alu instid0(VALU_DEP_1) | instskip(NEXT) | instid1(VALU_DEP_4)
	v_bitop3_b16 v17, v21, v17, 0x1f00 bitop3:0xec
	v_lshlrev_b16 v21, 8, v16
	v_and_b32_e32 v16, 0x1f00, v16
	s_delay_alu instid0(VALU_DEP_3) | instskip(NEXT) | instid1(VALU_DEP_3)
	v_add_nc_u16 v17, 0xf000, v17
	v_add_nc_u16 v21, 0xf000, v21
	s_delay_alu instid0(VALU_DEP_3) | instskip(NEXT) | instid1(VALU_DEP_3)
	v_add_nc_u16 v16, 0xf000, v16
	v_lshrrev_b32_e32 v13, 8, v17
	v_bfe_i32 v17, v17, 0, 8
	s_delay_alu instid0(VALU_DEP_3) | instskip(NEXT) | instid1(VALU_DEP_3)
	v_lshrrev_b32_e32 v16, 8, v16
	v_bfe_i32 v13, v13, 0, 8
	s_delay_alu instid0(VALU_DEP_3) | instskip(NEXT) | instid1(VALU_DEP_3)
	v_cvt_f16_i16_e32 v17, v17
	v_bfe_i32 v16, v16, 0, 8
	s_delay_alu instid0(VALU_DEP_3) | instskip(NEXT) | instid1(VALU_DEP_2)
	v_cvt_f16_i16_e32 v13, v13
	v_cvt_f16_i16_e32 v16, v16
	s_delay_alu instid0(VALU_DEP_2) | instskip(SKIP_1) | instid1(VALU_DEP_2)
	v_pack_b32_f16 v13, v17, v13
	v_ashrrev_i16 v17, 8, v21
	v_pk_mul_f16 v13, v13, v12
	s_delay_alu instid0(VALU_DEP_2) | instskip(NEXT) | instid1(VALU_DEP_2)
	v_cvt_f16_i16_e32 v17, v17
	v_pk_fma_f16 v18, v13, v14, v18
	s_delay_alu instid0(VALU_DEP_2) | instskip(NEXT) | instid1(VALU_DEP_1)
	v_pack_b32_f16 v16, v17, v16
	v_pk_mul_f16 v12, v16, v12
	v_add_nc_u64_e32 v[16:17], s[4:5], v[104:105]
	v_add_nc_u64_e32 v[104:105], s[22:23], v[104:105]
	s_delay_alu instid0(VALU_DEP_3)
	v_pk_fma_f16 v14, v12, v14, v19
	v_add_nc_u64_e32 v[12:13], s[4:5], v[106:107]
	v_mul_u32_u24_e32 v19, 0x10001, v208
	global_load_b32 v16, v[16:17], off
	v_add_nc_u64_e32 v[106:107], s[22:23], v[106:107]
	s_clause 0x1
	global_load_b32 v17, v[12:13], off offset:2
	global_load_u16 v12, v[12:13], off
	s_wait_loadcnt 0x2
	v_ashrrev_i32_e32 v16, v200, v16
	s_wait_loadcnt 0x1
	v_dual_lshrrev_b32 v21, v196, v17 :: v_dual_lshrrev_b32 v205, v201, v17
	s_delay_alu instid0(VALU_DEP_2) | instskip(SKIP_2) | instid1(VALU_DEP_3)
	v_and_b32_e32 v16, 0xf0f0f0f, v16
	s_wait_loadcnt 0x0
	v_mul_u32_u24_e32 v12, 0x10001, v12
	v_lshlrev_b32_e32 v21, 4, v21
	v_lshlrev_b32_e32 v205, 12, v205
	s_delay_alu instid0(VALU_DEP_2) | instskip(NEXT) | instid1(VALU_DEP_2)
	v_and_b32_e32 v21, 16, v21
	v_and_b32_e32 v205, 0x1000, v205
	s_delay_alu instid0(VALU_DEP_1) | instskip(SKIP_1) | instid1(VALU_DEP_1)
	v_or3_b32 v21, v21, v16, v205
	v_dual_lshrrev_b32 v205, v202, v17 :: v_dual_lshrrev_b32 v17, v203, v17
	v_lshlrev_b32_e32 v17, 28, v17
	s_delay_alu instid0(VALU_DEP_2) | instskip(NEXT) | instid1(VALU_DEP_2)
	v_lshlrev_b32_e32 v205, 20, v205
	v_and_b32_e32 v17, 0x10000000, v17
	s_delay_alu instid0(VALU_DEP_2) | instskip(NEXT) | instid1(VALU_DEP_1)
	v_and_b32_e32 v205, 0x100000, v205
	v_or3_b32 v16, v16, v205, v17
	v_lshlrev_b16 v17, 8, v21
	s_wait_dscnt 0x0
	s_delay_alu instid0(VALU_DEP_2) | instskip(NEXT) | instid1(VALU_DEP_2)
	v_dual_lshrrev_b32 v205, 16, v11 :: v_dual_lshrrev_b32 v16, 16, v16
	v_add_nc_u16 v17, 0xf000, v17
	s_delay_alu instid0(VALU_DEP_1) | instskip(NEXT) | instid1(VALU_DEP_1)
	v_lshrrev_b16 v17, 8, v17
	v_bitop3_b16 v17, v21, v17, 0x1f00 bitop3:0xec
	s_delay_alu instid0(VALU_DEP_4) | instskip(SKIP_1) | instid1(VALU_DEP_3)
	v_lshlrev_b16 v21, 8, v16
	v_and_b32_e32 v16, 0x1f00, v16
	v_add_nc_u16 v17, 0xf000, v17
	s_delay_alu instid0(VALU_DEP_3) | instskip(NEXT) | instid1(VALU_DEP_3)
	v_add_nc_u16 v21, 0xf000, v21
	v_add_nc_u16 v16, 0xf000, v16
	s_delay_alu instid0(VALU_DEP_3) | instskip(SKIP_1) | instid1(VALU_DEP_3)
	v_lshrrev_b32_e32 v13, 8, v17
	v_bfe_i32 v17, v17, 0, 8
	v_lshrrev_b32_e32 v16, 8, v16
	s_delay_alu instid0(VALU_DEP_3) | instskip(NEXT) | instid1(VALU_DEP_3)
	v_bfe_i32 v13, v13, 0, 8
	v_cvt_f16_i16_e32 v17, v17
	s_delay_alu instid0(VALU_DEP_3) | instskip(NEXT) | instid1(VALU_DEP_3)
	v_bfe_i32 v16, v16, 0, 8
	v_cvt_f16_i16_e32 v13, v13
	s_delay_alu instid0(VALU_DEP_2) | instskip(NEXT) | instid1(VALU_DEP_2)
	v_cvt_f16_i16_e32 v16, v16
	v_pack_b32_f16 v13, v17, v13
	v_ashrrev_i16 v17, 8, v21
	s_delay_alu instid0(VALU_DEP_2) | instskip(NEXT) | instid1(VALU_DEP_2)
	v_pk_mul_f16 v13, v13, v12
	v_cvt_f16_i16_e32 v17, v17
	s_delay_alu instid0(VALU_DEP_1) | instskip(NEXT) | instid1(VALU_DEP_1)
	v_pack_b32_f16 v16, v17, v16
	v_pk_mul_f16 v12, v16, v12
	s_delay_alu instid0(VALU_DEP_4) | instskip(NEXT) | instid1(VALU_DEP_2)
	v_pk_fma_f16 v16, v13, v19, v18
	v_pk_fma_f16 v17, v12, v19, v14
	v_and_b32_e32 v12, 0xffff, v15
	v_add_nc_u64_e32 v[14:15], s[4:5], v[100:101]
	v_add_nc_u64_e32 v[100:101], s[22:23], v[100:101]
	s_delay_alu instid0(VALU_DEP_3)
	v_mul_u32_u24_e32 v18, 0x10001, v12
	v_add_nc_u64_e32 v[12:13], s[4:5], v[102:103]
	v_add_nc_u64_e32 v[102:103], s[22:23], v[102:103]
	global_load_b32 v14, v[14:15], off
	s_clause 0x1
	global_load_b32 v15, v[12:13], off offset:2
	global_load_u16 v12, v[12:13], off
	s_wait_loadcnt 0x2
	v_ashrrev_i32_e32 v14, v200, v14
	s_wait_loadcnt 0x1
	v_dual_lshrrev_b32 v19, v196, v15 :: v_dual_lshrrev_b32 v21, v201, v15
	s_delay_alu instid0(VALU_DEP_2) | instskip(SKIP_2) | instid1(VALU_DEP_3)
	v_and_b32_e32 v14, 0xf0f0f0f, v14
	s_wait_loadcnt 0x0
	v_mul_u32_u24_e32 v12, 0x10001, v12
	v_dual_lshlrev_b32 v19, 4, v19 :: v_dual_lshlrev_b32 v21, 12, v21
	s_delay_alu instid0(VALU_DEP_1) | instskip(NEXT) | instid1(VALU_DEP_2)
	v_and_b32_e32 v19, 16, v19
	v_and_b32_e32 v21, 0x1000, v21
	s_delay_alu instid0(VALU_DEP_1) | instskip(SKIP_1) | instid1(VALU_DEP_1)
	v_or3_b32 v19, v19, v14, v21
	v_dual_lshrrev_b32 v21, v202, v15 :: v_dual_lshrrev_b32 v15, v203, v15
	v_dual_lshlrev_b32 v21, 20, v21 :: v_dual_lshlrev_b32 v15, 28, v15
	s_delay_alu instid0(VALU_DEP_1) | instskip(NEXT) | instid1(VALU_DEP_2)
	v_and_b32_e32 v21, 0x100000, v21
	v_and_b32_e32 v15, 0x10000000, v15
	s_delay_alu instid0(VALU_DEP_1) | instskip(SKIP_1) | instid1(VALU_DEP_2)
	v_or3_b32 v14, v14, v21, v15
	v_lshlrev_b16 v15, 8, v19
	v_lshrrev_b32_e32 v14, 16, v14
	s_delay_alu instid0(VALU_DEP_2) | instskip(NEXT) | instid1(VALU_DEP_1)
	v_add_nc_u16 v15, 0xf000, v15
	v_lshrrev_b16 v15, 8, v15
	s_delay_alu instid0(VALU_DEP_1) | instskip(NEXT) | instid1(VALU_DEP_4)
	v_bitop3_b16 v15, v19, v15, 0x1f00 bitop3:0xec
	v_lshlrev_b16 v19, 8, v14
	v_and_b32_e32 v14, 0x1f00, v14
	s_delay_alu instid0(VALU_DEP_3) | instskip(NEXT) | instid1(VALU_DEP_3)
	v_add_nc_u16 v15, 0xf000, v15
	v_add_nc_u16 v19, 0xf000, v19
	s_delay_alu instid0(VALU_DEP_3) | instskip(NEXT) | instid1(VALU_DEP_3)
	v_add_nc_u16 v14, 0xf000, v14
	v_lshrrev_b32_e32 v13, 8, v15
	v_bfe_i32 v15, v15, 0, 8
	s_delay_alu instid0(VALU_DEP_3) | instskip(NEXT) | instid1(VALU_DEP_3)
	v_lshrrev_b32_e32 v14, 8, v14
	v_bfe_i32 v13, v13, 0, 8
	s_delay_alu instid0(VALU_DEP_3) | instskip(NEXT) | instid1(VALU_DEP_3)
	v_cvt_f16_i16_e32 v15, v15
	v_bfe_i32 v14, v14, 0, 8
	s_delay_alu instid0(VALU_DEP_3) | instskip(NEXT) | instid1(VALU_DEP_2)
	v_cvt_f16_i16_e32 v13, v13
	v_cvt_f16_i16_e32 v14, v14
	s_delay_alu instid0(VALU_DEP_2) | instskip(SKIP_1) | instid1(VALU_DEP_2)
	v_pack_b32_f16 v13, v15, v13
	v_ashrrev_i16 v15, 8, v19
	v_pk_mul_f16 v13, v13, v12
	s_delay_alu instid0(VALU_DEP_2) | instskip(NEXT) | instid1(VALU_DEP_2)
	v_cvt_f16_i16_e32 v15, v15
	v_pk_fma_f16 v16, v13, v18, v16
	s_delay_alu instid0(VALU_DEP_2) | instskip(NEXT) | instid1(VALU_DEP_1)
	v_pack_b32_f16 v14, v15, v14
	v_pk_mul_f16 v12, v14, v12
	v_add_nc_u64_e32 v[14:15], s[4:5], v[96:97]
	v_add_nc_u64_e32 v[96:97], s[22:23], v[96:97]
	s_delay_alu instid0(VALU_DEP_3)
	v_pk_fma_f16 v17, v12, v18, v17
	v_add_nc_u64_e32 v[12:13], s[4:5], v[98:99]
	v_mul_u32_u24_e32 v18, 0x10001, v209
	global_load_b32 v14, v[14:15], off
	v_add_nc_u64_e32 v[98:99], s[22:23], v[98:99]
	s_clause 0x1
	global_load_b32 v15, v[12:13], off offset:2
	global_load_u16 v12, v[12:13], off
	s_wait_loadcnt 0x1
	v_lshrrev_b32_e32 v19, v196, v15
	v_dual_ashrrev_i32 v14, v200, v14 :: v_dual_lshrrev_b32 v21, v201, v15
	s_wait_loadcnt 0x0
	v_mul_u32_u24_e32 v12, 0x10001, v12
	s_delay_alu instid0(VALU_DEP_3) | instskip(NEXT) | instid1(VALU_DEP_3)
	v_lshlrev_b32_e32 v19, 4, v19
	v_and_b32_e32 v14, 0xf0f0f0f, v14
	s_delay_alu instid0(VALU_DEP_2) | instskip(NEXT) | instid1(VALU_DEP_1)
	v_dual_lshlrev_b32 v21, 12, v21 :: v_dual_bitop2_b32 v19, 16, v19 bitop3:0x40
	v_and_b32_e32 v21, 0x1000, v21
	s_delay_alu instid0(VALU_DEP_1) | instskip(SKIP_1) | instid1(VALU_DEP_1)
	v_or3_b32 v19, v19, v14, v21
	v_dual_lshrrev_b32 v21, v202, v15 :: v_dual_lshrrev_b32 v15, v203, v15
	v_dual_lshlrev_b32 v15, 28, v15 :: v_dual_lshlrev_b32 v21, 20, v21
	s_delay_alu instid0(VALU_DEP_1) | instskip(NEXT) | instid1(VALU_DEP_2)
	v_and_b32_e32 v15, 0x10000000, v15
	v_and_b32_e32 v21, 0x100000, v21
	s_delay_alu instid0(VALU_DEP_1) | instskip(SKIP_2) | instid1(VALU_DEP_3)
	v_or3_b32 v14, v14, v21, v15
	v_lshlrev_b16 v15, 8, v19
	v_lshrrev_b32_e32 v21, 16, v10
	v_lshrrev_b32_e32 v14, 16, v14
	s_delay_alu instid0(VALU_DEP_3) | instskip(NEXT) | instid1(VALU_DEP_1)
	v_add_nc_u16 v15, 0xf000, v15
	v_lshrrev_b16 v15, 8, v15
	s_delay_alu instid0(VALU_DEP_1) | instskip(NEXT) | instid1(VALU_DEP_4)
	v_bitop3_b16 v15, v19, v15, 0x1f00 bitop3:0xec
	v_lshlrev_b16 v19, 8, v14
	v_and_b32_e32 v14, 0x1f00, v14
	s_delay_alu instid0(VALU_DEP_3) | instskip(NEXT) | instid1(VALU_DEP_3)
	v_add_nc_u16 v15, 0xf000, v15
	v_add_nc_u16 v19, 0xf000, v19
	s_delay_alu instid0(VALU_DEP_3) | instskip(NEXT) | instid1(VALU_DEP_3)
	v_add_nc_u16 v14, 0xf000, v14
	v_lshrrev_b32_e32 v13, 8, v15
	v_bfe_i32 v15, v15, 0, 8
	s_delay_alu instid0(VALU_DEP_3) | instskip(NEXT) | instid1(VALU_DEP_3)
	v_lshrrev_b32_e32 v14, 8, v14
	v_bfe_i32 v13, v13, 0, 8
	s_delay_alu instid0(VALU_DEP_3) | instskip(NEXT) | instid1(VALU_DEP_3)
	v_cvt_f16_i16_e32 v15, v15
	v_bfe_i32 v14, v14, 0, 8
	s_delay_alu instid0(VALU_DEP_3) | instskip(NEXT) | instid1(VALU_DEP_2)
	v_cvt_f16_i16_e32 v13, v13
	v_cvt_f16_i16_e32 v14, v14
	s_delay_alu instid0(VALU_DEP_2) | instskip(SKIP_2) | instid1(VALU_DEP_3)
	v_pack_b32_f16 v13, v15, v13
	v_ashrrev_i16 v15, 8, v19
	v_lshrrev_b32_e32 v19, 16, v9
	v_pk_mul_f16 v13, v13, v12
	s_delay_alu instid0(VALU_DEP_3) | instskip(NEXT) | instid1(VALU_DEP_2)
	v_cvt_f16_i16_e32 v15, v15
	v_pk_fma_f16 v16, v13, v18, v16
	s_delay_alu instid0(VALU_DEP_2) | instskip(NEXT) | instid1(VALU_DEP_1)
	v_pack_b32_f16 v14, v15, v14
	v_pk_mul_f16 v12, v14, v12
	v_add_nc_u64_e32 v[14:15], s[4:5], v[92:93]
	v_add_nc_u64_e32 v[92:93], s[22:23], v[92:93]
	s_delay_alu instid0(VALU_DEP_3)
	v_pk_fma_f16 v17, v12, v18, v17
	v_add_nc_u64_e32 v[12:13], s[4:5], v[94:95]
	v_lshrrev_b32_e32 v18, 16, v8
	global_load_b32 v14, v[14:15], off
	v_and_b32_e32 v8, 0xffff, v8
	v_add_nc_u64_e32 v[94:95], s[22:23], v[94:95]
	s_clause 0x1
	global_load_b32 v15, v[12:13], off offset:2
	global_load_u16 v12, v[12:13], off
	v_mul_u32_u24_e32 v8, 0x10001, v8
	s_wait_loadcnt 0x1
	v_dual_ashrrev_i32 v14, v200, v14 :: v_dual_lshrrev_b32 v207, v201, v15
	v_lshrrev_b32_e32 v206, v196, v15
	s_delay_alu instid0(VALU_DEP_2) | instskip(SKIP_2) | instid1(VALU_DEP_3)
	v_and_b32_e32 v14, 0xf0f0f0f, v14
	s_wait_loadcnt 0x0
	v_mul_u32_u24_e32 v12, 0x10001, v12
	v_dual_lshlrev_b32 v207, 12, v207 :: v_dual_lshlrev_b32 v206, 4, v206
	s_delay_alu instid0(VALU_DEP_1) | instskip(NEXT) | instid1(VALU_DEP_2)
	v_and_b32_e32 v207, 0x1000, v207
	v_and_b32_e32 v206, 16, v206
	s_delay_alu instid0(VALU_DEP_1) | instskip(SKIP_1) | instid1(VALU_DEP_1)
	v_or3_b32 v206, v206, v14, v207
	v_dual_lshrrev_b32 v207, v202, v15 :: v_dual_lshrrev_b32 v15, v203, v15
	v_lshlrev_b32_e32 v207, 20, v207
	s_delay_alu instid0(VALU_DEP_2) | instskip(NEXT) | instid1(VALU_DEP_2)
	v_lshlrev_b32_e32 v15, 28, v15
	v_and_b32_e32 v207, 0x100000, v207
	s_delay_alu instid0(VALU_DEP_2) | instskip(NEXT) | instid1(VALU_DEP_1)
	v_and_b32_e32 v15, 0x10000000, v15
	v_or3_b32 v14, v14, v207, v15
	v_lshlrev_b16 v15, 8, v206
	s_delay_alu instid0(VALU_DEP_2) | instskip(NEXT) | instid1(VALU_DEP_2)
	v_lshrrev_b32_e32 v14, 16, v14
	v_add_nc_u16 v15, 0xf000, v15
	s_delay_alu instid0(VALU_DEP_1) | instskip(NEXT) | instid1(VALU_DEP_1)
	v_lshrrev_b16 v15, 8, v15
	v_bitop3_b16 v15, v206, v15, 0x1f00 bitop3:0xec
	s_delay_alu instid0(VALU_DEP_4) | instskip(SKIP_1) | instid1(VALU_DEP_3)
	v_lshlrev_b16 v206, 8, v14
	v_and_b32_e32 v14, 0x1f00, v14
	v_add_nc_u16 v15, 0xf000, v15
	s_delay_alu instid0(VALU_DEP_3) | instskip(NEXT) | instid1(VALU_DEP_3)
	v_add_nc_u16 v206, 0xf000, v206
	v_add_nc_u16 v14, 0xf000, v14
	s_delay_alu instid0(VALU_DEP_3) | instskip(SKIP_1) | instid1(VALU_DEP_3)
	v_lshrrev_b32_e32 v13, 8, v15
	v_bfe_i32 v15, v15, 0, 8
	v_lshrrev_b32_e32 v14, 8, v14
	s_delay_alu instid0(VALU_DEP_3) | instskip(NEXT) | instid1(VALU_DEP_3)
	v_bfe_i32 v13, v13, 0, 8
	v_cvt_f16_i16_e32 v15, v15
	s_delay_alu instid0(VALU_DEP_3) | instskip(NEXT) | instid1(VALU_DEP_3)
	v_bfe_i32 v14, v14, 0, 8
	v_cvt_f16_i16_e32 v13, v13
	s_delay_alu instid0(VALU_DEP_2) | instskip(NEXT) | instid1(VALU_DEP_2)
	v_cvt_f16_i16_e32 v14, v14
	v_pack_b32_f16 v13, v15, v13
	v_ashrrev_i16 v15, 8, v206
	s_delay_alu instid0(VALU_DEP_2) | instskip(NEXT) | instid1(VALU_DEP_2)
	v_pk_mul_f16 v13, v13, v12
	v_cvt_f16_i16_e32 v15, v15
	s_delay_alu instid0(VALU_DEP_2) | instskip(NEXT) | instid1(VALU_DEP_2)
	v_pk_fma_f16 v16, v13, v8, v16
	v_pack_b32_f16 v14, v15, v14
	s_delay_alu instid0(VALU_DEP_1) | instskip(SKIP_2) | instid1(VALU_DEP_3)
	v_pk_mul_f16 v12, v14, v12
	v_add_nc_u64_e32 v[14:15], s[4:5], v[88:89]
	v_add_nc_u64_e32 v[88:89], s[22:23], v[88:89]
	v_pk_fma_f16 v8, v12, v8, v17
	v_add_nc_u64_e32 v[12:13], s[4:5], v[90:91]
	v_mul_u32_u24_e32 v17, 0x10001, v18
	global_load_b32 v14, v[14:15], off
	v_add_nc_u64_e32 v[90:91], s[22:23], v[90:91]
	s_clause 0x1
	global_load_b32 v15, v[12:13], off offset:2
	global_load_u16 v12, v[12:13], off
	s_wait_loadcnt 0x2
	v_ashrrev_i32_e32 v14, v200, v14
	s_wait_loadcnt 0x1
	v_dual_lshrrev_b32 v18, v196, v15 :: v_dual_lshrrev_b32 v206, v201, v15
	s_delay_alu instid0(VALU_DEP_2) | instskip(SKIP_2) | instid1(VALU_DEP_3)
	v_and_b32_e32 v14, 0xf0f0f0f, v14
	s_wait_loadcnt 0x0
	v_mul_u32_u24_e32 v12, 0x10001, v12
	v_lshlrev_b32_e32 v18, 4, v18
	v_lshlrev_b32_e32 v206, 12, v206
	s_delay_alu instid0(VALU_DEP_2) | instskip(NEXT) | instid1(VALU_DEP_2)
	v_and_b32_e32 v18, 16, v18
	v_and_b32_e32 v206, 0x1000, v206
	s_delay_alu instid0(VALU_DEP_1) | instskip(SKIP_1) | instid1(VALU_DEP_1)
	v_or3_b32 v18, v18, v14, v206
	v_dual_lshrrev_b32 v206, v202, v15 :: v_dual_lshrrev_b32 v15, v203, v15
	v_dual_lshlrev_b32 v206, 20, v206 :: v_dual_lshlrev_b32 v15, 28, v15
	s_delay_alu instid0(VALU_DEP_1) | instskip(NEXT) | instid1(VALU_DEP_2)
	v_and_b32_e32 v206, 0x100000, v206
	v_and_b32_e32 v15, 0x10000000, v15
	s_delay_alu instid0(VALU_DEP_1) | instskip(SKIP_1) | instid1(VALU_DEP_2)
	v_or3_b32 v14, v14, v206, v15
	v_lshlrev_b16 v15, 8, v18
	v_lshrrev_b32_e32 v14, 16, v14
	s_delay_alu instid0(VALU_DEP_2) | instskip(NEXT) | instid1(VALU_DEP_1)
	v_add_nc_u16 v15, 0xf000, v15
	v_lshrrev_b16 v15, 8, v15
	s_delay_alu instid0(VALU_DEP_1) | instskip(NEXT) | instid1(VALU_DEP_4)
	v_bitop3_b16 v15, v18, v15, 0x1f00 bitop3:0xec
	v_lshlrev_b16 v18, 8, v14
	v_and_b32_e32 v14, 0x1f00, v14
	s_delay_alu instid0(VALU_DEP_3) | instskip(NEXT) | instid1(VALU_DEP_3)
	v_add_nc_u16 v15, 0xf000, v15
	v_add_nc_u16 v18, 0xf000, v18
	s_delay_alu instid0(VALU_DEP_3) | instskip(NEXT) | instid1(VALU_DEP_3)
	v_add_nc_u16 v14, 0xf000, v14
	v_lshrrev_b32_e32 v13, 8, v15
	v_bfe_i32 v15, v15, 0, 8
	s_delay_alu instid0(VALU_DEP_3) | instskip(NEXT) | instid1(VALU_DEP_3)
	v_lshrrev_b32_e32 v14, 8, v14
	v_bfe_i32 v13, v13, 0, 8
	s_delay_alu instid0(VALU_DEP_3) | instskip(NEXT) | instid1(VALU_DEP_3)
	v_cvt_f16_i16_e32 v15, v15
	v_bfe_i32 v14, v14, 0, 8
	s_delay_alu instid0(VALU_DEP_3) | instskip(NEXT) | instid1(VALU_DEP_2)
	v_cvt_f16_i16_e32 v13, v13
	v_cvt_f16_i16_e32 v14, v14
	s_delay_alu instid0(VALU_DEP_2) | instskip(SKIP_1) | instid1(VALU_DEP_2)
	v_pack_b32_f16 v13, v15, v13
	v_ashrrev_i16 v15, 8, v18
	v_pk_mul_f16 v13, v13, v12
	s_delay_alu instid0(VALU_DEP_2) | instskip(NEXT) | instid1(VALU_DEP_1)
	v_cvt_f16_i16_e32 v15, v15
	v_pack_b32_f16 v14, v15, v14
	s_delay_alu instid0(VALU_DEP_1) | instskip(NEXT) | instid1(VALU_DEP_4)
	v_pk_mul_f16 v12, v14, v12
	v_pk_fma_f16 v14, v13, v17, v16
	s_delay_alu instid0(VALU_DEP_2) | instskip(SKIP_3) | instid1(VALU_DEP_3)
	v_pk_fma_f16 v15, v12, v17, v8
	v_and_b32_e32 v8, 0xffff, v9
	v_add_nc_u64_e32 v[12:13], s[4:5], v[84:85]
	v_add_nc_u64_e32 v[84:85], s[22:23], v[84:85]
	v_mul_u32_u24_e32 v16, 0x10001, v8
	v_add_nc_u64_e32 v[8:9], s[4:5], v[86:87]
	v_add_nc_u64_e32 v[86:87], s[22:23], v[86:87]
	global_load_b32 v12, v[12:13], off
	s_clause 0x1
	global_load_b32 v13, v[8:9], off offset:2
	global_load_u16 v8, v[8:9], off
	s_wait_loadcnt 0x2
	v_ashrrev_i32_e32 v12, v200, v12
	s_wait_loadcnt 0x1
	v_dual_lshrrev_b32 v17, v196, v13 :: v_dual_lshrrev_b32 v18, v201, v13
	s_delay_alu instid0(VALU_DEP_2) | instskip(SKIP_2) | instid1(VALU_DEP_3)
	v_and_b32_e32 v12, 0xf0f0f0f, v12
	s_wait_loadcnt 0x0
	v_mul_u32_u24_e32 v8, 0x10001, v8
	v_dual_lshlrev_b32 v17, 4, v17 :: v_dual_lshlrev_b32 v18, 12, v18
	s_delay_alu instid0(VALU_DEP_1) | instskip(NEXT) | instid1(VALU_DEP_2)
	v_and_b32_e32 v17, 16, v17
	v_and_b32_e32 v18, 0x1000, v18
	s_delay_alu instid0(VALU_DEP_1) | instskip(SKIP_1) | instid1(VALU_DEP_1)
	v_or3_b32 v17, v17, v12, v18
	v_dual_lshrrev_b32 v18, v202, v13 :: v_dual_lshrrev_b32 v13, v203, v13
	v_dual_lshlrev_b32 v13, 28, v13 :: v_dual_lshlrev_b32 v18, 20, v18
	s_delay_alu instid0(VALU_DEP_1) | instskip(NEXT) | instid1(VALU_DEP_2)
	v_and_b32_e32 v13, 0x10000000, v13
	v_and_b32_e32 v18, 0x100000, v18
	s_delay_alu instid0(VALU_DEP_1) | instskip(SKIP_1) | instid1(VALU_DEP_1)
	v_or3_b32 v12, v12, v18, v13
	v_lshlrev_b16 v13, 8, v17
	v_add_nc_u16 v13, 0xf000, v13
	s_delay_alu instid0(VALU_DEP_1) | instskip(NEXT) | instid1(VALU_DEP_1)
	v_lshrrev_b16 v13, 8, v13
	v_bitop3_b16 v13, v17, v13, 0x1f00 bitop3:0xec
	s_delay_alu instid0(VALU_DEP_1) | instskip(NEXT) | instid1(VALU_DEP_1)
	v_add_nc_u16 v13, 0xf000, v13
	v_dual_lshrrev_b32 v12, 16, v12 :: v_dual_lshrrev_b32 v9, 8, v13
	s_delay_alu instid0(VALU_DEP_1) | instskip(SKIP_2) | instid1(VALU_DEP_4)
	v_lshlrev_b16 v17, 8, v12
	v_and_b32_e32 v12, 0x1f00, v12
	v_bfe_i32 v13, v13, 0, 8
	v_bfe_i32 v9, v9, 0, 8
	s_delay_alu instid0(VALU_DEP_4) | instskip(NEXT) | instid1(VALU_DEP_4)
	v_add_nc_u16 v17, 0xf000, v17
	v_add_nc_u16 v12, 0xf000, v12
	s_delay_alu instid0(VALU_DEP_4) | instskip(NEXT) | instid1(VALU_DEP_4)
	v_cvt_f16_i16_e32 v13, v13
	v_cvt_f16_i16_e32 v9, v9
	s_delay_alu instid0(VALU_DEP_3) | instskip(NEXT) | instid1(VALU_DEP_2)
	v_lshrrev_b32_e32 v12, 8, v12
	v_pack_b32_f16 v9, v13, v9
	v_ashrrev_i16 v13, 8, v17
	s_delay_alu instid0(VALU_DEP_3) | instskip(NEXT) | instid1(VALU_DEP_3)
	v_bfe_i32 v12, v12, 0, 8
	v_pk_mul_f16 v9, v9, v8
	s_delay_alu instid0(VALU_DEP_3) | instskip(NEXT) | instid1(VALU_DEP_3)
	v_cvt_f16_i16_e32 v13, v13
	v_cvt_f16_i16_e32 v12, v12
	s_delay_alu instid0(VALU_DEP_3) | instskip(NEXT) | instid1(VALU_DEP_2)
	v_pk_fma_f16 v14, v9, v16, v14
	v_pack_b32_f16 v12, v13, v12
	s_delay_alu instid0(VALU_DEP_1) | instskip(SKIP_2) | instid1(VALU_DEP_3)
	v_pk_mul_f16 v8, v12, v8
	v_add_nc_u64_e32 v[12:13], s[4:5], v[80:81]
	v_add_nc_u64_e32 v[80:81], s[22:23], v[80:81]
	v_pk_fma_f16 v15, v8, v16, v15
	v_add_nc_u64_e32 v[8:9], s[4:5], v[82:83]
	v_mul_u32_u24_e32 v16, 0x10001, v19
	global_load_b32 v12, v[12:13], off
	v_add_nc_u64_e32 v[82:83], s[22:23], v[82:83]
	s_clause 0x1
	global_load_b32 v13, v[8:9], off offset:2
	global_load_u16 v8, v[8:9], off
	s_wait_loadcnt 0x1
	v_lshrrev_b32_e32 v17, v196, v13
	v_dual_ashrrev_i32 v12, v200, v12 :: v_dual_lshrrev_b32 v18, v201, v13
	s_wait_loadcnt 0x0
	v_mul_u32_u24_e32 v8, 0x10001, v8
	s_delay_alu instid0(VALU_DEP_3) | instskip(NEXT) | instid1(VALU_DEP_3)
	v_lshlrev_b32_e32 v17, 4, v17
	v_and_b32_e32 v12, 0xf0f0f0f, v12
	s_delay_alu instid0(VALU_DEP_2) | instskip(NEXT) | instid1(VALU_DEP_1)
	v_dual_lshlrev_b32 v18, 12, v18 :: v_dual_bitop2_b32 v17, 16, v17 bitop3:0x40
	v_and_b32_e32 v18, 0x1000, v18
	s_delay_alu instid0(VALU_DEP_1) | instskip(SKIP_1) | instid1(VALU_DEP_1)
	v_or3_b32 v17, v17, v12, v18
	v_dual_lshrrev_b32 v18, v202, v13 :: v_dual_lshrrev_b32 v13, v203, v13
	v_dual_lshlrev_b32 v13, 28, v13 :: v_dual_lshlrev_b32 v18, 20, v18
	s_delay_alu instid0(VALU_DEP_1) | instskip(NEXT) | instid1(VALU_DEP_2)
	v_and_b32_e32 v13, 0x10000000, v13
	v_and_b32_e32 v18, 0x100000, v18
	s_delay_alu instid0(VALU_DEP_1) | instskip(SKIP_1) | instid1(VALU_DEP_2)
	v_or3_b32 v12, v12, v18, v13
	v_lshlrev_b16 v13, 8, v17
	v_lshrrev_b32_e32 v12, 16, v12
	s_delay_alu instid0(VALU_DEP_2) | instskip(NEXT) | instid1(VALU_DEP_1)
	v_add_nc_u16 v13, 0xf000, v13
	v_lshrrev_b16 v13, 8, v13
	s_delay_alu instid0(VALU_DEP_1) | instskip(NEXT) | instid1(VALU_DEP_4)
	v_bitop3_b16 v13, v17, v13, 0x1f00 bitop3:0xec
	v_lshlrev_b16 v17, 8, v12
	v_and_b32_e32 v12, 0x1f00, v12
	s_delay_alu instid0(VALU_DEP_3) | instskip(NEXT) | instid1(VALU_DEP_3)
	v_add_nc_u16 v13, 0xf000, v13
	v_add_nc_u16 v17, 0xf000, v17
	s_delay_alu instid0(VALU_DEP_3) | instskip(NEXT) | instid1(VALU_DEP_3)
	v_add_nc_u16 v12, 0xf000, v12
	v_lshrrev_b32_e32 v9, 8, v13
	v_bfe_i32 v13, v13, 0, 8
	s_delay_alu instid0(VALU_DEP_3) | instskip(NEXT) | instid1(VALU_DEP_3)
	v_lshrrev_b32_e32 v12, 8, v12
	v_bfe_i32 v9, v9, 0, 8
	s_delay_alu instid0(VALU_DEP_3) | instskip(NEXT) | instid1(VALU_DEP_3)
	v_cvt_f16_i16_e32 v13, v13
	v_bfe_i32 v12, v12, 0, 8
	s_delay_alu instid0(VALU_DEP_3) | instskip(NEXT) | instid1(VALU_DEP_2)
	v_cvt_f16_i16_e32 v9, v9
	v_cvt_f16_i16_e32 v12, v12
	s_delay_alu instid0(VALU_DEP_2) | instskip(SKIP_1) | instid1(VALU_DEP_2)
	v_pack_b32_f16 v9, v13, v9
	v_ashrrev_i16 v13, 8, v17
	v_pk_mul_f16 v9, v9, v8
	s_delay_alu instid0(VALU_DEP_2) | instskip(NEXT) | instid1(VALU_DEP_2)
	v_cvt_f16_i16_e32 v13, v13
	v_pk_fma_f16 v14, v9, v16, v14
	s_delay_alu instid0(VALU_DEP_2) | instskip(NEXT) | instid1(VALU_DEP_1)
	v_pack_b32_f16 v12, v13, v12
	v_pk_mul_f16 v8, v12, v8
	v_add_nc_u64_e32 v[12:13], s[4:5], v[76:77]
	v_add_nc_u64_e32 v[76:77], s[22:23], v[76:77]
	s_delay_alu instid0(VALU_DEP_3)
	v_pk_fma_f16 v15, v8, v16, v15
	v_and_b32_e32 v8, 0xffff, v10
	global_load_b32 v12, v[12:13], off
	v_mul_u32_u24_e32 v10, 0x10001, v8
	v_add_nc_u64_e32 v[8:9], s[4:5], v[78:79]
	v_add_nc_u64_e32 v[78:79], s[22:23], v[78:79]
	s_clause 0x1
	global_load_b32 v13, v[8:9], off offset:2
	global_load_u16 v8, v[8:9], off
	s_wait_loadcnt 0x1
	v_dual_ashrrev_i32 v12, v200, v12 :: v_dual_lshrrev_b32 v17, v201, v13
	v_lshrrev_b32_e32 v16, v196, v13
	s_delay_alu instid0(VALU_DEP_2) | instskip(SKIP_2) | instid1(VALU_DEP_3)
	v_and_b32_e32 v12, 0xf0f0f0f, v12
	s_wait_loadcnt 0x0
	v_mul_u32_u24_e32 v8, 0x10001, v8
	v_dual_lshlrev_b32 v17, 12, v17 :: v_dual_lshlrev_b32 v16, 4, v16
	s_delay_alu instid0(VALU_DEP_1) | instskip(NEXT) | instid1(VALU_DEP_2)
	v_and_b32_e32 v17, 0x1000, v17
	v_and_b32_e32 v16, 16, v16
	s_delay_alu instid0(VALU_DEP_1) | instskip(SKIP_1) | instid1(VALU_DEP_1)
	v_or3_b32 v16, v16, v12, v17
	v_dual_lshrrev_b32 v17, v202, v13 :: v_dual_lshrrev_b32 v13, v203, v13
	v_lshlrev_b32_e32 v17, 20, v17
	s_delay_alu instid0(VALU_DEP_2) | instskip(NEXT) | instid1(VALU_DEP_2)
	v_lshlrev_b32_e32 v13, 28, v13
	v_and_b32_e32 v17, 0x100000, v17
	s_delay_alu instid0(VALU_DEP_2) | instskip(NEXT) | instid1(VALU_DEP_1)
	v_and_b32_e32 v13, 0x10000000, v13
	v_or3_b32 v12, v12, v17, v13
	v_lshlrev_b16 v13, 8, v16
	s_delay_alu instid0(VALU_DEP_2) | instskip(NEXT) | instid1(VALU_DEP_2)
	v_lshrrev_b32_e32 v12, 16, v12
	v_add_nc_u16 v13, 0xf000, v13
	s_delay_alu instid0(VALU_DEP_1) | instskip(NEXT) | instid1(VALU_DEP_1)
	v_lshrrev_b16 v13, 8, v13
	v_bitop3_b16 v13, v16, v13, 0x1f00 bitop3:0xec
	s_delay_alu instid0(VALU_DEP_4) | instskip(SKIP_1) | instid1(VALU_DEP_3)
	v_lshlrev_b16 v16, 8, v12
	v_and_b32_e32 v12, 0x1f00, v12
	v_add_nc_u16 v13, 0xf000, v13
	s_delay_alu instid0(VALU_DEP_3) | instskip(NEXT) | instid1(VALU_DEP_3)
	v_add_nc_u16 v16, 0xf000, v16
	v_add_nc_u16 v12, 0xf000, v12
	s_delay_alu instid0(VALU_DEP_3) | instskip(SKIP_1) | instid1(VALU_DEP_3)
	v_lshrrev_b32_e32 v9, 8, v13
	v_bfe_i32 v13, v13, 0, 8
	v_lshrrev_b32_e32 v12, 8, v12
	s_delay_alu instid0(VALU_DEP_3) | instskip(NEXT) | instid1(VALU_DEP_3)
	v_bfe_i32 v9, v9, 0, 8
	v_cvt_f16_i16_e32 v13, v13
	s_delay_alu instid0(VALU_DEP_3) | instskip(NEXT) | instid1(VALU_DEP_3)
	v_bfe_i32 v12, v12, 0, 8
	v_cvt_f16_i16_e32 v9, v9
	s_delay_alu instid0(VALU_DEP_2) | instskip(NEXT) | instid1(VALU_DEP_2)
	v_cvt_f16_i16_e32 v12, v12
	v_pack_b32_f16 v9, v13, v9
	v_ashrrev_i16 v13, 8, v16
	s_delay_alu instid0(VALU_DEP_2) | instskip(NEXT) | instid1(VALU_DEP_2)
	v_pk_mul_f16 v9, v9, v8
	v_cvt_f16_i16_e32 v13, v13
	s_delay_alu instid0(VALU_DEP_2) | instskip(NEXT) | instid1(VALU_DEP_2)
	v_pk_fma_f16 v14, v9, v10, v14
	v_pack_b32_f16 v12, v13, v12
	s_delay_alu instid0(VALU_DEP_1) | instskip(SKIP_2) | instid1(VALU_DEP_3)
	v_pk_mul_f16 v8, v12, v8
	v_add_nc_u64_e32 v[12:13], s[4:5], v[72:73]
	v_add_nc_u64_e32 v[72:73], s[22:23], v[72:73]
	v_pk_fma_f16 v10, v8, v10, v15
	v_add_nc_u64_e32 v[8:9], s[4:5], v[74:75]
	v_mul_u32_u24_e32 v15, 0x10001, v21
	global_load_b32 v12, v[12:13], off
	v_add_nc_u64_e32 v[74:75], s[22:23], v[74:75]
	s_clause 0x1
	global_load_b32 v13, v[8:9], off offset:2
	global_load_u16 v8, v[8:9], off
	s_wait_loadcnt 0x2
	v_ashrrev_i32_e32 v12, v200, v12
	s_wait_loadcnt 0x1
	v_dual_lshrrev_b32 v16, v196, v13 :: v_dual_lshrrev_b32 v17, v201, v13
	s_delay_alu instid0(VALU_DEP_2) | instskip(SKIP_2) | instid1(VALU_DEP_3)
	v_and_b32_e32 v12, 0xf0f0f0f, v12
	s_wait_loadcnt 0x0
	v_mul_u32_u24_e32 v8, 0x10001, v8
	v_dual_lshlrev_b32 v16, 4, v16 :: v_dual_lshlrev_b32 v17, 12, v17
	s_delay_alu instid0(VALU_DEP_1) | instskip(NEXT) | instid1(VALU_DEP_2)
	v_and_b32_e32 v16, 16, v16
	v_and_b32_e32 v17, 0x1000, v17
	s_delay_alu instid0(VALU_DEP_1) | instskip(SKIP_1) | instid1(VALU_DEP_1)
	v_or3_b32 v16, v16, v12, v17
	v_dual_lshrrev_b32 v17, v202, v13 :: v_dual_lshrrev_b32 v13, v203, v13
	v_lshlrev_b32_e32 v17, 20, v17
	s_delay_alu instid0(VALU_DEP_2) | instskip(NEXT) | instid1(VALU_DEP_2)
	v_lshlrev_b32_e32 v13, 28, v13
	v_and_b32_e32 v17, 0x100000, v17
	s_delay_alu instid0(VALU_DEP_2) | instskip(NEXT) | instid1(VALU_DEP_1)
	v_and_b32_e32 v13, 0x10000000, v13
	v_or3_b32 v12, v12, v17, v13
	v_lshlrev_b16 v13, 8, v16
	s_delay_alu instid0(VALU_DEP_2) | instskip(NEXT) | instid1(VALU_DEP_2)
	v_lshrrev_b32_e32 v12, 16, v12
	v_add_nc_u16 v13, 0xf000, v13
	s_delay_alu instid0(VALU_DEP_1) | instskip(NEXT) | instid1(VALU_DEP_1)
	v_lshrrev_b16 v13, 8, v13
	v_bitop3_b16 v13, v16, v13, 0x1f00 bitop3:0xec
	s_delay_alu instid0(VALU_DEP_4) | instskip(SKIP_1) | instid1(VALU_DEP_3)
	v_lshlrev_b16 v16, 8, v12
	v_and_b32_e32 v12, 0x1f00, v12
	v_add_nc_u16 v13, 0xf000, v13
	s_delay_alu instid0(VALU_DEP_3) | instskip(NEXT) | instid1(VALU_DEP_3)
	v_add_nc_u16 v16, 0xf000, v16
	v_add_nc_u16 v12, 0xf000, v12
	s_delay_alu instid0(VALU_DEP_3) | instskip(SKIP_1) | instid1(VALU_DEP_3)
	v_lshrrev_b32_e32 v9, 8, v13
	v_bfe_i32 v13, v13, 0, 8
	v_lshrrev_b32_e32 v12, 8, v12
	s_delay_alu instid0(VALU_DEP_3) | instskip(NEXT) | instid1(VALU_DEP_3)
	v_bfe_i32 v9, v9, 0, 8
	v_cvt_f16_i16_e32 v13, v13
	s_delay_alu instid0(VALU_DEP_3) | instskip(NEXT) | instid1(VALU_DEP_3)
	v_bfe_i32 v12, v12, 0, 8
	v_cvt_f16_i16_e32 v9, v9
	s_delay_alu instid0(VALU_DEP_2) | instskip(NEXT) | instid1(VALU_DEP_2)
	v_cvt_f16_i16_e32 v12, v12
	v_pack_b32_f16 v9, v13, v9
	v_ashrrev_i16 v13, 8, v16
	s_delay_alu instid0(VALU_DEP_2) | instskip(NEXT) | instid1(VALU_DEP_2)
	v_pk_mul_f16 v9, v9, v8
	v_cvt_f16_i16_e32 v13, v13
	s_delay_alu instid0(VALU_DEP_1) | instskip(NEXT) | instid1(VALU_DEP_1)
	v_pack_b32_f16 v12, v13, v12
	v_pk_mul_f16 v8, v12, v8
	s_delay_alu instid0(VALU_DEP_4) | instskip(NEXT) | instid1(VALU_DEP_2)
	v_pk_fma_f16 v12, v9, v15, v14
	v_pk_fma_f16 v13, v8, v15, v10
	v_and_b32_e32 v8, 0xffff, v11
	v_add_nc_u64_e32 v[10:11], s[4:5], v[68:69]
	v_add_nc_u64_e32 v[68:69], s[22:23], v[68:69]
	s_delay_alu instid0(VALU_DEP_3)
	v_mul_u32_u24_e32 v14, 0x10001, v8
	v_add_nc_u64_e32 v[8:9], s[4:5], v[70:71]
	v_add_nc_u64_e32 v[70:71], s[22:23], v[70:71]
	global_load_b32 v10, v[10:11], off
	s_clause 0x1
	global_load_b32 v11, v[8:9], off offset:2
	global_load_u16 v8, v[8:9], off
	s_wait_loadcnt 0x2
	v_ashrrev_i32_e32 v10, v200, v10
	s_wait_loadcnt 0x1
	v_dual_lshrrev_b32 v15, v196, v11 :: v_dual_lshrrev_b32 v16, v201, v11
	s_delay_alu instid0(VALU_DEP_2) | instskip(SKIP_2) | instid1(VALU_DEP_3)
	v_and_b32_e32 v10, 0xf0f0f0f, v10
	s_wait_loadcnt 0x0
	v_mul_u32_u24_e32 v8, 0x10001, v8
	v_dual_lshlrev_b32 v15, 4, v15 :: v_dual_lshlrev_b32 v16, 12, v16
	s_delay_alu instid0(VALU_DEP_1) | instskip(NEXT) | instid1(VALU_DEP_2)
	v_and_b32_e32 v15, 16, v15
	v_and_b32_e32 v16, 0x1000, v16
	s_delay_alu instid0(VALU_DEP_1) | instskip(SKIP_1) | instid1(VALU_DEP_1)
	v_or3_b32 v15, v15, v10, v16
	v_dual_lshrrev_b32 v16, v202, v11 :: v_dual_lshrrev_b32 v11, v203, v11
	v_dual_lshlrev_b32 v11, 28, v11 :: v_dual_lshlrev_b32 v16, 20, v16
	s_delay_alu instid0(VALU_DEP_1) | instskip(NEXT) | instid1(VALU_DEP_2)
	v_and_b32_e32 v11, 0x10000000, v11
	v_and_b32_e32 v16, 0x100000, v16
	s_delay_alu instid0(VALU_DEP_1) | instskip(SKIP_1) | instid1(VALU_DEP_1)
	v_or3_b32 v10, v10, v16, v11
	v_lshlrev_b16 v11, 8, v15
	v_add_nc_u16 v11, 0xf000, v11
	s_delay_alu instid0(VALU_DEP_1) | instskip(NEXT) | instid1(VALU_DEP_1)
	v_lshrrev_b16 v11, 8, v11
	v_bitop3_b16 v11, v15, v11, 0x1f00 bitop3:0xec
	s_delay_alu instid0(VALU_DEP_1) | instskip(NEXT) | instid1(VALU_DEP_1)
	v_add_nc_u16 v11, 0xf000, v11
	v_dual_lshrrev_b32 v10, 16, v10 :: v_dual_lshrrev_b32 v9, 8, v11
	s_delay_alu instid0(VALU_DEP_1) | instskip(SKIP_2) | instid1(VALU_DEP_4)
	v_lshlrev_b16 v15, 8, v10
	v_and_b32_e32 v10, 0x1f00, v10
	v_bfe_i32 v11, v11, 0, 8
	v_bfe_i32 v9, v9, 0, 8
	s_delay_alu instid0(VALU_DEP_4) | instskip(NEXT) | instid1(VALU_DEP_4)
	v_add_nc_u16 v15, 0xf000, v15
	v_add_nc_u16 v10, 0xf000, v10
	s_delay_alu instid0(VALU_DEP_4) | instskip(NEXT) | instid1(VALU_DEP_4)
	v_cvt_f16_i16_e32 v11, v11
	v_cvt_f16_i16_e32 v9, v9
	s_delay_alu instid0(VALU_DEP_3) | instskip(NEXT) | instid1(VALU_DEP_2)
	v_lshrrev_b32_e32 v10, 8, v10
	v_pack_b32_f16 v9, v11, v9
	v_ashrrev_i16 v11, 8, v15
	s_delay_alu instid0(VALU_DEP_3) | instskip(NEXT) | instid1(VALU_DEP_3)
	v_bfe_i32 v10, v10, 0, 8
	v_pk_mul_f16 v9, v9, v8
	s_delay_alu instid0(VALU_DEP_3) | instskip(NEXT) | instid1(VALU_DEP_3)
	v_cvt_f16_i16_e32 v11, v11
	v_cvt_f16_i16_e32 v10, v10
	s_delay_alu instid0(VALU_DEP_3) | instskip(NEXT) | instid1(VALU_DEP_2)
	v_pk_fma_f16 v12, v9, v14, v12
	v_pack_b32_f16 v10, v11, v10
	s_delay_alu instid0(VALU_DEP_1) | instskip(SKIP_2) | instid1(VALU_DEP_3)
	v_pk_mul_f16 v8, v10, v8
	v_add_nc_u64_e32 v[10:11], s[4:5], v[64:65]
	v_add_nc_u64_e32 v[64:65], s[22:23], v[64:65]
	v_pk_fma_f16 v13, v8, v14, v13
	v_add_nc_u64_e32 v[8:9], s[4:5], v[66:67]
	v_mul_u32_u24_e32 v14, 0x10001, v205
	global_load_b32 v10, v[10:11], off
	v_add_nc_u64_e32 v[66:67], s[22:23], v[66:67]
	s_clause 0x1
	global_load_b32 v11, v[8:9], off offset:2
	global_load_u16 v8, v[8:9], off
	s_wait_loadcnt 0x1
	v_lshrrev_b32_e32 v15, v196, v11
	v_dual_ashrrev_i32 v10, v200, v10 :: v_dual_lshrrev_b32 v16, v201, v11
	s_wait_loadcnt 0x0
	v_mul_u32_u24_e32 v8, 0x10001, v8
	s_delay_alu instid0(VALU_DEP_3) | instskip(NEXT) | instid1(VALU_DEP_3)
	v_lshlrev_b32_e32 v15, 4, v15
	v_and_b32_e32 v10, 0xf0f0f0f, v10
	s_delay_alu instid0(VALU_DEP_2) | instskip(NEXT) | instid1(VALU_DEP_1)
	v_dual_lshlrev_b32 v16, 12, v16 :: v_dual_bitop2_b32 v15, 16, v15 bitop3:0x40
	v_and_b32_e32 v16, 0x1000, v16
	s_delay_alu instid0(VALU_DEP_1) | instskip(SKIP_1) | instid1(VALU_DEP_1)
	v_or3_b32 v15, v15, v10, v16
	v_dual_lshrrev_b32 v16, v202, v11 :: v_dual_lshrrev_b32 v11, v203, v11
	v_dual_lshlrev_b32 v11, 28, v11 :: v_dual_lshlrev_b32 v16, 20, v16
	s_delay_alu instid0(VALU_DEP_1) | instskip(NEXT) | instid1(VALU_DEP_2)
	v_and_b32_e32 v11, 0x10000000, v11
	v_and_b32_e32 v16, 0x100000, v16
	s_delay_alu instid0(VALU_DEP_1) | instskip(SKIP_1) | instid1(VALU_DEP_2)
	v_or3_b32 v10, v10, v16, v11
	v_lshlrev_b16 v11, 8, v15
	v_lshrrev_b32_e32 v10, 16, v10
	s_delay_alu instid0(VALU_DEP_2) | instskip(NEXT) | instid1(VALU_DEP_1)
	v_add_nc_u16 v11, 0xf000, v11
	v_lshrrev_b16 v11, 8, v11
	s_delay_alu instid0(VALU_DEP_1) | instskip(NEXT) | instid1(VALU_DEP_4)
	v_bitop3_b16 v11, v15, v11, 0x1f00 bitop3:0xec
	v_lshlrev_b16 v15, 8, v10
	v_and_b32_e32 v10, 0x1f00, v10
	s_delay_alu instid0(VALU_DEP_3) | instskip(NEXT) | instid1(VALU_DEP_3)
	v_add_nc_u16 v11, 0xf000, v11
	v_add_nc_u16 v15, 0xf000, v15
	s_delay_alu instid0(VALU_DEP_3) | instskip(NEXT) | instid1(VALU_DEP_3)
	v_add_nc_u16 v10, 0xf000, v10
	v_lshrrev_b32_e32 v9, 8, v11
	v_bfe_i32 v11, v11, 0, 8
	s_delay_alu instid0(VALU_DEP_3) | instskip(NEXT) | instid1(VALU_DEP_3)
	v_lshrrev_b32_e32 v10, 8, v10
	v_bfe_i32 v9, v9, 0, 8
	s_delay_alu instid0(VALU_DEP_3) | instskip(NEXT) | instid1(VALU_DEP_3)
	v_cvt_f16_i16_e32 v11, v11
	v_bfe_i32 v10, v10, 0, 8
	s_delay_alu instid0(VALU_DEP_3) | instskip(NEXT) | instid1(VALU_DEP_2)
	v_cvt_f16_i16_e32 v9, v9
	v_cvt_f16_i16_e32 v10, v10
	s_delay_alu instid0(VALU_DEP_2) | instskip(SKIP_1) | instid1(VALU_DEP_2)
	v_pack_b32_f16 v9, v11, v9
	v_ashrrev_i16 v11, 8, v15
	v_pk_mul_f16 v9, v9, v8
	s_delay_alu instid0(VALU_DEP_2) | instskip(NEXT) | instid1(VALU_DEP_1)
	v_cvt_f16_i16_e32 v11, v11
	v_pack_b32_f16 v10, v11, v10
	s_delay_alu instid0(VALU_DEP_1) | instskip(NEXT) | instid1(VALU_DEP_4)
	v_pk_mul_f16 v10, v10, v8
	v_pk_fma_f16 v8, v9, v14, v12
	s_delay_alu instid0(VALU_DEP_2)
	v_pk_fma_f16 v21, v10, v14, v13
	s_cbranch_scc1 .LBB18_26
; %bb.24:                               ;   in Loop: Header=BB18_11 Depth=1
	v_mov_b32_e32 v9, v204
	s_branch .LBB18_11
.LBB18_25:
	v_dual_mov_b32 v8, 0 :: v_dual_mov_b32 v21, 0
	v_mov_b32_e32 v204, 0xfeffffff
.LBB18_26:
	v_or_b32_e32 v0, s33, v182
	s_cmp_lg_u64 s[12:13], 0
	s_cselect_b32 s3, -1, 0
	s_delay_alu instid0(VALU_DEP_1) | instskip(SKIP_1) | instid1(SALU_CYCLE_1)
	v_cmp_eq_u32_e32 vcc_lo, 0, v0
	s_and_b32 s4, vcc_lo, s3
	s_and_saveexec_b32 s3, s4
	s_cbranch_execz .LBB18_28
; %bb.27:
	s_lshl_b64 s[4:5], s[28:29], 2
	v_max_num_f32_e32 v0, v204, v204
	s_add_nc_u64 s[4:5], s[12:13], s[4:5]
	s_load_b32 s4, s[4:5], 0x0
	s_wait_kmcnt 0x0
	v_max_num_f32_e64 v1, s4, s4
	s_delay_alu instid0(VALU_DEP_1) | instskip(NEXT) | instid1(VALU_DEP_1)
	v_max_num_f32_e32 v0, v0, v1
	v_sub_f32_e32 v1, v204, v0
	s_delay_alu instid0(VALU_DEP_1) | instskip(NEXT) | instid1(VALU_DEP_1)
	v_mul_f32_e32 v3, 0x3fb8aa3b, v1
	v_fma_f32 v5, 0x3fb8aa3b, v1, -v3
	v_rndne_f32_e32 v6, v3
	s_delay_alu instid0(VALU_DEP_2) | instskip(NEXT) | instid1(VALU_DEP_2)
	v_dual_fmac_f32 v5, 0x32a5705f, v1 :: v_dual_sub_f32 v2, s4, v0
	v_sub_f32_e32 v3, v3, v6
	v_cmp_ngt_f32_e32 vcc_lo, 0xc2ce8ed0, v1
	v_mov_b32_e32 v204, v0
	s_delay_alu instid0(VALU_DEP_3) | instskip(SKIP_1) | instid1(VALU_DEP_2)
	v_dual_mul_f32 v4, 0x3fb8aa3b, v2 :: v_dual_add_f32 v3, v3, v5
	v_cvt_i32_f32_e32 v5, v6
	v_fma_f32 v7, 0x3fb8aa3b, v2, -v4
	s_delay_alu instid0(VALU_DEP_3) | instskip(SKIP_1) | instid1(VALU_DEP_1)
	v_exp_f32_e32 v3, v3
	v_rndne_f32_e32 v9, v4
	v_sub_f32_e32 v4, v4, v9
	s_delay_alu instid0(TRANS32_DEP_1) | instskip(SKIP_1) | instid1(VALU_DEP_2)
	v_ldexp_f32 v3, v3, v5
	v_cvt_i32_f32_e32 v6, v9
	v_cndmask_b32_e32 v3, 0, v3, vcc_lo
	v_cmp_ngt_f32_e32 vcc_lo, 0xc2ce8ed0, v2
	v_fmac_f32_e32 v7, 0x32a5705f, v2
	s_delay_alu instid0(VALU_DEP_1) | instskip(NEXT) | instid1(VALU_DEP_1)
	v_add_f32_e32 v4, v4, v7
	v_exp_f32_e32 v4, v4
	v_nop
	s_delay_alu instid0(TRANS32_DEP_1) | instskip(NEXT) | instid1(VALU_DEP_1)
	v_ldexp_f32 v4, v4, v6
	v_cndmask_b32_e32 v4, 0, v4, vcc_lo
	v_cmp_nlt_f32_e32 vcc_lo, 0x42b17218, v1
	v_cndmask_b32_e32 v1, 0x7f800000, v3, vcc_lo
	v_cmp_nlt_f32_e32 vcc_lo, 0x42b17218, v2
	s_delay_alu instid0(VALU_DEP_2) | instskip(SKIP_2) | instid1(VALU_DEP_3)
	v_cvt_f16_f32_e32 v3, v1
	v_cndmask_b32_e32 v2, 0x7f800000, v4, vcc_lo
	v_cmp_eq_u32_e32 vcc_lo, 0, v183
	v_and_b32_e32 v3, 0xffff, v3
	s_delay_alu instid0(VALU_DEP_3) | instskip(NEXT) | instid1(VALU_DEP_1)
	v_cndmask_b32_e32 v2, 0, v2, vcc_lo
	v_fmac_f32_e32 v2, v189, v1
	s_delay_alu instid0(VALU_DEP_3) | instskip(NEXT) | instid1(VALU_DEP_2)
	v_mul_u32_u24_e32 v1, 0x10001, v3
	v_mov_b32_e32 v189, v2
	s_delay_alu instid0(VALU_DEP_2)
	v_pk_mul_f16 v8, v8, v1
	v_pk_mul_f16 v21, v21, v1
.LBB18_28:
	s_or_b32 exec_lo, exec_lo, s3
	s_and_saveexec_b32 s3, s2
; %bb.29:
	v_dual_mov_b32 v0, 0xfeffffff :: v_dual_mov_b32 v1, 0
	v_add_nc_u32_e32 v2, 0x400, v188
	ds_store_2addr_b32 v2, v0, v1 offset1:32
; %bb.30:
	s_or_b32 exec_lo, exec_lo, s3
	v_cmp_eq_u32_e32 vcc_lo, 0, v183
	v_lshlrev_b32_e32 v1, 2, v182
	s_wait_dscnt 0x0
	s_barrier_signal -1
	s_barrier_wait -1
	s_and_saveexec_b32 s2, vcc_lo
; %bb.31:
	ds_store_b32 v1, v204 offset:1024
; %bb.32:
	s_or_b32 exec_lo, exec_lo, s2
	s_wait_dscnt 0x0
	s_barrier_signal -1
	s_barrier_wait -1
	ds_load_b32 v0, v188 offset:1024
	v_xor_b32_e32 v2, 16, v184
	s_load_b32 s1, s[0:1], 0xd4
	v_dual_lshlrev_b32 v12, 3, v183 :: v_dual_bitop2_b32 v4, 8, v184 bitop3:0x14
	s_delay_alu instid0(VALU_DEP_2) | instskip(NEXT) | instid1(VALU_DEP_1)
	v_cmp_gt_i32_e64 s2, 32, v2
	v_cndmask_b32_e64 v2, v184, v2, s2
	s_delay_alu instid0(VALU_DEP_3) | instskip(NEXT) | instid1(VALU_DEP_1)
	v_cmp_gt_i32_e64 s2, 32, v4
	v_dual_lshlrev_b32 v2, 2, v2 :: v_dual_cndmask_b32 v4, v184, v4, s2
	s_wait_dscnt 0x0
	ds_bpermute_b32 v3, v2, v0
	s_wait_dscnt 0x0
	v_dual_max_num_f32 v0, v0, v0 :: v_dual_max_num_f32 v3, v3, v3
	s_delay_alu instid0(VALU_DEP_1) | instskip(SKIP_3) | instid1(VALU_DEP_1)
	v_dual_max_num_f32 v0, v0, v3 :: v_dual_lshlrev_b32 v5, 2, v4
	ds_bpermute_b32 v3, v5, v0
	s_wait_dscnt 0x0
	v_dual_max_num_f32 v6, v3, v3 :: v_dual_bitop2_b32 v4, 4, v184 bitop3:0x14
	v_max_num_f32_e32 v0, v0, v6
	s_delay_alu instid0(VALU_DEP_2) | instskip(SKIP_1) | instid1(VALU_DEP_2)
	v_cmp_gt_i32_e64 s2, 32, v4
	v_xor_b32_e32 v6, 2, v184
	v_cndmask_b32_e64 v4, v184, v4, s2
	s_delay_alu instid0(VALU_DEP_2) | instskip(NEXT) | instid1(VALU_DEP_1)
	v_cmp_gt_i32_e64 s2, 32, v6
	v_dual_cndmask_b32 v6, v184, v6, s2 :: v_dual_lshlrev_b32 v3, 2, v4
	ds_bpermute_b32 v4, v3, v0
	s_wait_dscnt 0x0
	v_dual_max_num_f32 v7, v4, v4 :: v_dual_lshlrev_b32 v4, 2, v6
	s_delay_alu instid0(VALU_DEP_1) | instskip(SKIP_3) | instid1(VALU_DEP_1)
	v_dual_max_num_f32 v0, v0, v7 :: v_dual_bitop2_b32 v7, 1, v184 bitop3:0x14
	ds_bpermute_b32 v6, v4, v0
	v_cmp_gt_i32_e64 s2, 32, v7
	s_wait_dscnt 0x0
	v_dual_cndmask_b32 v7, v184, v7, s2 :: v_dual_max_num_f32 v9, v6, v6
	s_delay_alu instid0(VALU_DEP_1) | instskip(SKIP_3) | instid1(VALU_DEP_1)
	v_dual_lshlrev_b32 v6, 2, v7 :: v_dual_max_num_f32 v0, v0, v9
	ds_bpermute_b32 v7, v6, v0
	s_wait_dscnt 0x0
	v_max_num_f32_e32 v7, v7, v7
	v_max_num_f32_e32 v0, v0, v7
	s_delay_alu instid0(VALU_DEP_1) | instskip(NEXT) | instid1(VALU_DEP_1)
	v_sub_f32_e32 v7, v204, v0
	v_mul_f32_e32 v9, 0x3fb8aa3b, v7
	s_delay_alu instid0(VALU_DEP_1) | instskip(SKIP_1) | instid1(VALU_DEP_1)
	v_fma_f32 v10, 0x3fb8aa3b, v7, -v9
	v_rndne_f32_e32 v11, v9
	v_dual_sub_f32 v9, v9, v11 :: v_dual_fmamk_f32 v10, v7, 0x32a5705f, v10
	v_cmp_ngt_f32_e64 s2, 0xc2ce8ed0, v7
	s_delay_alu instid0(VALU_DEP_2) | instskip(SKIP_1) | instid1(VALU_DEP_2)
	v_add_f32_e32 v9, v9, v10
	v_cvt_i32_f32_e32 v10, v11
	v_exp_f32_e32 v9, v9
	v_nop
	s_delay_alu instid0(TRANS32_DEP_1) | instskip(NEXT) | instid1(VALU_DEP_1)
	v_ldexp_f32 v9, v9, v10
	v_cndmask_b32_e64 v9, 0, v9, s2
	v_cmp_nlt_f32_e64 s2, 0x42b17218, v7
	s_delay_alu instid0(VALU_DEP_1) | instskip(NEXT) | instid1(VALU_DEP_1)
	v_cndmask_b32_e64 v9, 0x7f800000, v9, s2
	v_mul_f32_e32 v7, v189, v9
	ds_bpermute_b32 v7, v2, v7
	s_wait_dscnt 0x0
	v_fmac_f32_e32 v7, v189, v9
	ds_bpermute_b32 v10, v5, v7
	s_wait_dscnt 0x0
	v_add_f32_e32 v7, v7, v10
	ds_bpermute_b32 v10, v3, v7
	s_wait_dscnt 0x0
	v_add_f32_e32 v7, v7, v10
	;; [unrolled: 3-line block ×3, first 2 shown]
	v_cvt_f16_f32_e32 v10, v9
	ds_bpermute_b32 v9, v6, v7
	v_and_b32_e32 v10, 0xffff, v10
	s_delay_alu instid0(VALU_DEP_1) | instskip(NEXT) | instid1(VALU_DEP_1)
	v_mul_u32_u24_e32 v11, 0x10001, v10
	v_pk_mul_f16 v10, v8, v11
	v_pk_mul_f16 v11, v21, v11
	v_lshl_add_u32 v8, v182, 8, v12
	ds_store_b64 v8, v[10:11]
	s_wait_xcnt 0x0
	s_and_saveexec_b32 s0, vcc_lo
	s_cbranch_execz .LBB18_34
; %bb.33:
	s_wait_dscnt 0x1
	v_add_f32_e32 v7, v7, v9
	ds_store_b32 v1, v7 offset:1152
.LBB18_34:
	s_or_b32 exec_lo, exec_lo, s0
	s_wait_dscnt 0x0
	s_barrier_signal -1
	s_barrier_wait -1
	ds_load_b32 v1, v188 offset:1152
	ds_load_u16 v7, v187 offset:768
	ds_load_u16 v8, v187
	s_mul_i32 s0, s26, s24
	v_mov_b32_e32 v10, 0
	s_add_co_i32 s0, s0, s31
	s_delay_alu instid0(SALU_CYCLE_1) | instskip(NEXT) | instid1(SALU_CYCLE_1)
	s_mul_i32 s0, s0, s25
	s_add_co_i32 s0, s0, s28
	s_wait_kmcnt 0x0
	s_mul_i32 s2, s1, s0
	s_delay_alu instid0(SALU_CYCLE_1)
	s_add_co_i32 s2, s2, s33
	s_cmp_eq_u32 s1, 1
	s_cselect_b32 s0, -1, 0
	s_cmp_lg_u32 s1, 1
	s_wait_dscnt 0x2
	ds_bpermute_b32 v2, v2, v1
	s_wait_dscnt 0x1
	v_cvt_f32_f16_e32 v8, v8
	s_wait_dscnt 0x0
	v_add_f32_e32 v9, v1, v2
	ds_load_u16 v1, v187 offset:256
	ds_load_u16 v12, v187 offset:512
	ds_bpermute_b32 v11, v5, v9
	s_wait_dscnt 0x2
	v_cvt_f32_f16_e32 v2, v1
	s_wait_dscnt 0x0
	v_pk_add_f32 v[8:9], v[8:9], v[10:11]
	ds_bpermute_b32 v3, v3, v9
	s_wait_dscnt 0x0
	v_pk_add_f32 v[2:3], v[8:9], v[2:3]
	ds_bpermute_b32 v5, v4, v3
	v_cvt_f32_f16_e32 v4, v12
	s_wait_dscnt 0x0
	s_delay_alu instid0(VALU_DEP_1) | instskip(SKIP_4) | instid1(VALU_DEP_1)
	v_pk_add_f32 v[2:3], v[2:3], v[4:5]
	v_cvt_f32_f16_e32 v4, v7
	ds_bpermute_b32 v5, v6, v3
	s_wait_dscnt 0x0
	v_pk_add_f32 v[2:3], v[2:3], v[4:5]
	v_div_scale_f32 v1, null, v3, v3, v2
	v_div_scale_f32 v6, vcc_lo, v2, v3, v2
	s_delay_alu instid0(VALU_DEP_2) | instskip(SKIP_1) | instid1(TRANS32_DEP_1)
	v_rcp_f32_e32 v4, v1
	v_nop
	v_fma_f32 v5, -v1, v4, 1.0
	s_delay_alu instid0(VALU_DEP_1) | instskip(NEXT) | instid1(VALU_DEP_1)
	v_fmac_f32_e32 v4, v5, v4
	v_mul_f32_e32 v5, v6, v4
	s_delay_alu instid0(VALU_DEP_1) | instskip(NEXT) | instid1(VALU_DEP_1)
	v_fma_f32 v7, -v1, v5, v6
	v_fmac_f32_e32 v5, v7, v4
	s_delay_alu instid0(VALU_DEP_1) | instskip(NEXT) | instid1(VALU_DEP_1)
	v_fma_f32 v1, -v1, v5, v6
	v_div_fmas_f32 v1, v1, v4, v5
	v_cmp_eq_u32_e32 vcc_lo, 0, v186
	v_lshl_or_b32 v4, s2, 7, v186
	s_delay_alu instid0(VALU_DEP_3) | instskip(NEXT) | instid1(VALU_DEP_1)
	v_div_fixup_f32 v1, v1, v3, v2
	v_cndmask_b32_e64 v1, v2, v1, s0
	s_cselect_b32 s0, -1, 0
	s_delay_alu instid0(SALU_CYCLE_1)
	s_and_b32 s0, vcc_lo, s0
	global_store_b32 v4, v1, s[16:17] scale_offset
	s_wait_xcnt 0x0
	s_and_saveexec_b32 s1, s0
	s_cbranch_execz .LBB18_36
; %bb.35:
	v_dual_mov_b32 v1, v3 :: v_dual_mov_b32 v2, s2
	global_store_b64 v2, v[0:1], s[18:19] scale_offset
.LBB18_36:
	s_sendmsg sendmsg(MSG_DEALLOC_VGPRS)
	s_endpgm
	.section	.rodata,"a",@progbits
	.p2align	6, 0x0
	.amdhsa_kernel _ZL18flash_attn_ext_vecILi128ELi1EL9ggml_type6ELS0_6ELb1EEvPKcS2_S2_S2_S2_PKiPfP15HIP_vector_typeIfLj2EEffffjfiS6_IjLj3EEiiiiiiiiiiiliiliiiiil
		.amdhsa_group_segment_fixed_size 1280
		.amdhsa_private_segment_fixed_size 0
		.amdhsa_kernarg_size 464
		.amdhsa_user_sgpr_count 2
		.amdhsa_user_sgpr_dispatch_ptr 0
		.amdhsa_user_sgpr_queue_ptr 0
		.amdhsa_user_sgpr_kernarg_segment_ptr 1
		.amdhsa_user_sgpr_dispatch_id 0
		.amdhsa_user_sgpr_kernarg_preload_length 0
		.amdhsa_user_sgpr_kernarg_preload_offset 0
		.amdhsa_user_sgpr_private_segment_size 0
		.amdhsa_wavefront_size32 1
		.amdhsa_uses_dynamic_stack 0
		.amdhsa_enable_private_segment 0
		.amdhsa_system_sgpr_workgroup_id_x 1
		.amdhsa_system_sgpr_workgroup_id_y 1
		.amdhsa_system_sgpr_workgroup_id_z 1
		.amdhsa_system_sgpr_workgroup_info 0
		.amdhsa_system_vgpr_workitem_id 1
		.amdhsa_next_free_vgpr 220
		.amdhsa_next_free_sgpr 55
		.amdhsa_named_barrier_count 0
		.amdhsa_reserve_vcc 1
		.amdhsa_float_round_mode_32 0
		.amdhsa_float_round_mode_16_64 0
		.amdhsa_float_denorm_mode_32 3
		.amdhsa_float_denorm_mode_16_64 3
		.amdhsa_fp16_overflow 0
		.amdhsa_memory_ordered 1
		.amdhsa_forward_progress 1
		.amdhsa_inst_pref_size 214
		.amdhsa_round_robin_scheduling 0
		.amdhsa_exception_fp_ieee_invalid_op 0
		.amdhsa_exception_fp_denorm_src 0
		.amdhsa_exception_fp_ieee_div_zero 0
		.amdhsa_exception_fp_ieee_overflow 0
		.amdhsa_exception_fp_ieee_underflow 0
		.amdhsa_exception_fp_ieee_inexact 0
		.amdhsa_exception_int_div_zero 0
	.end_amdhsa_kernel
	.section	.text._ZL18flash_attn_ext_vecILi128ELi1EL9ggml_type6ELS0_6ELb1EEvPKcS2_S2_S2_S2_PKiPfP15HIP_vector_typeIfLj2EEffffjfiS6_IjLj3EEiiiiiiiiiiiliiliiiiil,"axG",@progbits,_ZL18flash_attn_ext_vecILi128ELi1EL9ggml_type6ELS0_6ELb1EEvPKcS2_S2_S2_S2_PKiPfP15HIP_vector_typeIfLj2EEffffjfiS6_IjLj3EEiiiiiiiiiiiliiliiiiil,comdat
.Lfunc_end18:
	.size	_ZL18flash_attn_ext_vecILi128ELi1EL9ggml_type6ELS0_6ELb1EEvPKcS2_S2_S2_S2_PKiPfP15HIP_vector_typeIfLj2EEffffjfiS6_IjLj3EEiiiiiiiiiiiliiliiiiil, .Lfunc_end18-_ZL18flash_attn_ext_vecILi128ELi1EL9ggml_type6ELS0_6ELb1EEvPKcS2_S2_S2_S2_PKiPfP15HIP_vector_typeIfLj2EEffffjfiS6_IjLj3EEiiiiiiiiiiiliiliiiiil
                                        ; -- End function
	.set _ZL18flash_attn_ext_vecILi128ELi1EL9ggml_type6ELS0_6ELb1EEvPKcS2_S2_S2_S2_PKiPfP15HIP_vector_typeIfLj2EEffffjfiS6_IjLj3EEiiiiiiiiiiiliiliiiiil.num_vgpr, 220
	.set _ZL18flash_attn_ext_vecILi128ELi1EL9ggml_type6ELS0_6ELb1EEvPKcS2_S2_S2_S2_PKiPfP15HIP_vector_typeIfLj2EEffffjfiS6_IjLj3EEiiiiiiiiiiiliiliiiiil.num_agpr, 0
	.set _ZL18flash_attn_ext_vecILi128ELi1EL9ggml_type6ELS0_6ELb1EEvPKcS2_S2_S2_S2_PKiPfP15HIP_vector_typeIfLj2EEffffjfiS6_IjLj3EEiiiiiiiiiiiliiliiiiil.numbered_sgpr, 55
	.set _ZL18flash_attn_ext_vecILi128ELi1EL9ggml_type6ELS0_6ELb1EEvPKcS2_S2_S2_S2_PKiPfP15HIP_vector_typeIfLj2EEffffjfiS6_IjLj3EEiiiiiiiiiiiliiliiiiil.num_named_barrier, 0
	.set _ZL18flash_attn_ext_vecILi128ELi1EL9ggml_type6ELS0_6ELb1EEvPKcS2_S2_S2_S2_PKiPfP15HIP_vector_typeIfLj2EEffffjfiS6_IjLj3EEiiiiiiiiiiiliiliiiiil.private_seg_size, 0
	.set _ZL18flash_attn_ext_vecILi128ELi1EL9ggml_type6ELS0_6ELb1EEvPKcS2_S2_S2_S2_PKiPfP15HIP_vector_typeIfLj2EEffffjfiS6_IjLj3EEiiiiiiiiiiiliiliiiiil.uses_vcc, 1
	.set _ZL18flash_attn_ext_vecILi128ELi1EL9ggml_type6ELS0_6ELb1EEvPKcS2_S2_S2_S2_PKiPfP15HIP_vector_typeIfLj2EEffffjfiS6_IjLj3EEiiiiiiiiiiiliiliiiiil.uses_flat_scratch, 0
	.set _ZL18flash_attn_ext_vecILi128ELi1EL9ggml_type6ELS0_6ELb1EEvPKcS2_S2_S2_S2_PKiPfP15HIP_vector_typeIfLj2EEffffjfiS6_IjLj3EEiiiiiiiiiiiliiliiiiil.has_dyn_sized_stack, 0
	.set _ZL18flash_attn_ext_vecILi128ELi1EL9ggml_type6ELS0_6ELb1EEvPKcS2_S2_S2_S2_PKiPfP15HIP_vector_typeIfLj2EEffffjfiS6_IjLj3EEiiiiiiiiiiiliiliiiiil.has_recursion, 0
	.set _ZL18flash_attn_ext_vecILi128ELi1EL9ggml_type6ELS0_6ELb1EEvPKcS2_S2_S2_S2_PKiPfP15HIP_vector_typeIfLj2EEffffjfiS6_IjLj3EEiiiiiiiiiiiliiliiiiil.has_indirect_call, 0
	.section	.AMDGPU.csdata,"",@progbits
; Kernel info:
; codeLenInByte = 27288
; TotalNumSgprs: 57
; NumVgprs: 220
; ScratchSize: 0
; MemoryBound: 0
; FloatMode: 240
; IeeeMode: 1
; LDSByteSize: 1280 bytes/workgroup (compile time only)
; SGPRBlocks: 0
; VGPRBlocks: 13
; NumSGPRsForWavesPerEU: 57
; NumVGPRsForWavesPerEU: 220
; NamedBarCnt: 0
; Occupancy: 4
; WaveLimiterHint : 0
; COMPUTE_PGM_RSRC2:SCRATCH_EN: 0
; COMPUTE_PGM_RSRC2:USER_SGPR: 2
; COMPUTE_PGM_RSRC2:TRAP_HANDLER: 0
; COMPUTE_PGM_RSRC2:TGID_X_EN: 1
; COMPUTE_PGM_RSRC2:TGID_Y_EN: 1
; COMPUTE_PGM_RSRC2:TGID_Z_EN: 1
; COMPUTE_PGM_RSRC2:TIDIG_COMP_CNT: 1
	.section	.text._ZL18flash_attn_ext_vecILi128ELi2EL9ggml_type6ELS0_6ELb0EEvPKcS2_S2_S2_S2_PKiPfP15HIP_vector_typeIfLj2EEffffjfiS6_IjLj3EEiiiiiiiiiiiliiliiiiil,"axG",@progbits,_ZL18flash_attn_ext_vecILi128ELi2EL9ggml_type6ELS0_6ELb0EEvPKcS2_S2_S2_S2_PKiPfP15HIP_vector_typeIfLj2EEffffjfiS6_IjLj3EEiiiiiiiiiiiliiliiiiil,comdat
	.globl	_ZL18flash_attn_ext_vecILi128ELi2EL9ggml_type6ELS0_6ELb0EEvPKcS2_S2_S2_S2_PKiPfP15HIP_vector_typeIfLj2EEffffjfiS6_IjLj3EEiiiiiiiiiiiliiliiiiil ; -- Begin function _ZL18flash_attn_ext_vecILi128ELi2EL9ggml_type6ELS0_6ELb0EEvPKcS2_S2_S2_S2_PKiPfP15HIP_vector_typeIfLj2EEffffjfiS6_IjLj3EEiiiiiiiiiiiliiliiiiil
	.p2align	8
	.type	_ZL18flash_attn_ext_vecILi128ELi2EL9ggml_type6ELS0_6ELb0EEvPKcS2_S2_S2_S2_PKiPfP15HIP_vector_typeIfLj2EEffffjfiS6_IjLj3EEiiiiiiiiiiiliiliiiiil,@function
_ZL18flash_attn_ext_vecILi128ELi2EL9ggml_type6ELS0_6ELb0EEvPKcS2_S2_S2_S2_PKiPfP15HIP_vector_typeIfLj2EEffffjfiS6_IjLj3EEiiiiiiiiiiiliiliiiiil: ; @_ZL18flash_attn_ext_vecILi128ELi2EL9ggml_type6ELS0_6ELb0EEvPKcS2_S2_S2_S2_PKiPfP15HIP_vector_typeIfLj2EEffffjfiS6_IjLj3EEiiiiiiiiiiiliiliiiiil
; %bb.0:
	s_clause 0x2
	s_load_b64 s[24:25], s[2:3], 0x64
	s_load_b64 s[36:37], s[2:3], 0x80
	;; [unrolled: 1-line block ×3, first 2 shown]
	s_bfe_u32 s6, ttmp6, 0x40014
	s_lshr_b32 s5, ttmp7, 16
	s_add_co_i32 s6, s6, 1
	s_bfe_u32 s7, ttmp6, 0x40008
	s_mul_i32 s6, s5, s6
	s_getreg_b32 s34, hwreg(HW_REG_IB_STS2, 6, 4)
	s_add_co_i32 s7, s7, s6
	s_load_b128 s[20:23], s[2:3], 0x40
	v_mov_b32_e32 v239, 1.0
	s_mov_b32 s35, 0
	s_wait_kmcnt 0x0
	s_cvt_f32_u32 s4, s25
	s_sub_co_i32 s8, 0, s25
	s_delay_alu instid0(SALU_CYCLE_2) | instskip(SKIP_1) | instid1(TRANS32_DEP_1)
	v_rcp_iflag_f32_e32 v1, s4
	v_nop
	v_readfirstlane_b32 s4, v1
	s_mul_f32 s4, s4, 0x4f7ffffe
	s_delay_alu instid0(SALU_CYCLE_3) | instskip(NEXT) | instid1(SALU_CYCLE_3)
	s_cvt_u32_f32 s4, s4
	s_mul_i32 s8, s8, s4
	s_delay_alu instid0(SALU_CYCLE_1) | instskip(NEXT) | instid1(SALU_CYCLE_1)
	s_mul_hi_u32 s8, s4, s8
	s_add_co_i32 s4, s4, s8
	s_cmp_eq_u32 s34, 0
	s_cselect_b32 s5, s5, s7
	s_delay_alu instid0(SALU_CYCLE_1) | instskip(NEXT) | instid1(SALU_CYCLE_1)
	s_mul_hi_u32 s4, s5, s4
	s_mul_i32 s6, s4, s25
	s_add_co_i32 s7, s4, 1
	s_sub_co_i32 s6, s5, s6
	s_delay_alu instid0(SALU_CYCLE_1)
	s_sub_co_i32 s8, s6, s25
	s_cmp_ge_u32 s6, s25
	s_cselect_b32 s4, s7, s4
	s_cselect_b32 s6, s8, s6
	s_add_co_i32 s7, s4, 1
	s_cmp_ge_u32 s6, s25
	s_cselect_b32 s26, s7, s4
	s_abs_i32 s4, s37
	s_abs_i32 s9, s25
	s_cvt_f32_u32 s6, s4
	s_sub_co_i32 s7, 0, s4
	s_xor_b32 s8, s25, s37
	s_delay_alu instid0(SALU_CYCLE_1) | instskip(SKIP_2) | instid1(TRANS32_DEP_1)
	v_rcp_iflag_f32_e32 v1, s6
	s_ashr_i32 s8, s8, 31
	v_nop
	v_readfirstlane_b32 s6, v1
	s_mul_f32 s6, s6, 0x4f7ffffe
	s_delay_alu instid0(SALU_CYCLE_3) | instskip(NEXT) | instid1(SALU_CYCLE_3)
	s_cvt_u32_f32 s6, s6
	s_mul_i32 s7, s7, s6
	s_delay_alu instid0(SALU_CYCLE_1) | instskip(NEXT) | instid1(SALU_CYCLE_1)
	s_mul_hi_u32 s7, s6, s7
	s_add_co_i32 s6, s6, s7
	s_mul_i32 s7, s26, s25
	s_mul_hi_u32 s6, s9, s6
	s_sub_co_i32 s28, s5, s7
	s_mul_i32 s10, s6, s4
	s_add_co_i32 s7, s6, 1
	s_sub_co_i32 s5, s9, s10
	s_delay_alu instid0(SALU_CYCLE_1)
	s_sub_co_i32 s9, s5, s4
	s_cmp_ge_u32 s5, s4
	s_cselect_b32 s6, s7, s6
	s_cselect_b32 s5, s9, s5
	s_add_co_i32 s7, s6, 1
	s_cmp_ge_u32 s5, s4
	s_cselect_b32 s4, s7, s6
	s_abs_i32 s30, s30
	s_xor_b32 s5, s4, s8
	s_load_b32 s4, s[2:3], 0x50
	s_sub_co_i32 s27, s5, s8
	s_cvt_f32_u32 s5, s30
	s_abs_i32 s37, s27
	s_cmp_le_f32 s21, 0
	s_cvt_f32_u32 s6, s37
	v_rcp_iflag_f32_e32 v1, s5
	s_delay_alu instid0(SALU_CYCLE_2) | instskip(NEXT) | instid1(TRANS32_DEP_2)
	v_rcp_iflag_f32_e32 v2, s6
	v_readfirstlane_b32 s38, v1
	s_delay_alu instid0(TRANS32_DEP_1)
	v_readfirstlane_b32 s39, v2
	s_cbranch_scc1 .LBB19_2
; %bb.1:
	s_wait_kmcnt 0x0
	v_sub_co_u32 v1, s4, s28, s4
	s_and_b32 s6, s4, exec_lo
	s_cselect_b32 s6, s22, s23
	s_add_co_i32 s7, s28, 1
	v_readfirstlane_b32 s5, v1
	s_lshl_b32 s5, s5, 1
	s_delay_alu instid0(SALU_CYCLE_1) | instskip(SKIP_4) | instid1(SALU_CYCLE_3)
	s_or_b32 s5, s5, 1
	s_and_b32 s4, s4, exec_lo
	s_cselect_b32 s4, s7, s5
	s_cmp_neq_f32 s6, 1.0
	s_cvt_f32_i32 s4, s4
	s_cselect_b32 s5, s4, 1.0
	s_delay_alu instid0(SALU_CYCLE_1) | instskip(SKIP_1) | instid1(SALU_CYCLE_1)
	s_cmp_neq_f32 s5, 0
	s_cselect_b32 s4, s6, 1.0
	v_cvt_f64_f32_e64 v[2:3], |s4|
	s_delay_alu instid0(VALU_DEP_1) | instskip(SKIP_1) | instid1(VALU_DEP_1)
	v_frexp_exp_i32_f64_e32 v1, v[2:3]
	v_frexp_mant_f32_e64 v2, |s4|
	v_readfirstlane_b32 s6, v2
	s_cmp_lt_f32 s6, 0x3f2aaaab
	s_cselect_b32 vcc_lo, -1, 0
	s_delay_alu instid0(SALU_CYCLE_1) | instskip(SKIP_1) | instid1(SALU_CYCLE_1)
	s_and_b32 s7, vcc_lo, exec_lo
	s_cselect_b32 s7, 2.0, 1.0
	s_mul_f32 s6, s6, s7
	s_delay_alu instid0(SALU_CYCLE_3) | instskip(SKIP_1) | instid1(SALU_CYCLE_2)
	s_add_f32 s7, s6, 1.0
	s_add_f32 s9, s6, -1.0
	v_s_rcp_f32 s8, s7
	s_add_f32 s12, s7, -1.0
	v_subrev_co_ci_u32_e64 v1, null, 0, v1, vcc_lo
	s_delay_alu instid0(SALU_CYCLE_2) | instskip(NEXT) | instid1(TRANS32_DEP_1)
	s_sub_f32 s6, s6, s12
	s_mul_f32 s10, s9, s8
	v_cvt_f32_i32_e32 v1, v1
	s_delay_alu instid0(SALU_CYCLE_2) | instskip(NEXT) | instid1(SALU_CYCLE_3)
	s_mul_f32 s11, s7, s10
	v_dual_mov_b32 v3, s9 :: v_dual_mov_b32 v4, s11
	s_xor_b32 s13, s11, 0x80000000
	s_delay_alu instid0(SALU_CYCLE_1) | instskip(NEXT) | instid1(SALU_CYCLE_3)
	s_fmac_f32 s13, s10, s7
	s_fmac_f32 s13, s10, s6
	s_delay_alu instid0(SALU_CYCLE_3) | instskip(SKIP_2) | instid1(SALU_CYCLE_1)
	s_add_f32 s6, s11, s13
	v_mov_b32_e32 v6, s13
	s_mov_b32 s11, 0x3e76c4e1
	s_sub_f32 s7, s9, s6
	v_dual_mov_b32 v2, s6 :: v_dual_mov_b32 v7, s6
	s_delay_alu instid0(SALU_CYCLE_2) | instskip(NEXT) | instid1(VALU_DEP_1)
	v_mov_b32_e32 v5, s7
	v_pk_add_f32 v[2:3], v[2:3], v[4:5] neg_lo:[0,1] neg_hi:[0,1]
	s_delay_alu instid0(VALU_DEP_1) | instskip(NEXT) | instid1(VALU_DEP_1)
	v_pk_add_f32 v[2:3], v[2:3], v[6:7] neg_lo:[0,1] neg_hi:[0,1]
	v_readfirstlane_b32 s6, v3
	s_delay_alu instid0(VALU_DEP_2) | instskip(SKIP_1) | instid1(SALU_CYCLE_3)
	v_readfirstlane_b32 s9, v2
	s_add_f32 s6, s9, s6
	s_add_f32 s6, s7, s6
	s_delay_alu instid0(SALU_CYCLE_3) | instskip(NEXT) | instid1(SALU_CYCLE_3)
	s_mul_f32 s7, s8, s6
	s_add_f32 s6, s10, s7
	s_delay_alu instid0(SALU_CYCLE_3) | instskip(SKIP_1) | instid1(SALU_CYCLE_2)
	s_sub_f32 s8, s6, s10
	s_mul_f32 s9, s6, s6
	s_sub_f32 s10, s7, s8
	s_delay_alu instid0(SALU_CYCLE_2) | instskip(NEXT) | instid1(SALU_CYCLE_1)
	s_xor_b32 s7, s9, 0x80000000
	s_fmac_f32 s7, s6, s6
	s_delay_alu instid0(SALU_CYCLE_1) | instskip(NEXT) | instid1(SALU_CYCLE_3)
	s_add_f32 s8, s10, s10
	s_fmac_f32 s7, s6, s8
	s_delay_alu instid0(SALU_CYCLE_3) | instskip(NEXT) | instid1(SALU_CYCLE_3)
	s_add_f32 s8, s9, s7
	s_fmaak_f32 s11, s8, s11, 0x3e91f4c4
	s_sub_f32 s9, s8, s9
	s_delay_alu instid0(SALU_CYCLE_2) | instskip(NEXT) | instid1(SALU_CYCLE_2)
	s_fmaak_f32 s11, s8, s11, 0x3ecccdef
	s_sub_f32 s14, s7, s9
	s_delay_alu instid0(SALU_CYCLE_2) | instskip(NEXT) | instid1(SALU_CYCLE_3)
	s_mul_f32 s12, s8, s11
	s_xor_b32 s13, s12, 0x80000000
	s_delay_alu instid0(SALU_CYCLE_1) | instskip(NEXT) | instid1(SALU_CYCLE_3)
	s_fmac_f32 s13, s8, s11
	s_fmac_f32 s13, s14, s11
	s_delay_alu instid0(SALU_CYCLE_3) | instskip(NEXT) | instid1(SALU_CYCLE_3)
	s_add_f32 s9, s12, s13
	s_sub_f32 s7, s9, s12
	s_add_f32 s11, s9, 0x3f2aaaaa
	s_delay_alu instid0(SALU_CYCLE_2) | instskip(NEXT) | instid1(SALU_CYCLE_2)
	s_sub_f32 s7, s13, s7
	s_add_f32 s12, s11, 0xbf2aaaaa
	s_delay_alu instid0(SALU_CYCLE_2) | instskip(NEXT) | instid1(SALU_CYCLE_2)
	s_add_f32 s7, s7, 0x31739010
	s_sub_f32 s9, s9, s12
	s_delay_alu instid0(SALU_CYCLE_2) | instskip(NEXT) | instid1(SALU_CYCLE_2)
	v_mov_b64_e32 v[2:3], s[6:7]
	v_mov_b64_e32 v[4:5], s[8:9]
	s_delay_alu instid0(VALU_DEP_1) | instskip(SKIP_2) | instid1(VALU_DEP_3)
	v_pk_mul_f32 v[6:7], v[2:3], v[4:5]
	v_pk_add_f32 v[2:3], v[2:3], v[4:5]
	v_mov_b32_e32 v9, s11
	v_xor_b32_e32 v8, 0x80000000, v6
	s_delay_alu instid0(VALU_DEP_3) | instskip(NEXT) | instid1(VALU_DEP_2)
	v_mov_b32_e32 v7, v3
	v_fmac_f32_e64 v8, s8, s6
	s_delay_alu instid0(VALU_DEP_1) | instskip(NEXT) | instid1(VALU_DEP_1)
	v_fmac_f32_e64 v8, s8, s10
	v_fmac_f32_e64 v8, s14, s6
	s_delay_alu instid0(VALU_DEP_1) | instskip(NEXT) | instid1(VALU_DEP_1)
	v_pk_add_f32 v[4:5], v[6:7], v[8:9]
	v_dual_mov_b32 v2, v5 :: v_dual_sub_f32 v7, s11, v5
	v_mul_f32_e32 v12, 0x3f317218, v1
	s_delay_alu instid0(VALU_DEP_2) | instskip(NEXT) | instid1(VALU_DEP_3)
	v_pk_mul_f32 v[10:11], v[4:5], v[2:3]
	v_add_f32_e32 v3, v3, v7
	s_delay_alu instid0(VALU_DEP_3) | instskip(NEXT) | instid1(VALU_DEP_3)
	v_xor_b32_e32 v7, 0x80000000, v12
	v_xor_b32_e32 v2, 0x80000000, v10
	s_delay_alu instid0(VALU_DEP_2) | instskip(NEXT) | instid1(VALU_DEP_2)
	v_dual_sub_f32 v6, v4, v6 :: v_dual_fmac_f32 v7, 0x3f317218, v1
	v_fmac_f32_e32 v2, v4, v5
	s_delay_alu instid0(VALU_DEP_2) | instskip(NEXT) | instid1(VALU_DEP_2)
	v_sub_f32_e32 v6, v8, v6
	v_fmac_f32_e32 v2, v4, v3
	s_delay_alu instid0(VALU_DEP_1) | instskip(SKIP_3) | instid1(VALU_DEP_2)
	v_fmac_f32_e32 v2, v6, v5
	v_fmamk_f32 v4, v1, 0xb102e308, v7
	v_ldexp_f32 v5, s6, 1
	v_ldexp_f32 v1, s10, 1
	v_dual_add_f32 v13, v10, v2 :: v_dual_mov_b32 v11, v5
	s_delay_alu instid0(VALU_DEP_1) | instskip(SKIP_1) | instid1(VALU_DEP_2)
	v_pk_add_f32 v[6:7], v[12:13], v[4:5]
	v_dual_mov_b32 v8, v13 :: v_dual_mov_b32 v3, v13
	v_dual_mov_b32 v9, v7 :: v_dual_mov_b32 v5, v6
	v_mov_b32_e32 v14, v7
	s_delay_alu instid0(VALU_DEP_2) | instskip(NEXT) | instid1(VALU_DEP_1)
	v_pk_add_f32 v[8:9], v[8:9], v[10:11] neg_lo:[0,1] neg_hi:[0,1]
	v_pk_add_f32 v[2:3], v[2:3], v[8:9] neg_lo:[0,1] neg_hi:[0,1]
	s_delay_alu instid0(VALU_DEP_1) | instskip(NEXT) | instid1(VALU_DEP_1)
	v_add_f32_e32 v1, v1, v2
	v_add_f32_e32 v13, v1, v3
	s_delay_alu instid0(VALU_DEP_1) | instskip(SKIP_1) | instid1(VALU_DEP_2)
	v_pk_add_f32 v[2:3], v[6:7], v[12:13]
	v_pk_add_f32 v[8:9], v[6:7], v[12:13] neg_lo:[0,1] neg_hi:[0,1]
	v_mov_b32_e32 v9, v3
	s_delay_alu instid0(VALU_DEP_1) | instskip(SKIP_2) | instid1(VALU_DEP_3)
	v_pk_add_f32 v[10:11], v[4:5], v[8:9]
	v_pk_add_f32 v[4:5], v[4:5], v[8:9] neg_lo:[0,1] neg_hi:[0,1]
	v_dual_mov_b32 v16, v3 :: v_dual_mov_b32 v5, v6
	v_dual_mov_b32 v12, v11 :: v_dual_mov_b32 v17, v11
	s_delay_alu instid0(VALU_DEP_3) | instskip(NEXT) | instid1(VALU_DEP_2)
	v_readfirstlane_b32 s6, v4
	v_pk_add_f32 v[8:9], v[12:13], v[6:7] neg_lo:[0,1] neg_hi:[0,1]
	s_delay_alu instid0(VALU_DEP_2) | instskip(NEXT) | instid1(VALU_DEP_2)
	v_dual_mov_b32 v4, v13 :: v_dual_mov_b32 v10, s6
	v_dual_mov_b32 v15, v8 :: v_dual_mov_b32 v1, v8
	s_delay_alu instid0(VALU_DEP_1) | instskip(NEXT) | instid1(VALU_DEP_2)
	v_pk_add_f32 v[6:7], v[16:17], v[14:15] neg_lo:[0,1] neg_hi:[0,1]
	v_pk_add_f32 v[2:3], v[2:3], v[0:1] neg_lo:[0,1] neg_hi:[0,1]
	v_mov_b32_e32 v2, s6
	s_delay_alu instid0(VALU_DEP_3) | instskip(NEXT) | instid1(VALU_DEP_1)
	v_pk_add_f32 v[4:5], v[4:5], v[6:7] neg_lo:[0,1] neg_hi:[0,1]
	v_pk_add_f32 v[2:3], v[2:3], v[4:5]
	s_delay_alu instid0(VALU_DEP_1) | instskip(NEXT) | instid1(VALU_DEP_2)
	v_readfirstlane_b32 s7, v2
	v_mov_b32_e32 v6, v3
	s_delay_alu instid0(VALU_DEP_1) | instskip(NEXT) | instid1(VALU_DEP_3)
	v_pk_add_f32 v[6:7], v[2:3], v[6:7]
	v_mov_b32_e32 v2, s7
	s_delay_alu instid0(VALU_DEP_2) | instskip(SKIP_1) | instid1(VALU_DEP_2)
	v_pk_add_f32 v[8:9], v[12:13], v[6:7]
	v_mov_b32_e32 v5, v6
	v_readfirstlane_b32 s8, v8
	s_delay_alu instid0(VALU_DEP_1) | instskip(NEXT) | instid1(VALU_DEP_1)
	v_mov_b32_e32 v3, s8
	v_pk_add_f32 v[2:3], v[2:3], v[10:11] neg_lo:[0,1] neg_hi:[0,1]
	s_delay_alu instid0(VALU_DEP_1) | instskip(NEXT) | instid1(VALU_DEP_2)
	v_readfirstlane_b32 s9, v2
	v_pk_add_f32 v[2:3], v[4:5], v[2:3] neg_lo:[0,1] neg_hi:[0,1]
	s_sub_f32 s7, s7, s9
	s_delay_alu instid0(VALU_DEP_1) | instskip(NEXT) | instid1(SALU_CYCLE_2)
	v_readfirstlane_b32 s9, v2
	s_sub_f32 s6, s6, s7
	v_readfirstlane_b32 s7, v3
	s_delay_alu instid0(SALU_CYCLE_2) | instskip(NEXT) | instid1(SALU_CYCLE_3)
	s_add_f32 s6, s9, s6
	s_add_f32 s6, s6, s7
	s_delay_alu instid0(SALU_CYCLE_3) | instskip(NEXT) | instid1(SALU_CYCLE_3)
	s_add_f32 s7, s8, s6
	s_mul_f32 s9, s5, s7
	s_sub_f32 s8, s7, s8
	s_delay_alu instid0(SALU_CYCLE_2) | instskip(NEXT) | instid1(SALU_CYCLE_2)
	s_xor_b32 s10, s9, 0x80000000
	s_sub_f32 s6, s6, s8
	s_fmac_f32 s10, s5, s7
	s_delay_alu instid0(SALU_CYCLE_3) | instskip(SKIP_1) | instid1(SALU_CYCLE_2)
	s_fmac_f32 s10, s5, s6
	v_cmp_class_f32_e64 s6, s9, 0x204
	s_add_f32 s7, s9, s10
	s_and_b32 s6, s6, exec_lo
	s_delay_alu instid0(SALU_CYCLE_2) | instskip(SKIP_1) | instid1(SALU_CYCLE_1)
	s_sub_f32 s6, s7, s9
	s_cselect_b32 s7, s9, s7
	s_and_b32 s8, s7, 0x7fffffff
	s_delay_alu instid0(SALU_CYCLE_1) | instskip(SKIP_1) | instid1(SALU_CYCLE_2)
	s_sub_f32 s6, s10, s6
	s_cmp_neq_f32 s8, 0x7f800000
	s_cselect_b32 s6, s6, 0
	s_cmp_eq_f32 s7, 0x42b17218
	s_cselect_b32 s8, 0x37000000, 0
	s_delay_alu instid0(SALU_CYCLE_1) | instskip(SKIP_1) | instid1(SALU_CYCLE_2)
	s_sub_f32 s7, s7, s8
	s_add_f32 s6, s8, s6
	s_mul_f32 s9, s7, 0x3fb8aa3b
	s_delay_alu instid0(SALU_CYCLE_3) | instskip(SKIP_3) | instid1(SALU_CYCLE_1)
	s_xor_b32 s10, s9, 0x80000000
	s_rndne_f32 s11, s9
	s_fmamk_f32 s10, s7, 0x3fb8aa3b, s10
	s_cmp_nlt_f32 s7, 0xc2ce8ed0
	s_sub_f32 s9, s9, s11
	s_delay_alu instid0(SALU_CYCLE_1)
	s_fmamk_f32 s10, s7, 0x32a5705f, s10
	s_cselect_b32 vcc_lo, -1, 0
	s_cmp_ngt_f32 s7, 0x42b17218
	s_trunc_f32 s7, s5
	s_add_f32 s9, s9, s10
	s_cvt_i32_f32 s10, s11
	s_delay_alu instid0(SALU_CYCLE_2)
	v_s_exp_f32 s9, s9
	v_nop
	s_delay_alu instid0(TRANS32_DEP_1) | instid1(SALU_CYCLE_1)
	v_ldexp_f32 v1, s9, s10
	s_mul_f32 s9, s5, 0.5
	s_delay_alu instid0(VALU_DEP_1) | instskip(SKIP_3) | instid1(VALU_DEP_1)
	v_cndmask_b32_e32 v1, 0, v1, vcc_lo
	s_cselect_b32 vcc_lo, -1, 0
	s_cmp_eq_f32 s7, s5
	s_trunc_f32 s10, s9
	v_cndmask_b32_e32 v1, 0x7f800000, v1, vcc_lo
	s_cselect_b32 s11, -1, 0
	s_delay_alu instid0(SALU_CYCLE_1) | instskip(NEXT) | instid1(VALU_DEP_1)
	s_cmp_neq_f32 s10, s9
	v_fma_f32 v2, s6, v1, v1
	v_cmp_class_f32_e64 vcc_lo, v1, 0x204
	s_cselect_b32 s8, -1, 0
	s_delay_alu instid0(SALU_CYCLE_1)
	s_and_b32 s6, s11, s8
	v_cndmask_b32_e32 v1, v2, v1, vcc_lo
	s_and_b32 s8, s6, exec_lo
	s_cselect_b32 s8, s4, 1.0
	s_cmp_eq_f32 s7, s5
	v_cmp_class_f32_e64 s7, s4, 0x204
	v_bfi_b32 v1, 0x7fffffff, v1, s8
	s_cselect_b32 vcc_lo, -1, 0
	s_cmp_lt_f32 s4, 0
	s_delay_alu instid0(VALU_DEP_1) | instskip(SKIP_2) | instid1(VALU_DEP_1)
	v_cndmask_b32_e32 v2, 0x7fc00000, v1, vcc_lo
	s_cselect_b32 vcc_lo, -1, 0
	s_cmp_eq_f32 s4, 0
	v_cndmask_b32_e32 v1, v1, v2, vcc_lo
	s_cselect_b32 s8, -1, 0
	s_delay_alu instid0(SALU_CYCLE_1) | instskip(SKIP_2) | instid1(SALU_CYCLE_1)
	s_or_b32 vcc_lo, s8, s7
	s_cmp_lt_f32 s5, 0
	s_cselect_b32 s5, -1, 0
	s_xor_b32 s5, s5, s8
	s_delay_alu instid0(SALU_CYCLE_1)
	s_and_b32 s5, s5, exec_lo
	s_cselect_b32 s5, 0, 0x7f800000
	s_and_b32 s6, s6, exec_lo
	s_cselect_b32 s6, s4, 0
	s_cmp_o_f32 s4, s4
	v_mov_b32_e32 v2, s6
	s_delay_alu instid0(VALU_DEP_1) | instskip(NEXT) | instid1(VALU_DEP_1)
	v_bfi_b32 v2, 0x7fffffff, s5, v2
	v_cndmask_b32_e32 v1, v1, v2, vcc_lo
	s_cselect_b32 vcc_lo, -1, 0
	s_delay_alu instid0(VALU_DEP_1)
	v_cndmask_b32_e32 v239, 0x7fc00000, v1, vcc_lo
.LBB19_2:
	s_load_b64 s[22:23], s[0:1], 0x4
	v_bfe_u32 v233, v0, 10, 10
	s_wait_kmcnt 0x0
	s_load_b512 s[4:19], s[2:3], 0x0
	v_and_b32_e32 v232, 0x3ff, v0
	v_bfe_u32 v0, v0, 20, 10
	s_and_b32 s1, ttmp6, 15
	v_dual_mov_b32 v71, 0 :: v_dual_lshlrev_b32 v234, 8, v233
	s_delay_alu instid0(VALU_DEP_3)
	v_lshlrev_b32_e32 v236, 2, v232
	v_mul_u32_u24_e32 v1, s23, v233
	s_lshr_b32 s0, s22, 16
	s_bfe_u32 s22, ttmp6, 0x4000c
	s_mul_i32 s0, s0, s23
	s_add_co_i32 s22, s22, 1
	v_mad_u32_u24 v1, s0, v232, v1
	s_mul_i32 s22, ttmp9, s22
	v_cmp_lt_u32_e64 s0, 1, v233
	s_add_co_i32 s1, s1, s22
	s_cmp_eq_u32 s34, 0
	v_add_lshl_u32 v18, v1, v0, 4
	s_cselect_b32 s22, ttmp9, s1
	s_mov_b32 s23, exec_lo
	s_lshl_b32 s33, s22, 1
	s_delay_alu instid0(VALU_DEP_1)
	v_add_nc_u32_e32 v0, 0x604, v18
	v_add_nc_u32_e32 v1, 0x400, v18
	ds_store_2addr_b32 v0, v71, v71 offset1:1
	ds_store_2addr_b32 v1, v71, v71 offset0:128 offset1:131
	v_cmpx_gt_u32_e32 2, v233
	s_cbranch_execz .LBB19_13
; %bb.3:
	v_dual_add_nc_u32 v4, v234, v236 :: v_dual_bitop2_b32 v0, s33, v233 bitop3:0x54
	s_mov_b32 s1, exec_lo
	s_delay_alu instid0(VALU_DEP_1)
	v_cmpx_le_i32_e64 s24, v0
	s_xor_b32 s1, exec_lo, s1
	s_cbranch_execz .LBB19_7
; %bb.4:
	v_mov_b32_e32 v0, 0
	s_mov_b32 s29, exec_lo
	ds_store_b32 v4, v0
	v_cmpx_gt_u32_e32 4, v232
; %bb.5:
	v_mov_b64_e32 v[0:1], 0
	v_add_nc_u32_e32 v2, v4, v236
	ds_store_b64 v2, v[0:1] offset:128
; %bb.6:
	s_or_b32 exec_lo, exec_lo, s29
                                        ; implicit-def: $vgpr4
.LBB19_7:
	s_and_not1_saveexec_b32 s1, s1
	s_cbranch_execz .LBB19_13
; %bb.8:
	s_load_b96 s[40:42], s[2:3], 0x70
	s_wait_kmcnt 0x0
	v_mul_lo_u32 v0, s40, v233
	s_mul_i32 s1, s26, s42
	s_mul_i32 s29, s40, s33
	;; [unrolled: 1-line block ×3, first 2 shown]
	s_add_co_i32 s1, s1, s29
	s_delay_alu instid0(SALU_CYCLE_1) | instskip(NEXT) | instid1(SALU_CYCLE_1)
	s_add_co_i32 s40, s1, s40
	s_ashr_i32 s41, s40, 31
	s_delay_alu instid0(SALU_CYCLE_1) | instskip(NEXT) | instid1(VALU_DEP_1)
	s_add_nc_u64 s[4:5], s[4:5], s[40:41]
	v_ashrrev_i32_e32 v1, 31, v0
	s_delay_alu instid0(VALU_DEP_1) | instskip(SKIP_1) | instid1(VALU_DEP_1)
	v_add_nc_u64_e32 v[2:3], s[4:5], v[0:1]
	v_dual_mov_b32 v1, 0 :: v_dual_lshlrev_b32 v0, 2, v236
	v_add_nc_u64_e32 v[2:3], v[2:3], v[0:1]
	v_mbcnt_lo_u32_b32 v0, -1, 0
	s_delay_alu instid0(VALU_DEP_1) | instskip(SKIP_4) | instid1(VALU_DEP_1)
	v_xor_b32_e32 v5, 4, v0
	global_load_b128 v[10:13], v[2:3], off
	v_cmp_gt_i32_e32 vcc_lo, 32, v5
	v_cndmask_b32_e32 v5, v0, v5, vcc_lo
	s_wait_loadcnt 0x0
	v_dual_mul_f32 v8, s20, v12 :: v_dual_lshlrev_b32 v5, 2, v5
	v_dual_mov_b32 v2, v13 :: v_dual_mov_b32 v3, v11
	v_dual_mul_f32 v6, s20, v10 :: v_dual_bitop2_b32 v13, 1, v0 bitop3:0x14
	s_delay_alu instid0(VALU_DEP_2) | instskip(NEXT) | instid1(VALU_DEP_1)
	v_pk_mul_f32 v[2:3], s[20:21], v[2:3] op_sel_hi:[0,1]
	v_max_num_f32_e64 v7, |v6|, |v3|
	v_fma_f32 v10, s20, v10, v3
	s_delay_alu instid0(VALU_DEP_2) | instskip(NEXT) | instid1(VALU_DEP_2)
	v_max3_num_f32 v7, v7, |v8|, |v2|
	v_fmac_f32_e32 v10, s20, v12
	s_mov_b32 s20, exec_lo
	ds_bpermute_b32 v9, v5, v7
	s_wait_dscnt 0x0
	v_dual_max_num_f32 v9, v9, v9 :: v_dual_bitop2_b32 v11, 2, v0 bitop3:0x14
	s_delay_alu instid0(VALU_DEP_1) | instskip(NEXT) | instid1(VALU_DEP_2)
	v_cmp_gt_i32_e32 vcc_lo, 32, v11
	v_dual_max_num_f32 v7, v7, v9 :: v_dual_cndmask_b32 v11, v0, v11, vcc_lo
	v_cmp_gt_i32_e32 vcc_lo, 32, v13
	s_delay_alu instid0(VALU_DEP_2) | instskip(SKIP_3) | instid1(VALU_DEP_1)
	v_dual_cndmask_b32 v0, v0, v13 :: v_dual_lshlrev_b32 v11, 2, v11
	ds_bpermute_b32 v9, v11, v7
	s_wait_dscnt 0x0
	v_dual_max_num_f32 v9, v9, v9 :: v_dual_lshlrev_b32 v0, 2, v0
	v_max_num_f32_e32 v7, v7, v9
	ds_bpermute_b32 v9, v0, v7
	s_wait_dscnt 0x0
	v_dual_add_f32 v10, v10, v2 :: v_dual_max_num_f32 v9, v9, v9
	ds_bpermute_b32 v5, v5, v10
	v_max_num_f32_e32 v9, v7, v9
	s_delay_alu instid0(VALU_DEP_1) | instskip(NEXT) | instid1(VALU_DEP_1)
	v_div_scale_f32 v12, null, 0x42fe0000, 0x42fe0000, v9
	v_rcp_f32_e32 v13, v12
	s_wait_dscnt 0x0
	v_add_f32_e32 v5, v10, v5
	s_delay_alu instid0(TRANS32_DEP_1) | instskip(SKIP_4) | instid1(VALU_DEP_1)
	v_fma_f32 v7, -v12, v13, 1.0
	ds_bpermute_b32 v10, v11, v5
	v_fmac_f32_e32 v13, v7, v13
	v_div_scale_f32 v11, vcc_lo, v9, 0x42fe0000, v9
	s_wait_dscnt 0x0
	v_dual_add_f32 v5, v5, v10 :: v_dual_mul_f32 v14, v11, v13
	s_delay_alu instid0(VALU_DEP_1) | instskip(NEXT) | instid1(VALU_DEP_1)
	v_fma_f32 v7, -v12, v14, v11
	v_fmac_f32_e32 v14, v7, v13
	ds_bpermute_b32 v7, v0, v5
	v_fma_f32 v0, -v12, v14, v11
	s_delay_alu instid0(VALU_DEP_1) | instskip(NEXT) | instid1(VALU_DEP_1)
	v_div_fmas_f32 v0, v0, v13, v14
	v_div_fixup_f32 v0, v0, 0x42fe0000, v9
	s_delay_alu instid0(VALU_DEP_1)
	v_cmpx_neq_f32_e32 0, v0
	s_cbranch_execz .LBB19_10
; %bb.9:
	v_div_scale_f32 v1, null, v0, v0, v6
	v_div_scale_f32 v9, null, v0, v0, v2
	v_div_scale_f32 v11, null, v0, v0, v3
	s_delay_alu instid0(VALU_DEP_3) | instskip(NEXT) | instid1(VALU_DEP_2)
	v_rcp_f32_e32 v10, v1
	v_rcp_f32_e32 v12, v9
	v_div_scale_f32 v13, null, v0, v0, v8
	s_delay_alu instid0(VALU_DEP_2) | instskip(SKIP_1) | instid1(TRANS32_DEP_3)
	v_rcp_f32_e32 v16, v11
	v_div_scale_f32 v15, vcc_lo, v6, v0, v6
	v_fma_f32 v14, -v1, v10, 1.0
	s_delay_alu instid0(TRANS32_DEP_2) | instskip(SKIP_2) | instid1(VALU_DEP_2)
	v_fma_f32 v17, -v9, v12, 1.0
	v_rcp_f32_e32 v19, v13
	v_div_scale_f32 v23, s4, v3, v0, v3
	v_dual_fmac_f32 v10, v14, v10 :: v_dual_fmac_f32 v12, v17, v12
	v_div_scale_f32 v14, s1, v2, v0, v2
	v_fma_f32 v17, -v11, v16, 1.0
	s_delay_alu instid0(TRANS32_DEP_1) | instskip(NEXT) | instid1(VALU_DEP_3)
	v_fma_f32 v20, -v13, v19, 1.0
	v_dual_mul_f32 v21, v15, v10 :: v_dual_mul_f32 v22, v14, v12
	s_delay_alu instid0(VALU_DEP_2) | instskip(NEXT) | instid1(VALU_DEP_2)
	v_dual_fmac_f32 v16, v17, v16 :: v_dual_fmac_f32 v19, v20, v19
	v_fma_f32 v17, -v1, v21, v15
	v_div_scale_f32 v20, s5, v8, v0, v8
	s_delay_alu instid0(VALU_DEP_3) | instskip(NEXT) | instid1(VALU_DEP_2)
	v_dual_fma_f32 v24, -v9, v22, v14 :: v_dual_mul_f32 v25, v23, v16
	v_dual_fmac_f32 v21, v17, v10 :: v_dual_mul_f32 v17, v20, v19
	s_delay_alu instid0(VALU_DEP_2) | instskip(NEXT) | instid1(VALU_DEP_1)
	v_dual_fmac_f32 v22, v24, v12 :: v_dual_fma_f32 v24, -v11, v25, v23
	v_fma_f32 v9, -v9, v22, v14
	s_delay_alu instid0(VALU_DEP_3) | instskip(NEXT) | instid1(VALU_DEP_3)
	v_fma_f32 v14, -v13, v17, v20
	v_dual_fma_f32 v1, -v1, v21, v15 :: v_dual_fmac_f32 v25, v24, v16
	s_delay_alu instid0(VALU_DEP_2) | instskip(NEXT) | instid1(VALU_DEP_2)
	v_fmac_f32_e32 v17, v14, v19
	v_div_fmas_f32 v1, v1, v10, v21
	s_delay_alu instid0(VALU_DEP_3) | instskip(SKIP_1) | instid1(VALU_DEP_3)
	v_fma_f32 v10, -v11, v25, v23
	s_mov_b32 vcc_lo, s1
	v_fma_f32 v11, -v13, v17, v20
	v_div_fmas_f32 v9, v9, v12, v22
	s_mov_b32 vcc_lo, s4
	v_div_fixup_f32 v1, v1, v0, v6
	v_div_fmas_f32 v10, v10, v16, v25
	s_mov_b32 vcc_lo, s5
	v_div_fixup_f32 v2, v9, v0, v2
	v_div_fmas_f32 v11, v11, v19, v17
	v_trunc_f32_e32 v13, v1
	v_div_fixup_f32 v3, v10, v0, v3
	s_delay_alu instid0(VALU_DEP_4) | instskip(NEXT) | instid1(VALU_DEP_4)
	v_trunc_f32_e32 v6, v2
	v_div_fixup_f32 v8, v11, v0, v8
	s_delay_alu instid0(VALU_DEP_3) | instskip(NEXT) | instid1(VALU_DEP_3)
	v_trunc_f32_e32 v9, v3
	v_sub_f32_e32 v14, v2, v6
	s_delay_alu instid0(VALU_DEP_3) | instskip(NEXT) | instid1(VALU_DEP_1)
	v_trunc_f32_e32 v10, v8
	v_dual_sub_f32 v12, v3, v9 :: v_dual_sub_f32 v11, v8, v10
	s_delay_alu instid0(VALU_DEP_1) | instskip(NEXT) | instid1(VALU_DEP_1)
	v_cmp_ge_f32_e64 s1, |v11|, 0.5
	v_cndmask_b32_e64 v11, 0, 1.0, s1
	s_delay_alu instid0(VALU_DEP_3) | instskip(NEXT) | instid1(VALU_DEP_2)
	v_cmp_ge_f32_e64 s1, |v12|, 0.5
	v_bfi_b32 v8, 0x7fffffff, v11, v8
	s_delay_alu instid0(VALU_DEP_2) | instskip(SKIP_2) | instid1(VALU_DEP_3)
	v_cndmask_b32_e64 v12, 0, 1.0, s1
	v_sub_f32_e32 v11, v1, v13
	v_cmp_ge_f32_e64 s1, |v14|, 0.5
	v_bfi_b32 v3, 0x7fffffff, v12, v3
	v_add_f32_e32 v8, v10, v8
	s_delay_alu instid0(VALU_DEP_3) | instskip(SKIP_1) | instid1(VALU_DEP_4)
	v_cndmask_b32_e64 v14, 0, 1.0, s1
	v_cmp_ge_f32_e64 s1, |v11|, 0.5
	v_add_f32_e32 v3, v9, v3
	s_delay_alu instid0(VALU_DEP_4) | instskip(NEXT) | instid1(VALU_DEP_4)
	v_cvt_i32_f32_e32 v8, v8
	v_bfi_b32 v2, 0x7fffffff, v14, v2
	s_delay_alu instid0(VALU_DEP_4) | instskip(NEXT) | instid1(VALU_DEP_4)
	v_cndmask_b32_e64 v10, 0, 1.0, s1
	v_cvt_i32_f32_e32 v3, v3
	s_delay_alu instid0(VALU_DEP_2) | instskip(NEXT) | instid1(VALU_DEP_4)
	v_bfi_b32 v1, 0x7fffffff, v10, v1
	v_add_f32_e32 v2, v6, v2
	v_and_b32_e32 v6, 0xff, v8
	s_delay_alu instid0(VALU_DEP_4) | instskip(NEXT) | instid1(VALU_DEP_4)
	v_and_b32_e32 v3, 0xff, v3
	v_add_f32_e32 v1, v13, v1
	s_delay_alu instid0(VALU_DEP_4) | instskip(NEXT) | instid1(VALU_DEP_3)
	v_cvt_i32_f32_e32 v2, v2
	v_dual_lshlrev_b32 v6, 16, v6 :: v_dual_lshlrev_b32 v3, 8, v3
	s_delay_alu instid0(VALU_DEP_3) | instskip(NEXT) | instid1(VALU_DEP_2)
	v_cvt_i32_f32_e32 v1, v1
	v_lshl_or_b32 v2, v2, 24, v6
	s_delay_alu instid0(VALU_DEP_2) | instskip(NEXT) | instid1(VALU_DEP_1)
	v_and_b32_e32 v1, 0xff, v1
	v_or3_b32 v1, v2, v3, v1
.LBB19_10:
	s_or_b32 exec_lo, exec_lo, s20
	v_and_b32_e32 v2, 7, v232
	s_mov_b32 s1, exec_lo
	ds_store_b32 v4, v1
	v_cmpx_eq_u32_e32 0, v2
	s_cbranch_execz .LBB19_12
; %bb.11:
	s_wait_dscnt 0x1
	v_dual_add_f32 v1, v5, v7 :: v_dual_add_nc_u32 v2, v234, v232
	ds_store_b64 v2, v[0:1] offset:128
.LBB19_12:
	s_or_b32 exec_lo, exec_lo, s1
.LBB19_13:
	s_delay_alu instid0(SALU_CYCLE_1) | instskip(SKIP_4) | instid1(VALU_DEP_1)
	s_or_b32 exec_lo, exec_lo, s23
	v_and_b32_e32 v17, 1, v232
	s_wait_dscnt 0x0
	s_barrier_signal -1
	s_barrier_wait -1
	v_lshlrev_b32_e32 v36, 2, v17
	s_wait_kmcnt 0x0
	s_cmp_eq_u64 s[14:15], 0
	s_mov_b32 s29, s36
	ds_load_2addr_b32 v[38:39], v36 offset1:2
	ds_load_2addr_b32 v[40:41], v36 offset0:4 offset1:6
	ds_load_2addr_b32 v[42:43], v36 offset0:8 offset1:10
	;; [unrolled: 1-line block ×3, first 2 shown]
	ds_load_b128 v[0:3], v71 offset:128
	ds_load_b128 v[4:7], v71 offset:144
	ds_load_2addr_b32 v[46:47], v36 offset0:16 offset1:18
	ds_load_2addr_b32 v[48:49], v36 offset0:20 offset1:22
	;; [unrolled: 1-line block ×9, first 2 shown]
	ds_load_b128 v[8:11], v71 offset:384
	ds_load_b128 v[12:15], v71 offset:400
	ds_load_2addr_b32 v[64:65], v36 offset0:84 offset1:86
	ds_load_2addr_b32 v[66:67], v36 offset0:88 offset1:90
	;; [unrolled: 1-line block ×3, first 2 shown]
	s_wait_dscnt 0x0
	s_barrier_signal -1
	s_barrier_wait -1
	s_cbranch_scc1 .LBB19_15
; %bb.14:
	s_load_b32 s1, s[2:3], 0xd0
	s_wait_kmcnt 0x0
	s_mul_i32 s1, s1, s26
	s_delay_alu instid0(SALU_CYCLE_1)
	s_add_co_i32 s1, s1, s22
	s_load_b32 s29, s[14:15], s1 offset:0x0 scale_offset
.LBB19_15:
	v_lshlrev_b32_e32 v16, 5, v233
	s_wait_xcnt 0x0
	s_bfe_u32 s1, ttmp6, 0x40010
	s_and_b32 s4, ttmp7, 0xffff
	s_add_co_i32 s1, s1, 1
	s_bfe_u32 s5, ttmp6, 0x40004
	s_mul_i32 s1, s4, s1
	v_add_nc_u32_e32 v235, v16, v232
	s_add_co_i32 s5, s5, s1
	s_cmp_eq_u32 s34, 0
	v_add_nc_u32_e32 v238, 0x600, v18
	s_cselect_b32 s48, s4, s5
	v_mbcnt_lo_u32_b32 v240, -1, 0
	v_lshlrev_b32_e32 v237, 1, v235
	s_lshl_b32 s49, s48, 7
	s_mov_b32 s5, 0
	s_wait_kmcnt 0x0
	s_cmp_ge_i32 s49, s29
	s_cbranch_scc1 .LBB19_27
; %bb.16:
	s_clause 0x1
	s_load_b128 s[20:23], s[2:3], 0x98
	s_load_b64 s[44:45], s[2:3], 0x8c
	v_dual_mov_b32 v37, 0 :: v_dual_bitop2_b32 v18, 12, v236 bitop3:0x40
	v_bfe_u32 v21, v232, 3, 27
	v_dual_add_nc_u32 v25, 31, v16 :: v_dual_add_nc_u32 v27, 30, v16
	s_mul_f32 s15, s39, 0x4f7ffffe
	s_mul_f32 s40, s38, 0x4f7ffffe
	s_delay_alu instid0(VALU_DEP_2)
	v_mul_hi_u32_u24_e32 v23, 22, v21
	v_mul_u32_u24_e32 v22, 22, v21
	s_clause 0x2
	s_load_b64 s[42:43], s[2:3], 0xa8
	s_load_b64 s[38:39], s[2:3], 0xc8
	s_load_b32 s50, s[2:3], 0xd4
	s_cvt_u32_f32 s15, s15
	s_sub_co_i32 s4, 0, s37
	s_ashr_i32 s46, s28, 31
	s_ashr_i32 s47, s27, 31
	s_mul_i32 s4, s4, s15
	s_xor_b32 s47, s46, s47
	s_cvt_u32_f32 s46, s40
	s_sub_co_i32 s1, 0, s30
	s_wait_kmcnt 0x0
	v_mul_lo_u32 v20, v16, s22
	v_mov_b32_e32 v19, v37
	v_mul_lo_u32 v32, s22, v25
	s_mul_hi_u32 s4, s15, s4
	v_mul_lo_u32 v70, s22, v27
	s_abs_i32 s34, s28
	s_mov_b32 s41, s35
	s_mul_i32 s1, s1, s46
	s_add_co_i32 s40, s15, s4
	s_mul_hi_u32 s1, s46, s1
	s_mul_u64 s[40:41], s[34:35], s[40:41]
	v_add_nc_u32_e32 v24, s22, v20
	v_mad_nc_u64_u32 v[22:23], s42, s26, v[22:23]
	s_add_co_i32 s46, s46, s1
	s_mul_i32 s1, s41, s37
	v_dual_add_nc_u32 v71, 29, v16 :: v_dual_add_nc_u32 v87, 28, v16
	v_add_nc_u32_e32 v26, s22, v24
	s_sub_co_i32 s1, s34, s1
	s_abs_i32 s14, s26
	s_ashr_i32 s27, s26, 31
	s_delay_alu instid0(VALU_DEP_1)
	v_dual_ashrrev_i32 v21, 31, v20 :: v_dual_add_nc_u32 v28, s22, v26
	s_add_co_i32 s4, s41, 1
	s_sub_co_i32 s15, s1, s37
	s_cmp_ge_u32 s1, s37
	v_mul_lo_u32 v90, s22, v71
	v_add_nc_u32_e32 v30, s22, v28
	s_cselect_b32 s4, s4, s41
	s_mul_i32 s34, s43, s26
	s_mul_i32 s40, s42, s27
	s_cselect_b32 s1, s15, s1
	v_add_nc_u32_e32 v34, s22, v30
	s_add_co_i32 s15, s4, 1
	s_cmp_ge_u32 s1, s37
	v_add3_u32 v23, s40, s34, v23
	s_cselect_b32 s1, s15, s4
	v_add_nc_u32_e32 v72, s22, v34
	s_xor_b32 s1, s1, s47
	v_mul_lo_u32 v92, s22, v87
	v_add_nc_u64_e32 v[18:19], v[22:23], v[18:19]
	s_delay_alu instid0(VALU_DEP_3) | instskip(SKIP_3) | instid1(VALU_DEP_3)
	v_dual_ashrrev_i32 v27, 31, v26 :: v_dual_add_nc_u32 v74, s22, v72
	v_ashrrev_i32_e32 v33, 31, v32
	s_sub_co_i32 s1, s1, s47
	v_dual_ashrrev_i32 v91, 31, v90 :: v_dual_add_nc_u32 v98, 27, v16
	v_add_nc_u32_e32 v76, s22, v74
	s_mul_i32 s40, s1, s23
	v_add_nc_u32_e32 v99, 25, v16
	s_ashr_i32 s41, s40, 31
	s_delay_alu instid0(VALU_DEP_2)
	v_dual_ashrrev_i32 v31, 31, v30 :: v_dual_add_nc_u32 v82, s22, v76
	v_ashrrev_i32_e32 v25, 31, v24
	v_add_nc_u64_e32 v[78:79], s[40:41], v[22:23]
	v_add_nc_u64_e32 v[80:81], s[40:41], v[18:19]
	v_mul_lo_u32 v98, s22, v98
	v_add_nc_u32_e32 v84, s22, v82
	s_mov_b32 s15, s35
	s_mov_b32 s47, s35
	v_dual_add_nc_u32 v127, 21, v16 :: v_dual_ashrrev_i32 v83, 31, v82
	s_delay_alu instid0(VALU_DEP_2) | instskip(SKIP_3) | instid1(VALU_DEP_4)
	v_add_nc_u32_e32 v86, s22, v84
	v_ashrrev_i32_e32 v77, 31, v76
	v_add_nc_u64_e32 v[106:107], v[80:81], v[90:91]
	v_add_nc_u64_e32 v[116:117], v[78:79], v[90:91]
	v_dual_add_nc_u32 v91, 26, v16 :: v_dual_add_nc_u32 v88, s22, v86
	s_mul_u64 s[34:35], s[14:15], s[46:47]
	s_mul_i32 s42, s1, s45
	s_mul_i32 s4, s35, s30
	s_delay_alu instid0(VALU_DEP_1) | instskip(SKIP_3) | instid1(VALU_DEP_3)
	v_dual_ashrrev_i32 v87, 31, v86 :: v_dual_add_nc_u32 v94, s22, v88
	v_ashrrev_i32_e32 v89, 31, v88
	v_mul_lo_u32 v108, s22, v91
	s_sub_co_i32 s1, s14, s4
	v_dual_ashrrev_i32 v93, 31, v92 :: v_dual_ashrrev_i32 v95, 31, v94
	v_add_nc_u32_e32 v96, s22, v94
	s_ashr_i32 s43, s42, 31
	s_sub_co_i32 s4, s1, s30
	s_delay_alu instid0(VALU_DEP_2)
	v_add_nc_u64_e32 v[110:111], v[80:81], v[92:93]
	v_add_nc_u64_e32 v[120:121], v[78:79], v[92:93]
	v_dual_ashrrev_i32 v97, 31, v96 :: v_dual_add_nc_u32 v104, s22, v96
	v_mul_lo_u32 v92, s22, v99
	v_ashrrev_i32_e32 v99, 31, v98
	s_cmp_ge_u32 s1, s30
	v_dual_ashrrev_i32 v73, 31, v72 :: v_dual_ashrrev_i32 v75, 31, v74
	v_add_nc_u32_e32 v90, s22, v104
	s_delay_alu instid0(VALU_DEP_3) | instskip(SKIP_2) | instid1(VALU_DEP_4)
	v_add_nc_u64_e32 v[118:119], v[80:81], v[98:99]
	v_add_nc_u64_e32 v[124:125], v[78:79], v[98:99]
	v_dual_add_nc_u32 v98, 23, v16 :: v_dual_add_nc_u32 v99, 22, v16
	v_dual_add_nc_u32 v105, 24, v16 :: v_dual_add_nc_u32 v114, s22, v90
	v_ashrrev_i32_e32 v109, 31, v108
	s_delay_alu instid0(VALU_DEP_3)
	v_mul_lo_u32 v98, s22, v98
	v_ashrrev_i32_e32 v93, 31, v92
	v_mul_lo_u32 v126, s22, v99
	v_dual_ashrrev_i32 v115, 31, v114 :: v_dual_add_nc_u32 v99, 20, v16
	v_add_nc_u64_e32 v[122:123], v[80:81], v[108:109]
	v_add_nc_u64_e32 v[128:129], v[78:79], v[108:109]
	;; [unrolled: 1-line block ×3, first 2 shown]
	v_add_nc_u32_e32 v109, 19, v16
	v_add_nc_u64_e32 v[132:133], v[78:79], v[92:93]
	v_mul_lo_u32 v92, s22, v99
	v_ashrrev_i32_e32 v99, 31, v98
	s_cselect_b32 s1, s4, s1
	v_add_nc_u64_e32 v[188:189], v[80:81], v[86:87]
	s_sub_co_i32 s4, s1, s30
	s_cmp_ge_u32 s1, s30
	v_add_nc_u64_e32 v[140:141], v[80:81], v[98:99]
	v_add_nc_u64_e32 v[142:143], v[78:79], v[98:99]
	v_add_nc_u32_e32 v98, s22, v114
	v_mul_lo_u32 v136, s22, v109
	s_cselect_b32 s1, s4, s1
	v_add_nc_u64_e32 v[190:191], v[78:79], v[86:87]
	s_xor_b32 s4, s1, s27
	v_cmp_eq_u32_e64 s1, 0, v17
	v_and_b32_e32 v17, 0x7e, v232
	v_add_nc_u64_e32 v[208:209], v[80:81], v[72:73]
	v_add_nc_u64_e32 v[210:211], v[78:79], v[72:73]
	;; [unrolled: 1-line block ×4, first 2 shown]
	v_dual_add_nc_u32 v86, v16, v17 :: v_dual_ashrrev_i32 v137, 31, v136
	v_and_b32_e32 v72, 30, v240
	v_add_nc_u64_e32 v[204:205], v[80:81], v[74:75]
	v_add_nc_u64_e32 v[206:207], v[78:79], v[74:75]
	s_delay_alu instid0(VALU_DEP_4) | instskip(NEXT) | instid1(VALU_DEP_4)
	v_dual_add_nc_u32 v88, s36, v86 :: v_dual_bitop2_b32 v17, 2, v240 bitop3:0x14
	v_add_nc_u32_e32 v72, 2, v72
	v_xor_b32_e32 v74, 16, v240
	v_xor_b32_e32 v73, 1, v240
	v_mul_lo_u32 v112, s22, v105
	v_dual_ashrrev_i32 v105, 31, v104 :: v_dual_ashrrev_i32 v91, 31, v90
	s_sub_co_i32 s34, s4, s27
	s_delay_alu instid0(VALU_DEP_3) | instskip(SKIP_1) | instid1(VALU_DEP_3)
	v_cmp_lt_i32_e32 vcc_lo, v73, v72
	v_ashrrev_i32_e32 v93, 31, v92
	v_add_nc_u64_e32 v[172:173], v[80:81], v[104:105]
	v_add_nc_u64_e32 v[174:175], v[78:79], v[104:105]
	v_mul_lo_u32 v104, v86, s44
	v_cndmask_b32_e32 v72, v240, v73, vcc_lo
	v_cmp_gt_i32_e32 vcc_lo, 32, v17
	s_mul_i32 s14, s31, s33
	s_ashr_i32 s35, s34, 31
	s_ashr_i32 s15, s14, 31
	s_cmp_lg_u64 s[10:11], 0
	v_cndmask_b32_e32 v17, v240, v17, vcc_lo
	v_add_nc_u64_e32 v[168:169], v[80:81], v[90:91]
	v_add_nc_u64_e32 v[170:171], v[78:79], v[90:91]
	s_cselect_b32 s45, -1, 0
	s_lshl_b32 s30, s50, 7
	v_dual_ashrrev_i32 v105, 31, v104 :: v_dual_add_nc_u32 v90, s44, v104
	s_mul_u64 s[46:47], s[20:21], s[26:27]
	s_cmp_lt_i32 s33, s24
	v_lshlrev_b32_e32 v241, 2, v72
	s_cselect_b32 s27, -1, 0
	v_dual_lshlrev_b32 v242, 2, v17 :: v_dual_bitop2_b32 v72, 4, v240 bitop3:0x14
	v_lshlrev_b32_e32 v246, 1, v16
	v_add_nc_u64_e32 v[16:17], s[46:47], v[36:37]
	s_or_b32 s31, s33, 1
	v_dual_ashrrev_i32 v85, 31, v84 :: v_dual_ashrrev_i32 v71, 31, v70
	s_and_b32 s27, s45, s27
	v_dual_ashrrev_i32 v89, 31, v88 :: v_dual_ashrrev_i32 v91, 31, v90
	v_mov_b32_e32 v87, v37
	s_cmp_lt_i32 s31, s24
	v_mul_lo_u32 v108, s22, v127
	s_cselect_b32 s50, -1, 0
	s_ashr_i32 s37, s36, 31
	s_mul_u64 s[38:39], s[38:39], s[34:35]
	s_lshl_b32 s54, s49, 1
	s_mov_b32 s55, s5
	v_add_nc_u64_e32 v[18:19], v[18:19], v[20:21]
	v_add_nc_u64_e32 v[152:153], v[80:81], v[92:93]
	;; [unrolled: 1-line block ×7, first 2 shown]
	v_lshlrev_b32_e32 v86, 1, v86
	v_add_nc_u64_e32 v[16:17], s[42:43], v[16:17]
	s_add_nc_u64 s[56:57], s[38:39], s[54:55]
	s_add_nc_u64 s[36:37], s[10:11], s[54:55]
	;; [unrolled: 1-line block ×3, first 2 shown]
	v_add_nc_u64_e32 v[180:181], v[80:81], v[94:95]
	v_add_nc_u64_e32 v[182:183], v[78:79], v[94:95]
	v_add_nc_u64_e32 v[94:95], s[10:11], v[86:87]
	s_add_nc_u64 s[10:11], s[8:9], s[40:41]
	v_add_nc_u64_e32 v[22:23], v[22:23], v[20:21]
	v_add_nc_u64_e32 v[20:21], v[78:79], v[24:25]
	;; [unrolled: 1-line block ×7, first 2 shown]
	v_dual_ashrrev_i32 v109, 31, v108 :: v_dual_ashrrev_i32 v99, 31, v98
	s_add_nc_u64 s[52:53], s[6:7], s[42:43]
	v_add_nc_u64_e32 v[176:177], v[80:81], v[96:97]
	v_add_nc_u64_e32 v[178:179], v[78:79], v[96:97]
	v_add_nc_u64_e32 v[96:97], s[6:7], v[16:17]
	v_add_nc_u64_e32 v[160:161], v[80:81], v[98:99]
	v_add_nc_u64_e32 v[162:163], v[78:79], v[98:99]
	v_add_nc_u64_e32 v[98:99], 6, v[18:19]
	v_add_nc_u64_e32 v[16:17], s[8:9], v[24:25]
	v_add_nc_u64_e32 v[18:19], s[8:9], v[100:101]
	v_add_nc_u64_e32 v[100:101], s[8:9], v[20:21]
	v_add_nc_u64_e32 v[20:21], s[8:9], v[102:103]
	v_add_nc_u64_e32 v[84:85], s[52:53], v[84:85]
	s_add_nc_u64 s[52:53], s[52:53], s[46:47]
	v_dual_ashrrev_i32 v113, 31, v112 :: v_dual_ashrrev_i32 v127, 31, v126
	v_add_nc_u64_e32 v[86:87], s[52:53], v[90:91]
	v_add_nc_u64_e32 v[90:91], 2, v[94:95]
	;; [unrolled: 1-line block ×3, first 2 shown]
	s_add_nc_u64 s[10:11], s[46:47], s[42:43]
	v_add_nc_u64_e32 v[134:135], v[80:81], v[112:113]
	s_add_nc_u64 s[6:7], s[6:7], s[10:11]
	v_add_nc_u64_e32 v[148:149], v[80:81], v[108:109]
	v_add_nc_u64_e32 v[102:103], s[6:7], v[104:105]
	;; [unrolled: 1-line block ×45, first 2 shown]
	v_cmp_gt_i32_e32 vcc_lo, 32, v72
	v_add_nc_u64_e32 v[170:171], 6, v[20:21]
	v_add_nc_u64_e32 v[20:21], s[8:9], v[184:185]
	;; [unrolled: 1-line block ×11, first 2 shown]
	v_xor_b32_e32 v73, 8, v240
	v_cndmask_b32_e32 v72, v240, v72, vcc_lo
	v_dual_ashrrev_i32 v29, 31, v28 :: v_dual_ashrrev_i32 v35, 31, v34
	v_add_nc_u64_e32 v[160:161], s[8:9], v[162:163]
	v_add_nc_u64_e32 v[162:163], 6, v[16:17]
	s_delay_alu instid0(VALU_DEP_4)
	v_dual_add_f32 v72, v15, v15 :: v_dual_lshlrev_b32 v243, 2, v72
	v_cmp_gt_i32_e32 vcc_lo, 32, v73
	v_add_nc_u64_e32 v[16:17], s[8:9], v[176:177]
	v_add_nc_u64_e32 v[216:217], v[80:81], v[28:29]
	;; [unrolled: 1-line block ×9, first 2 shown]
	v_cndmask_b32_e32 v73, v240, v73, vcc_lo
	v_add_nc_u64_e32 v[200:201], v[80:81], v[76:77]
	v_add_nc_u64_e32 v[172:173], s[8:9], v[174:175]
	;; [unrolled: 1-line block ×11, first 2 shown]
	v_lshlrev_b32_e32 v244, 2, v73
	v_cmp_gt_i32_e32 vcc_lo, 32, v74
	v_add_nc_u64_e32 v[198:199], v[78:79], v[82:83]
	v_add_nc_u64_e32 v[202:203], v[78:79], v[76:77]
	;; [unrolled: 1-line block ×7, first 2 shown]
	v_cndmask_b32_e32 v74, v240, v74, vcc_lo
	v_add_nc_u64_e32 v[218:219], 6, v[20:21]
	v_add_nc_u64_e32 v[222:223], 6, v[22:23]
	ds_load_b128 v[20:23], v238
	v_add_nc_u64_e32 v[32:33], v[78:79], v[32:33]
	v_add_nc_u64_e32 v[70:71], v[78:79], v[70:71]
	;; [unrolled: 1-line block ×6, first 2 shown]
	v_dual_add_f32 v74, v13, v13 :: v_dual_lshlrev_b32 v245, 2, v74
	v_dual_mov_b32 v13, v12 :: v_dual_add_f32 v76, v11, v11
	v_add_f32_e32 v78, v7, v7
	s_add_nc_u64 s[36:37], s[36:37], s[38:39]
	v_add_nc_u64_e32 v[196:197], s[8:9], v[198:199]
	v_add_nc_u64_e32 v[198:199], 6, v[16:17]
	;; [unrolled: 1-line block ×6, first 2 shown]
	v_lshl_add_u64 v[92:93], v[92:93], 1, s[36:37]
	v_dual_mov_b32 v77, v76 :: v_dual_mov_b32 v7, v6
	v_dual_add_f32 v80, v5, v5 :: v_dual_mov_b32 v79, v78
	v_dual_add_f32 v82, v3, v3 :: v_dual_bitop2_b32 v247, 28, v236 bitop3:0x40
	v_add_f32_e32 v1, v1, v1
	v_add_nc_u64_e32 v[92:93], 2, v[92:93]
	v_add_nc_u64_e32 v[108:109], s[8:9], v[32:33]
	;; [unrolled: 1-line block ×15, first 2 shown]
	v_dual_mov_b32 v15, v14 :: v_dual_mov_b32 v73, v72
	v_dual_mov_b32 v75, v74 :: v_dual_mov_b32 v11, v10
	v_dual_mov_b32 v5, v4 :: v_dual_mov_b32 v81, v80
	v_dual_mov_b32 v3, v2 :: v_dual_mov_b32 v83, v82
	v_lshl_add_u64 v[88:89], v[88:89], 1, s[36:37]
	v_dual_mov_b32 v70, v37 :: v_dual_mov_b32 v71, v37
	v_dual_add_f32 v9, v9, v9 :: v_dual_bitop2_b32 v248, 8, v36 bitop3:0x54
	v_dual_mov_b32 v226, v37 :: v_dual_bitop2_b32 v249, 16, v36 bitop3:0x54
	v_or_b32_e32 v250, 24, v36
	v_and_b32_e32 v251, 4, v232
	v_or_b32_e32 v252, 1, v247
	v_or_b32_e32 v253, 2, v247
	;; [unrolled: 1-line block ×3, first 2 shown]
	v_dual_mov_b32 v29, 0xfeffffff :: v_dual_mov_b32 v28, 0xfeffffff
	s_mov_b32 s31, s5
	s_mul_i32 s4, s22, s49
	s_mul_i32 s20, s44, s49
	s_mov_b32 s21, s5
	s_mul_i32 s34, s30, s44
	s_mov_b32 s35, s5
	;; [unrolled: 2-line block ×3, first 2 shown]
	s_and_b32 s8, s45, s50
	s_lshl_b64 s[6:7], s[30:31], 1
.LBB19_17:                              ; =>This Inner Loop Header: Depth=1
	v_add_nc_u64_e32 v[16:17], s[20:21], v[102:103]
	v_add_nc_u64_e32 v[24:25], s[20:21], v[96:97]
	s_and_b32 vcc_lo, exec_lo, s27
	global_load_b32 v18, v[16:17], off offset:2
	s_clause 0x1
	global_load_b32 v26, v[24:25], off offset:6
	global_load_b32 v27, v[24:25], off offset:14
	;; [unrolled: 1-line block ×4, first 2 shown]
	global_load_u16 v32, v[16:17], off offset:22
	global_load_b32 v33, v[24:25], off offset:36
	global_load_b32 v34, v[16:17], off offset:46
	global_load_b32 v35, v[24:25], off offset:50
	global_load_u16 v37, v[16:17], off offset:44
	global_load_b32 v227, v[24:25], off offset:58
	global_load_b32 v228, v[16:17], off offset:68
	s_clause 0x1
	global_load_b32 v229, v[24:25], off offset:72
	global_load_b32 v230, v[24:25], off offset:80
	s_clause 0x2
	global_load_u16 v19, v[16:17], off
	; meta instruction
	s_set_vgpr_msb 64                       ;  msbs: dst=1 src0=0 src1=0 src2=0
	global_load_u16 v6 /*v262*/, v[16:17], off offset:66
	s_wait_loadcnt 0xf
	s_wait_xcnt 0x0
	s_set_vgpr_msb 0                        ;  msbs: dst=0 src0=0 src1=0 src2=0
	v_dual_ashrrev_i32 v16, v36, v18 :: v_dual_ashrrev_i32 v255, v249, v18
	v_ashrrev_i32_e32 v25, v248, v18
	s_wait_loadcnt 0xd
	v_and_b32_e32 v231, 0xf0f0f0f, v27
	v_lshrrev_b32_e32 v27, 4, v27
	s_set_vgpr_msb 64                       ;  msbs: dst=1 src0=0 src1=0 src2=0
	v_dual_ashrrev_i32 v0 /*v256*/, v250, v18 :: v_dual_lshlrev_b32 v15 /*v271*/, 4, v16
	v_dual_lshlrev_b32 v16 /*v272*/, 11, v16 :: v_dual_lshlrev_b32 v17 /*v273*/, 18, v16
	v_lshlrev_b32_e32 v18 /*v274*/, 4, v25
	s_set_vgpr_msb 0                        ;  msbs: dst=0 src0=0 src1=0 src2=0
	v_lshlrev_b32_e32 v16, 25, v16
	v_and_b32_e32 v17, 0xf0f0f0f, v26
	v_lshrrev_b32_e32 v26, 4, v26
	s_wait_loadcnt 0xc
	s_set_vgpr_msb 64                       ;  msbs: dst=1 src0=0 src1=0 src2=0
	v_dual_ashrrev_i32 v1 /*v257*/, v36, v30 :: v_dual_ashrrev_i32 v4 /*v260*/, v249, v30
	s_wait_loadcnt 0xa
	s_set_vgpr_msb 0                        ;  msbs: dst=0 src0=0 src1=0 src2=0
	v_cvt_f32_f16_e32 v24, v32
	v_ashrrev_i32_e32 v32, v248, v30
	s_wait_loadcnt 0x9
	s_set_vgpr_msb 64                       ;  msbs: dst=1 src0=0 src1=0 src2=0
	v_and_b32_e32 v3 /*v259*/, 0xf0f0f0f, v33
	s_set_vgpr_msb 0                        ;  msbs: dst=0 src0=0 src1=0 src2=0
	v_lshrrev_b32_e32 v33, 4, v33
	s_wait_loadcnt 0x4
	s_set_vgpr_msb 64                       ;  msbs: dst=1 src0=0 src1=0 src2=0
	v_dual_ashrrev_i32 v10 /*v266*/, v36, v228 :: v_dual_lshlrev_b32 v19 /*v275*/, 11, v25
	v_lshlrev_b32_e32 v20 /*v276*/, 18, v25
	s_set_vgpr_msb 0                        ;  msbs: dst=0 src0=0 src1=0 src2=0
	v_lshlrev_b32_e32 v25, 25, v25
	s_set_vgpr_msb 64                       ;  msbs: dst=1 src0=0 src1=0 src2=0
	v_dual_lshlrev_b32 v21 /*v277*/, 4, v255 :: v_dual_lshlrev_b32 v22 /*v278*/, 11, v255
	v_dual_lshlrev_b32 v23 /*v279*/, 18, v255 :: v_dual_lshlrev_b32 v30 /*v286*/, 4, v32
	s_set_vgpr_msb 0                        ;  msbs: dst=0 src0=0 src1=0 src2=0
	v_lshlrev_b32_e32 v255, 25, v255
	s_set_vgpr_msb 0x44                     ;  msbs: dst=1 src0=0 src1=1 src2=0
	v_dual_lshlrev_b32 v24 /*v280*/, 4, v0 /*v256*/ :: v_dual_lshlrev_b32 v25 /*v281*/, 11, v0 /*v256*/
	v_dual_lshlrev_b32 v26 /*v282*/, 18, v0 /*v256*/ :: v_dual_lshlrev_b32 v0 /*v256*/, 25, v0 /*v256*/
	v_and_b32_e32 v17 /*v273*/, 0x100000, v17 /*v273*/
	s_set_vgpr_msb 0                        ;  msbs: dst=0 src0=0 src1=0 src2=0
	v_and_b32_e32 v16, 0x10000000, v16
	s_set_vgpr_msb 64                       ;  msbs: dst=1 src0=0 src1=0 src2=0
	v_and_b32_e32 v2 /*v258*/, 0xf0f0f0f, v31
	s_set_vgpr_msb 0                        ;  msbs: dst=0 src0=0 src1=0 src2=0
	v_dual_lshrrev_b32 v31, 4, v31 :: v_dual_ashrrev_i32 v30, v250, v30
	s_set_vgpr_msb 64                       ;  msbs: dst=1 src0=0 src1=0 src2=0
	v_dual_ashrrev_i32 v5 /*v261*/, v36, v34 :: v_dual_ashrrev_i32 v9 /*v265*/, v249, v34
	s_set_vgpr_msb 0                        ;  msbs: dst=0 src0=0 src1=0 src2=0
	v_cvt_f32_f16_e32 v18, v37
	v_dual_ashrrev_i32 v37, v248, v34 :: v_dual_ashrrev_i32 v34, v250, v34
	s_set_vgpr_msb 64                       ;  msbs: dst=1 src0=0 src1=0 src2=0
	v_dual_ashrrev_i32 v12 /*v268*/, v248, v228 :: v_dual_ashrrev_i32 v14 /*v270*/, v249, v228
	s_set_vgpr_msb 0                        ;  msbs: dst=0 src0=0 src1=0 src2=0
	v_and_b32_e32 v26, 0xf0f0f0f, v26
	s_set_vgpr_msb 0x44                     ;  msbs: dst=1 src0=0 src1=1 src2=0
	v_dual_lshlrev_b32 v27 /*v283*/, 4, v1 /*v257*/ :: v_dual_lshlrev_b32 v28 /*v284*/, 11, v1 /*v257*/
	v_dual_lshlrev_b32 v29 /*v285*/, 18, v1 /*v257*/ :: v_dual_lshlrev_b32 v1 /*v257*/, 25, v1 /*v257*/
	s_set_vgpr_msb 64                       ;  msbs: dst=1 src0=0 src1=0 src2=0
	v_dual_lshlrev_b32 v31 /*v287*/, 11, v32 :: v_dual_lshlrev_b32 v32 /*v288*/, 18, v32
	s_set_vgpr_msb 0                        ;  msbs: dst=0 src0=0 src1=0 src2=0
	v_lshlrev_b32_e32 v32, 25, v32
	s_set_vgpr_msb 0x44                     ;  msbs: dst=1 src0=0 src1=1 src2=0
	v_and_b32_e32 v15 /*v271*/, 16, v15 /*v271*/
	v_and_b32_e32 v16 /*v272*/, 0x1000, v16 /*v272*/
	;; [unrolled: 1-line block ×4, first 2 shown]
	s_set_vgpr_msb 0                        ;  msbs: dst=0 src0=0 src1=0 src2=0
	v_and_b32_e32 v25, 0x10000000, v25
	s_set_vgpr_msb 0x44                     ;  msbs: dst=1 src0=0 src1=1 src2=0
	v_and_b32_e32 v23 /*v279*/, 0x100000, v23 /*v279*/
	s_set_vgpr_msb 0                        ;  msbs: dst=0 src0=0 src1=0 src2=0
	v_and_b32_e32 v255, 0x10000000, v255
	s_set_vgpr_msb 0x44                     ;  msbs: dst=1 src0=0 src1=1 src2=0
	v_and_b32_e32 v24 /*v280*/, 16, v24 /*v280*/
	v_and_b32_e32 v26 /*v282*/, 0x100000, v26 /*v282*/
	;; [unrolled: 1-line block ×3, first 2 shown]
	s_set_vgpr_msb 16                       ;  msbs: dst=0 src0=0 src1=0 src2=1
	v_or3_b32 v16, v16, v17, v17 /*v273*/
	s_set_vgpr_msb 64                       ;  msbs: dst=1 src0=0 src1=0 src2=0
	v_and_b32_e32 v7 /*v263*/, 0xf0f0f0f, v35
	v_and_b32_e32 v8 /*v264*/, 0xf0f0f0f, v227
	s_set_vgpr_msb 0                        ;  msbs: dst=0 src0=0 src1=0 src2=0
	v_lshrrev_b32_e32 v35, 4, v35
	v_lshrrev_b32_e32 v227, 4, v227
	s_wait_loadcnt 0x3
	s_set_vgpr_msb 64                       ;  msbs: dst=1 src0=0 src1=0 src2=0
	v_and_b32_e32 v11 /*v267*/, 0xf0f0f0f, v229
	s_wait_loadcnt 0x2
	v_and_b32_e32 v13 /*v269*/, 0xf0f0f0f, v230
	s_set_vgpr_msb 0                        ;  msbs: dst=0 src0=0 src1=0 src2=0
	v_dual_lshrrev_b32 v229, 4, v229 :: v_dual_lshrrev_b32 v230, 4, v230
	v_ashrrev_i32_e32 v228, v250, v228
	s_set_vgpr_msb 0x44                     ;  msbs: dst=1 src0=0 src1=1 src2=0
	v_dual_lshlrev_b32 v33 /*v289*/, 4, v4 /*v260*/ :: v_dual_lshlrev_b32 v34 /*v290*/, 11, v4 /*v260*/
	v_dual_lshlrev_b32 v35 /*v291*/, 18, v4 /*v260*/ :: v_dual_lshlrev_b32 v4 /*v260*/, 25, v4 /*v260*/
	s_set_vgpr_msb 64                       ;  msbs: dst=1 src0=0 src1=0 src2=0
	v_dual_lshlrev_b32 v36 /*v292*/, 4, v30 :: v_dual_lshlrev_b32 v38 /*v294*/, 18, v30
	v_and_b32_e32 v37 /*v293*/, 0xf0f0f0f, v33
	s_set_vgpr_msb 0                        ;  msbs: dst=0 src0=0 src1=0 src2=0
	v_dual_lshlrev_b32 v33, 11, v30 :: v_dual_lshlrev_b32 v30, 25, v30
	s_set_vgpr_msb 0x44                     ;  msbs: dst=1 src0=0 src1=1 src2=0
	v_dual_lshlrev_b32 v39 /*v295*/, 4, v5 /*v261*/ :: v_dual_lshlrev_b32 v40 /*v296*/, 11, v5 /*v261*/
	v_dual_lshlrev_b32 v41 /*v297*/, 18, v5 /*v261*/ :: v_dual_lshlrev_b32 v5 /*v261*/, 25, v5 /*v261*/
	s_set_vgpr_msb 64                       ;  msbs: dst=1 src0=0 src1=0 src2=0
	v_dual_lshlrev_b32 v42 /*v298*/, 4, v37 :: v_dual_lshlrev_b32 v43 /*v299*/, 11, v37
	v_dual_lshlrev_b32 v44 /*v300*/, 18, v37 :: v_dual_lshlrev_b32 v48 /*v304*/, 4, v34
	s_set_vgpr_msb 0                        ;  msbs: dst=0 src0=0 src1=0 src2=0
	v_lshlrev_b32_e32 v37, 25, v37
	s_set_vgpr_msb 0x44                     ;  msbs: dst=1 src0=0 src1=1 src2=0
	v_dual_lshlrev_b32 v45 /*v301*/, 4, v9 /*v265*/ :: v_dual_lshlrev_b32 v46 /*v302*/, 11, v9 /*v265*/
	v_dual_lshlrev_b32 v47 /*v303*/, 18, v9 /*v265*/ :: v_dual_lshlrev_b32 v9 /*v265*/, 25, v9 /*v265*/
	s_set_vgpr_msb 64                       ;  msbs: dst=1 src0=0 src1=0 src2=0
	v_dual_lshlrev_b32 v49 /*v305*/, 11, v34 :: v_dual_lshlrev_b32 v50 /*v306*/, 18, v34
	s_set_vgpr_msb 0                        ;  msbs: dst=0 src0=0 src1=0 src2=0
	v_lshlrev_b32_e32 v34, 25, v34
	s_set_vgpr_msb 0x44                     ;  msbs: dst=1 src0=0 src1=1 src2=0
	v_dual_lshlrev_b32 v51 /*v307*/, 4, v10 /*v266*/ :: v_dual_lshlrev_b32 v52 /*v308*/, 11, v10 /*v266*/
	v_dual_lshlrev_b32 v53 /*v309*/, 18, v10 /*v266*/ :: v_dual_lshlrev_b32 v10 /*v266*/, 25, v10 /*v266*/
	;; [unrolled: 1-line block ×6, first 2 shown]
	v_and_b32_e32 v19 /*v275*/, 0x1000, v19 /*v275*/
	v_and_b32_e32 v29 /*v285*/, 0x100000, v29 /*v285*/
	;; [unrolled: 1-line block ×5, first 2 shown]
	s_set_vgpr_msb 17                       ;  msbs: dst=0 src0=1 src1=0 src2=1
	v_and_b32_e32 v32, 0x10000000, v32
	v_or3_b32 v17, v20 /*v276*/, v25, v18 /*v274*/
	s_set_vgpr_msb 16                       ;  msbs: dst=0 src0=0 src1=0 src2=1
	v_or3_b32 v26, v255, v26, v23 /*v279*/
	s_set_vgpr_msb 21                       ;  msbs: dst=0 src0=1 src1=1 src2=1
	v_or3_b32 v255, v26 /*v282*/, v0 /*v256*/, v24 /*v280*/
	s_set_vgpr_msb 0x54                     ;  msbs: dst=1 src0=0 src1=1 src2=1
	v_or3_b32 v0 /*v256*/, v16, v15 /*v271*/, v16 /*v272*/
	s_set_vgpr_msb 0                        ;  msbs: dst=0 src0=0 src1=0 src2=0
	v_and_b32_e32 v31, 0xf0f0f0f, v31
	v_and_b32_e32 v229, 0xf0f0f0f, v229
	s_set_vgpr_msb 64                       ;  msbs: dst=1 src0=0 src1=0 src2=0
	v_dual_lshlrev_b32 v60 /*v316*/, 4, v228 :: v_dual_lshlrev_b32 v62 /*v318*/, 18, v228
	v_and_b32_e32 v61 /*v317*/, 0xf0f0f0f, v230
	s_set_vgpr_msb 0                        ;  msbs: dst=0 src0=0 src1=0 src2=0
	v_dual_lshlrev_b32 v230, 11, v228 :: v_dual_lshlrev_b32 v228, 25, v228
	s_set_vgpr_msb 0x44                     ;  msbs: dst=1 src0=0 src1=1 src2=0
	v_and_b32_e32 v21 /*v277*/, 16, v21 /*v277*/
	v_and_b32_e32 v22 /*v278*/, 0x1000, v22 /*v278*/
	;; [unrolled: 1-line block ×8, first 2 shown]
	s_set_vgpr_msb 64                       ;  msbs: dst=1 src0=0 src1=0 src2=0
	v_and_b32_e32 v63 /*v319*/, 0x1000, v33
	s_set_vgpr_msb 4                        ;  msbs: dst=0 src0=0 src1=1 src2=0
	v_and_b32_e32 v33, 0x100000, v38 /*v294*/
	s_set_vgpr_msb 0                        ;  msbs: dst=0 src0=0 src1=0 src2=0
	v_and_b32_e32 v30, 0x10000000, v30
	s_set_vgpr_msb 0x44                     ;  msbs: dst=1 src0=0 src1=1 src2=0
	v_and_b32_e32 v38 /*v294*/, 16, v39 /*v295*/
	v_and_b32_e32 v39 /*v295*/, 0x1000, v40 /*v296*/
	;; [unrolled: 1-line block ×13, first 2 shown]
	s_set_vgpr_msb 0                        ;  msbs: dst=0 src0=0 src1=0 src2=0
	v_and_b32_e32 v34, 0x10000000, v34
	s_set_vgpr_msb 0x55                     ;  msbs: dst=1 src0=1 src1=1 src2=1
	v_and_b32_e32 v50 /*v306*/, 16, v51 /*v307*/
	v_and_b32_e32 v51 /*v307*/, 0x1000, v52 /*v308*/
	;; [unrolled: 1-line block ×11, first 2 shown]
	v_or3_b32 v1 /*v257*/, v1 /*v257*/, v2 /*v258*/, v29 /*v285*/
	s_set_vgpr_msb 17                       ;  msbs: dst=0 src0=1 src1=0 src2=1
	v_or3_b32 v32, v32 /*v288*/, v32, v30 /*v286*/
	s_set_vgpr_msb 4                        ;  msbs: dst=0 src0=0 src1=1 src2=0
	v_or3_b32 v25, v17, v19 /*v275*/, v231
	s_set_vgpr_msb 1                        ;  msbs: dst=0 src0=1 src1=0 src2=0
	v_dot4_i32_iu8 v16, v0 /*v256*/, v38, 0 neg_lo:[1,1,0]
	v_and_b32_e32 v27, 0xf0f0f0f, v27
	s_set_vgpr_msb 0x44                     ;  msbs: dst=1 src0=0 src1=1 src2=0
	v_and_b32_e32 v25 /*v281*/, 0x1000, v25 /*v281*/
	v_and_b32_e32 v59 /*v315*/, 16, v60 /*v316*/
	s_set_vgpr_msb 64                       ;  msbs: dst=1 src0=0 src1=0 src2=0
	v_and_b32_e32 v60 /*v316*/, 0x1000, v230
	s_set_vgpr_msb 4                        ;  msbs: dst=0 src0=0 src1=1 src2=0
	v_and_b32_e32 v230, 0x100000, v62 /*v318*/
	s_set_vgpr_msb 17                       ;  msbs: dst=0 src0=1 src1=0 src2=1
	v_and_b32_e32 v228, 0x10000000, v228
	v_or3_b32 v31, v4 /*v260*/, v31, v35 /*v291*/
	s_set_vgpr_msb 16                       ;  msbs: dst=0 src0=0 src1=0 src2=1
	v_or3_b32 v30, v33, v30, v36 /*v292*/
	s_set_vgpr_msb 0x55                     ;  msbs: dst=1 src0=1 src1=1 src2=1
	v_or3_b32 v2 /*v258*/, v5 /*v261*/, v7 /*v263*/, v40 /*v296*/
	s_set_vgpr_msb 0x51                     ;  msbs: dst=1 src0=1 src1=0 src2=1
	v_or3_b32 v4 /*v260*/, v49 /*v305*/, v34, v47 /*v303*/
	s_set_vgpr_msb 0x55                     ;  msbs: dst=1 src0=1 src1=1 src2=1
	v_or3_b32 v7 /*v263*/, v10 /*v266*/, v11 /*v267*/, v52 /*v308*/
	s_set_vgpr_msb 0x51                     ;  msbs: dst=1 src0=1 src1=0 src2=1
	v_or3_b32 v10 /*v266*/, v14 /*v270*/, v229, v58 /*v314*/
	s_set_vgpr_msb 20                       ;  msbs: dst=0 src0=0 src1=1 src2=1
	v_or3_b32 v229, v26, v21 /*v277*/, v22 /*v278*/
	s_set_vgpr_msb 21                       ;  msbs: dst=0 src0=1 src1=1 src2=1
	v_or3_b32 v33, v1 /*v257*/, v27 /*v283*/, v28 /*v284*/
	s_set_vgpr_msb 20                       ;  msbs: dst=0 src0=0 src1=1 src2=1
	v_or3_b32 v34, v32, v31 /*v287*/, v3 /*v259*/
	s_set_vgpr_msb 0                        ;  msbs: dst=0 src0=0 src1=0 src2=0
	v_dot4_i32_iu8 v17, v25, v39, 0 neg_lo:[1,1,0]
	v_cvt_f32_i32_e32 v16, v16
	s_set_vgpr_msb 0x50                     ;  msbs: dst=1 src0=0 src1=0 src2=1
	v_or3_b32 v11 /*v267*/, v230, v228, v59 /*v315*/
	s_set_vgpr_msb 4                        ;  msbs: dst=0 src0=0 src1=1 src2=0
	v_or3_b32 v228, v255, v25 /*v281*/, v27
	s_set_vgpr_msb 0                        ;  msbs: dst=0 src0=0 src1=0 src2=0
	v_dot4_i32_iu8 v26, v229, v40, 0 neg_lo:[1,1,0]
	v_cvt_f32_i32_e32 v17, v17
	v_fma_f32 v16, v0, v16, -v1
	v_dot4_i32_iu8 v230, v33, v42, 0 neg_lo:[1,1,0]
	v_dot4_i32_iu8 v231, v34, v43, 0 neg_lo:[1,1,0]
	s_set_vgpr_msb 0x44                     ;  msbs: dst=1 src0=0 src1=1 src2=0
	v_and_b32_e32 v33 /*v289*/, 16, v33 /*v289*/
	v_and_b32_e32 v34 /*v290*/, 0x1000, v34 /*v290*/
	s_set_vgpr_msb 20                       ;  msbs: dst=0 src0=0 src1=1 src2=1
	v_or3_b32 v32, v30, v63 /*v319*/, v37 /*v293*/
	s_set_vgpr_msb 0                        ;  msbs: dst=0 src0=0 src1=0 src2=0
	v_dot4_i32_iu8 v30, v228, v41, 0 neg_lo:[1,1,0]
	v_cvt_f32_i32_e32 v26, v26
	v_fma_f32 v255, v0, v17, -v1
	s_wait_loadcnt 0x1
	s_set_vgpr_msb 64                       ;  msbs: dst=1 src0=0 src1=0 src2=0
	v_fma_mix_f32 v1 /*v257*/, v16, v19, 0 op_sel_hi:[0,1,0]
	s_set_vgpr_msb 0                        ;  msbs: dst=0 src0=0 src1=0 src2=0
	v_cvt_f32_i32_e32 v17, v231
	v_cvt_f32_i32_e32 v16, v230
	v_and_b32_e32 v37, 0x10000000, v37
	s_set_vgpr_msb 20                       ;  msbs: dst=0 src0=0 src1=1 src2=1
	v_or3_b32 v31, v31, v33 /*v289*/, v34 /*v290*/
	v_cvt_f32_i32_e32 v30, v30
	s_set_vgpr_msb 0                        ;  msbs: dst=0 src0=0 src1=0 src2=0
	v_fma_f32 v26, v0, v26, -v1
	s_set_vgpr_msb 16                       ;  msbs: dst=0 src0=0 src1=0 src2=1
	v_fma_mix_f32 v230, v255, v19, v1 /*v257*/ op_sel_hi:[0,1,0]
	s_set_vgpr_msb 0                        ;  msbs: dst=0 src0=0 src1=0 src2=0
	v_pk_fma_f32 v[16:17], v[2:3], v[16:17], v[82:83] neg_lo:[0,0,1] neg_hi:[0,0,1]
	s_set_vgpr_msb 17                       ;  msbs: dst=0 src0=1 src1=0 src2=1
	v_or3_b32 v37, v43 /*v299*/, v37, v41 /*v297*/
	s_set_vgpr_msb 0                        ;  msbs: dst=0 src0=0 src1=0 src2=0
	v_dot4_i32_iu8 v231, v31, v44, 0 neg_lo:[1,1,0]
	v_dot4_i32_iu8 v255, v32, v45, 0 neg_lo:[1,1,0]
	v_fma_mix_f32 v26, v26, v19, v230 op_sel_hi:[0,1,0]
	v_pk_mul_f32 v[16:17], v[16:17], v[24:25] op_sel_hi:[1,0]
	v_fma_f32 v30, v0, v30, -v1
	v_and_b32_e32 v35, 0xf0f0f0f, v35
	s_set_vgpr_msb 0x44                     ;  msbs: dst=1 src0=0 src1=1 src2=0
	v_and_b32_e32 v9 /*v265*/, 0x10000000, v9 /*v265*/
	s_set_vgpr_msb 21                       ;  msbs: dst=0 src0=1 src1=1 src2=1
	v_or3_b32 v27, v2 /*v258*/, v38 /*v294*/, v39 /*v295*/
	s_set_vgpr_msb 20                       ;  msbs: dst=0 src0=0 src1=1 src2=1
	v_or3_b32 v230, v37, v42 /*v298*/, v8 /*v264*/
	s_set_vgpr_msb 64                       ;  msbs: dst=1 src0=0 src1=0 src2=0
	v_cvt_f32_i32_e32 v3 /*v259*/, v255
	v_cvt_f32_i32_e32 v2 /*v258*/, v231
	s_set_vgpr_msb 0                        ;  msbs: dst=0 src0=0 src1=0 src2=0
	v_fma_mix_f32 v26, v30, v19, v26 op_sel_hi:[0,1,0]
	v_and_b32_e32 v227, 0xf0f0f0f, v227
	s_set_vgpr_msb 17                       ;  msbs: dst=0 src0=1 src1=0 src2=1
	v_or3_b32 v35, v9 /*v265*/, v35, v46 /*v302*/
	s_set_vgpr_msb 0                        ;  msbs: dst=0 src0=0 src1=0 src2=0
	v_dot4_i32_iu8 v30, v230, v47, 0 neg_lo:[1,1,0]
	v_dot4_i32_iu8 v37, v27, v46, 0 neg_lo:[1,1,0]
	s_set_vgpr_msb 0x44                     ;  msbs: dst=1 src0=0 src1=1 src2=0
	v_pk_fma_f32 v[2:3] /*v[258:259]*/, v[2:3], v[2:3] /*v[258:259]*/, v[82:83] neg_lo:[0,0,1] neg_hi:[0,0,1]
	s_set_vgpr_msb 0                        ;  msbs: dst=0 src0=0 src1=0 src2=0
	v_add_f32_e32 v16, v26, v16
	s_set_vgpr_msb 0x44                     ;  msbs: dst=1 src0=0 src1=1 src2=0
	v_and_b32_e32 v12 /*v268*/, 0x10000000, v12 /*v268*/
	s_set_vgpr_msb 20                       ;  msbs: dst=0 src0=0 src1=1 src2=1
	v_or3_b32 v35, v35, v44 /*v300*/, v45 /*v301*/
	s_set_vgpr_msb 5                        ;  msbs: dst=0 src0=1 src1=1 src2=0
	v_or3_b32 v231, v4 /*v260*/, v48 /*v304*/, v227
	s_set_vgpr_msb 64                       ;  msbs: dst=1 src0=0 src1=0 src2=0
	v_cvt_f32_i32_e32 v5 /*v261*/, v30
	v_cvt_f32_i32_e32 v4 /*v260*/, v37
	s_set_vgpr_msb 0x41                     ;  msbs: dst=1 src0=1 src1=0 src2=0
	v_pk_mul_f32 v[2:3] /*v[258:259]*/, v[2:3] /*v[258:259]*/, v[24:25] op_sel_hi:[1,0]
	s_set_vgpr_msb 0                        ;  msbs: dst=0 src0=0 src1=0 src2=0
	v_add_f32_e32 v26, v16, v17
	s_set_vgpr_msb 0x55                     ;  msbs: dst=1 src0=1 src1=1 src2=1
	v_or3_b32 v9 /*v265*/, v55 /*v311*/, v12 /*v268*/, v53 /*v309*/
	s_set_vgpr_msb 0                        ;  msbs: dst=0 src0=0 src1=0 src2=0
	v_dot4_i32_iu8 v30, v231, v49, 0 neg_lo:[1,1,0]
	v_dot4_i32_iu8 v227, v35, v48, 0 neg_lo:[1,1,0]
	s_set_vgpr_msb 4                        ;  msbs: dst=0 src0=0 src1=1 src2=0
	v_pk_fma_f32 v[16:17], v[4:5], v[4:5] /*v[260:261]*/, v[80:81] neg_lo:[0,0,1] neg_hi:[0,0,1]
	s_set_vgpr_msb 1                        ;  msbs: dst=0 src0=1 src1=0 src2=0
	v_add_f32_e32 v26, v2 /*v258*/, v26
	s_set_vgpr_msb 21                       ;  msbs: dst=0 src0=1 src1=1 src2=1
	v_or3_b32 v37, v7 /*v263*/, v50 /*v306*/, v51 /*v307*/
	v_or3_b32 v255, v9 /*v265*/, v54 /*v310*/, v13 /*v269*/
	s_set_vgpr_msb 64                       ;  msbs: dst=1 src0=0 src1=0 src2=0
	v_cvt_f32_i32_e32 v5 /*v261*/, v30
	v_cvt_f32_i32_e32 v4 /*v260*/, v227
	s_set_vgpr_msb 0                        ;  msbs: dst=0 src0=0 src1=0 src2=0
	v_pk_mul_f32 v[16:17], v[16:17], v[18:19] op_sel_hi:[1,0]
	s_set_vgpr_msb 4                        ;  msbs: dst=0 src0=0 src1=1 src2=0
	v_add_f32_e32 v26, v26, v3 /*v259*/
	s_set_vgpr_msb 0                        ;  msbs: dst=0 src0=0 src1=0 src2=0
	v_dot4_i32_iu8 v30, v255, v51, 0 neg_lo:[1,1,0]
	s_set_vgpr_msb 64                       ;  msbs: dst=1 src0=0 src1=0 src2=0
	v_dot4_i32_iu8 v7 /*v263*/, v37, v50, 0 neg_lo:[1,1,0]
	s_set_vgpr_msb 0x44                     ;  msbs: dst=1 src0=0 src1=1 src2=0
	v_pk_fma_f32 v[2:3] /*v[258:259]*/, v[4:5], v[4:5] /*v[260:261]*/, v[80:81] neg_lo:[0,0,1] neg_hi:[0,0,1]
	s_set_vgpr_msb 21                       ;  msbs: dst=0 src0=1 src1=1 src2=1
	v_or3_b32 v227, v10 /*v266*/, v56 /*v312*/, v57 /*v313*/
	s_set_vgpr_msb 0                        ;  msbs: dst=0 src0=0 src1=0 src2=0
	v_add_f32_e32 v16, v26, v16
	s_set_vgpr_msb 0x55                     ;  msbs: dst=1 src0=1 src1=1 src2=1
	v_or3_b32 v1 /*v257*/, v11 /*v267*/, v60 /*v316*/, v61 /*v317*/
	s_set_vgpr_msb 64                       ;  msbs: dst=1 src0=0 src1=0 src2=0
	v_cvt_f32_i32_e32 v5 /*v261*/, v30
	s_set_vgpr_msb 0x41                     ;  msbs: dst=1 src0=1 src1=0 src2=0
	v_cvt_f32_i32_e32 v4 /*v260*/, v7 /*v263*/
	v_pk_mul_f32 v[2:3] /*v[258:259]*/, v[2:3] /*v[258:259]*/, v[18:19] op_sel_hi:[1,0]
	s_set_vgpr_msb 0                        ;  msbs: dst=0 src0=0 src1=0 src2=0
	v_add_f32_e32 v30, v16, v17
	s_wait_loadcnt 0x0
	s_set_vgpr_msb 1                        ;  msbs: dst=0 src0=1 src1=0 src2=0
	v_cvt_f32_f16_e64 v26, v6 /*v262*/
	s_set_vgpr_msb 0x41                     ;  msbs: dst=1 src0=1 src1=0 src2=0
	v_dot4_i32_iu8 v6 /*v262*/, v1 /*v257*/, v53, 0 neg_lo:[1,1,0]
	s_set_vgpr_msb 64                       ;  msbs: dst=1 src0=0 src1=0 src2=0
	v_dot4_i32_iu8 v7 /*v263*/, v227, v52, 0 neg_lo:[1,1,0]
	s_set_vgpr_msb 4                        ;  msbs: dst=0 src0=0 src1=1 src2=0
	v_pk_fma_f32 v[16:17], v[6:7], v[4:5] /*v[260:261]*/, v[78:79] neg_lo:[0,0,1] neg_hi:[0,0,1]
	s_set_vgpr_msb 1                        ;  msbs: dst=0 src0=1 src1=0 src2=0
	v_add_f32_e32 v30, v2 /*v258*/, v30
	s_set_vgpr_msb 0x41                     ;  msbs: dst=1 src0=1 src1=0 src2=0
	v_cvt_f32_i32_e32 v5 /*v261*/, v6 /*v262*/
	v_cvt_f32_i32_e32 v4 /*v260*/, v7 /*v263*/
	s_set_vgpr_msb 0                        ;  msbs: dst=0 src0=0 src1=0 src2=0
	v_pk_mul_f32 v[16:17], v[16:17], v[26:27] op_sel_hi:[1,0]
	s_set_vgpr_msb 4                        ;  msbs: dst=0 src0=0 src1=1 src2=0
	v_add_f32_e32 v30, v30, v3 /*v259*/
	s_set_vgpr_msb 0x44                     ;  msbs: dst=1 src0=0 src1=1 src2=0
	v_pk_fma_f32 v[2:3] /*v[258:259]*/, v[6:7], v[4:5] /*v[260:261]*/, v[78:79] neg_lo:[0,0,1] neg_hi:[0,0,1]
	s_set_vgpr_msb 0                        ;  msbs: dst=0 src0=0 src1=0 src2=0
	s_delay_alu instid0(VALU_DEP_2) | instskip(SKIP_1) | instid1(VALU_DEP_2)
	v_add_f32_e32 v16, v30, v16
	s_set_vgpr_msb 0x41                     ;  msbs: dst=1 src0=1 src1=0 src2=0
	v_pk_mul_f32 v[2:3] /*v[258:259]*/, v[2:3] /*v[258:259]*/, v[26:27] op_sel_hi:[1,0]
	s_set_vgpr_msb 0                        ;  msbs: dst=0 src0=0 src1=0 src2=0
	s_delay_alu instid0(VALU_DEP_2) | instskip(SKIP_1) | instid1(VALU_DEP_1)
	v_add_f32_e32 v16, v16, v17
	s_set_vgpr_msb 1                        ;  msbs: dst=0 src0=1 src1=0 src2=0
	v_add_f32_e32 v16, v2 /*v258*/, v16
	s_set_vgpr_msb 4                        ;  msbs: dst=0 src0=0 src1=1 src2=0
	s_delay_alu instid0(VALU_DEP_1)
	v_add_f32_e32 v30, v16, v3 /*v259*/
	s_set_vgpr_msb 0                        ;  msbs: dst=0 src0=0 src1=0 src2=0
	v_add_nc_u64_e32 v[16:17], s[14:15], v[90:91]
	s_set_vgpr_msb 64                       ;  msbs: dst=1 src0=0 src1=0 src2=0
	ds_bpermute_b32 v2 /*v258*/, v241, v30
	s_wait_dscnt 0x0
	s_set_vgpr_msb 4                        ;  msbs: dst=0 src0=0 src1=1 src2=0
	v_add_f32_e32 v30, v30, v2 /*v258*/
	s_set_vgpr_msb 0                        ;  msbs: dst=0 src0=0 src1=0 src2=0
	s_cbranch_vccz .LBB19_19
; %bb.18:                               ;   in Loop: Header=BB19_17 Depth=1
	s_set_vgpr_msb 64                       ;  msbs: dst=1 src0=0 src1=0 src2=0
	global_load_u16 v2 /*v258*/, v[16:17], off offset:-2
	s_wait_loadcnt 0x0
	s_set_vgpr_msb 4                        ;  msbs: dst=0 src0=0 src1=1 src2=0
	v_fma_mix_f32 v30, v239, v2 /*v258*/, v30 op_sel_hi:[0,1,0]
.LBB19_19:                              ;   in Loop: Header=BB19_17 Depth=1
	s_set_vgpr_msb 0x41                     ;  msbs: dst=1 src0=1 src1=0 src2=0
	v_dot4_i32_iu8 v0 /*v256*/, v0 /*v256*/, v54, 0 neg_lo:[1,1,0]
	s_set_vgpr_msb 64                       ;  msbs: dst=1 src0=0 src1=0 src2=0
	v_dot4_i32_iu8 v2 /*v258*/, v25, v55, 0 neg_lo:[1,1,0]
	s_set_vgpr_msb 0                        ;  msbs: dst=0 src0=0 src1=0 src2=0
	v_cvt_f32_f16_e32 v19, v19
	v_dot4_i32_iu8 v229, v229, v56, 0 neg_lo:[1,1,0]
	v_dot4_i32_iu8 v228, v228, v57, 0 neg_lo:[1,1,0]
	s_set_vgpr_msb 0x41                     ;  msbs: dst=1 src0=1 src1=0 src2=0
	v_cvt_f32_i32_e32 v0 /*v256*/, v0 /*v256*/
	v_cvt_f32_i32_e32 v2 /*v258*/, v2 /*v258*/
	s_set_vgpr_msb 0                        ;  msbs: dst=0 src0=0 src1=0 src2=0
	v_dot4_i32_iu8 v33, v33, v58, 0 neg_lo:[1,1,0]
	v_dot4_i32_iu8 v34, v34, v59, 0 neg_lo:[1,1,0]
	s_set_vgpr_msb 0x44                     ;  msbs: dst=1 src0=0 src1=1 src2=0
	v_cvt_f32_i32_e32 v3 /*v259*/, v229
	v_dual_fma_f32 v0 /*v256*/, v8, v0 /*v256*/, -v9 :: v_dual_fma_f32 v2 /*v258*/, v8, v2 /*v258*/, -v9
	v_cvt_f32_i32_e32 v4 /*v260*/, v228
	s_set_vgpr_msb 0                        ;  msbs: dst=0 src0=0 src1=0 src2=0
	v_cvt_f32_i32_e32 v229, v34
	v_cvt_f32_i32_e32 v228, v33
	s_set_vgpr_msb 0x41                     ;  msbs: dst=1 src0=1 src1=0 src2=0
	v_fma_f32 v0 /*v256*/, v0 /*v256*/, v19, 0
	s_set_vgpr_msb 4                        ;  msbs: dst=0 src0=0 src1=1 src2=0
	v_fma_f32 v34, v8, v3 /*v259*/, -v9
	v_mov_b32_e32 v25, v24
	s_set_vgpr_msb 0                        ;  msbs: dst=0 src0=0 src1=0 src2=0
	v_dot4_i32_iu8 v31, v31, v60, 0 neg_lo:[1,1,0]
	s_set_vgpr_msb 0x44                     ;  msbs: dst=1 src0=0 src1=1 src2=0
	v_fma_f32 v3 /*v259*/, v8, v4 /*v260*/, -v9
	s_set_vgpr_msb 0x41                     ;  msbs: dst=1 src0=1 src1=0 src2=0
	v_fmac_f32_e32 v0 /*v256*/, v2 /*v258*/, v19
	s_set_vgpr_msb 64                       ;  msbs: dst=1 src0=0 src1=0 src2=0
	v_dot4_i32_iu8 v2 /*v258*/, v32, v61, 0 neg_lo:[1,1,0]
	s_set_vgpr_msb 0                        ;  msbs: dst=0 src0=0 src1=0 src2=0
	v_pk_fma_f32 v[32:33], v[10:11], v[228:229], v[76:77] neg_lo:[0,0,1] neg_hi:[0,0,1]
	v_cvt_f32_i32_e32 v228, v31
	v_dot4_i32_iu8 v27, v27, v62, 0 neg_lo:[1,1,0]
	s_set_vgpr_msb 64                       ;  msbs: dst=1 src0=0 src1=0 src2=0
	v_fmac_f32_e32 v0 /*v256*/, v34, v19
	s_set_vgpr_msb 1                        ;  msbs: dst=0 src0=1 src1=0 src2=0
	v_cvt_f32_i32_e32 v229, v2 /*v258*/
	s_set_vgpr_msb 0                        ;  msbs: dst=0 src0=0 src1=0 src2=0
	v_pk_mul_f32 v[32:33], v[32:33], v[24:25]
	v_dot4_i32_iu8 v34, v35, v64, 0 neg_lo:[1,1,0]
	s_set_vgpr_msb 64                       ;  msbs: dst=1 src0=0 src1=0 src2=0
	v_cvt_f32_i32_e32 v2 /*v258*/, v27
	s_set_vgpr_msb 0x41                     ;  msbs: dst=1 src0=1 src1=0 src2=0
	v_fmac_f32_e32 v0 /*v256*/, v3 /*v259*/, v19
	s_set_vgpr_msb 0                        ;  msbs: dst=0 src0=0 src1=0 src2=0
	v_dot4_i32_iu8 v19, v230, v63, 0 neg_lo:[1,1,0]
	v_pk_fma_f32 v[228:229], v[10:11], v[228:229], v[76:77] neg_lo:[0,0,1] neg_hi:[0,0,1]
	v_cvt_f32_i32_e32 v34, v34
	v_dot4_i32_iu8 v37, v37, v66, 0 neg_lo:[1,1,0]
	s_set_vgpr_msb 1                        ;  msbs: dst=0 src0=1 src1=0 src2=0
	v_add_f32_e32 v31, v0 /*v256*/, v32
	s_set_vgpr_msb 64                       ;  msbs: dst=1 src0=0 src1=0 src2=0
	v_cvt_f32_i32_e32 v3 /*v259*/, v19
	s_set_vgpr_msb 0                        ;  msbs: dst=0 src0=0 src1=0 src2=0
	v_mov_b32_e32 v19, v18
	s_and_not1_b32 vcc_lo, exec_lo, s8
	v_add_f32_e32 v27, v31, v33
	v_pk_mul_f32 v[24:25], v[228:229], v[24:25]
	s_set_vgpr_msb 4                        ;  msbs: dst=0 src0=0 src1=1 src2=0
	v_pk_fma_f32 v[32:33], v[12:13], v[2:3] /*v[258:259]*/, v[74:75] neg_lo:[0,0,1] neg_hi:[0,0,1]
	s_set_vgpr_msb 0                        ;  msbs: dst=0 src0=0 src1=0 src2=0
	v_dot4_i32_iu8 v31, v231, v65, 0 neg_lo:[1,1,0]
	s_delay_alu instid0(VALU_DEP_2) | instskip(SKIP_1) | instid1(VALU_DEP_3)
	v_pk_mul_f32 v[32:33], v[32:33], v[18:19]
	v_add_f32_e32 v24, v24, v27
	v_cvt_f32_i32_e32 v35, v31
	v_dot4_i32_iu8 v31, v255, v67, 0 neg_lo:[1,1,0]
	s_delay_alu instid0(VALU_DEP_3) | instskip(NEXT) | instid1(VALU_DEP_3)
	v_add_f32_e32 v27, v24, v25
	v_pk_fma_f32 v[24:25], v[12:13], v[34:35], v[74:75] neg_lo:[0,0,1] neg_hi:[0,0,1]
	s_delay_alu instid0(VALU_DEP_3) | instskip(SKIP_1) | instid1(VALU_DEP_4)
	v_cvt_f32_i32_e32 v35, v31
	v_cvt_f32_i32_e32 v34, v37
	v_add_f32_e32 v27, v27, v32
	s_delay_alu instid0(VALU_DEP_4)
	v_pk_mul_f32 v[18:19], v[24:25], v[18:19]
	s_set_vgpr_msb 1                        ;  msbs: dst=0 src0=1 src1=0 src2=0
	v_dot4_i32_iu8 v32, v1 /*v257*/, v69, 0 neg_lo:[1,1,0]
	s_set_vgpr_msb 0                        ;  msbs: dst=0 src0=0 src1=0 src2=0
	v_pk_fma_f32 v[24:25], v[14:15], v[34:35], v[72:73] neg_lo:[0,0,1] neg_hi:[0,0,1]
	v_dual_add_f32 v31, v27, v33 :: v_dual_mov_b32 v27, v26
	s_delay_alu instid0(VALU_DEP_3) | instskip(NEXT) | instid1(VALU_DEP_2)
	v_cvt_f32_i32_e32 v33, v32
	v_add_f32_e32 v18, v18, v31
	v_dot4_i32_iu8 v31, v227, v68, 0 neg_lo:[1,1,0]
	s_delay_alu instid0(VALU_DEP_4) | instskip(NEXT) | instid1(VALU_DEP_3)
	v_pk_mul_f32 v[24:25], v[24:25], v[26:27]
	v_add_f32_e32 v18, v18, v19
	s_delay_alu instid0(VALU_DEP_3) | instskip(NEXT) | instid1(VALU_DEP_2)
	v_cvt_f32_i32_e32 v32, v31
	v_add_f32_e32 v24, v18, v24
	s_delay_alu instid0(VALU_DEP_2) | instskip(NEXT) | instid1(VALU_DEP_2)
	v_pk_fma_f32 v[18:19], v[14:15], v[32:33], v[72:73] neg_lo:[0,0,1] neg_hi:[0,0,1]
	v_add_f32_e32 v24, v24, v25
	s_delay_alu instid0(VALU_DEP_2) | instskip(NEXT) | instid1(VALU_DEP_1)
	v_pk_mul_f32 v[18:19], v[18:19], v[26:27]
	v_add_f32_e32 v18, v18, v24
	s_delay_alu instid0(VALU_DEP_1)
	v_add_f32_e32 v18, v18, v19
	ds_bpermute_b32 v19, v241, v18
	s_wait_dscnt 0x0
	v_add_f32_e32 v31, v18, v19
	s_cbranch_vccnz .LBB19_21
; %bb.20:                               ;   in Loop: Header=BB19_17 Depth=1
	v_add_nc_u64_e32 v[18:19], s[14:15], v[88:89]
	global_load_u16 v18, v[18:19], off
	s_wait_loadcnt 0x0
	v_fma_mix_f32 v31, v239, v18, v31 op_sel_hi:[0,1,0]
.LBB19_21:                              ;   in Loop: Header=BB19_17 Depth=1
	v_add_nc_u64_e32 v[18:19], s[20:21], v[86:87]
	v_add_nc_u64_e32 v[24:25], s[20:21], v[84:85]
	s_and_not1_b32 vcc_lo, exec_lo, s27
	global_load_b32 v26, v[18:19], off offset:2
	s_clause 0x2
	global_load_b32 v27, v[24:25], off offset:6
	global_load_b32 v32, v[24:25], off offset:14
	global_load_b32 v33, v[24:25], off offset:28
	s_clause 0x5
	global_load_b32 v34, v[18:19], off offset:24
	s_set_vgpr_msb 64                       ;  msbs: dst=1 src0=0 src1=0 src2=0
	global_load_u16 v8 /*v264*/, v[18:19], off offset:66
	s_set_vgpr_msb 0                        ;  msbs: dst=0 src0=0 src1=0 src2=0
	global_load_u16 v35, v[18:19], off offset:44
	global_load_u16 v37, v[18:19], off offset:22
	global_load_b32 v227, v[24:25], off offset:36
	global_load_b32 v228, v[18:19], off offset:46
	s_clause 0x1
	global_load_b32 v229, v[24:25], off offset:50
	global_load_b32 v230, v[24:25], off offset:58
	;; [unrolled: 1-line block ×3, first 2 shown]
	s_clause 0x2
	global_load_b32 v255, v[24:25], off offset:72
	s_set_vgpr_msb 64                       ;  msbs: dst=1 src0=0 src1=0 src2=0
	global_load_b32 v0 /*v256*/, v[24:25], off offset:80
                                        ; kill: killed $vgpr24_vgpr25
	s_set_vgpr_msb 0                        ;  msbs: dst=0 src0=0 src1=0 src2=0
	global_load_u16 v19, v[18:19], off
	s_wait_loadcnt 0xf
	s_wait_xcnt 0x1
	v_ashrrev_i32_e32 v25, v36, v26
	s_wait_loadcnt 0xe
	s_set_vgpr_msb 64                       ;  msbs: dst=1 src0=0 src1=0 src2=0
	v_and_b32_e32 v1 /*v257*/, 0xf0f0f0f, v27
	v_dual_ashrrev_i32 v2 /*v258*/, v248, v26 :: v_dual_ashrrev_i32 v4 /*v260*/, v249, v26
	s_wait_loadcnt 0xd
	v_and_b32_e32 v3 /*v259*/, 0xf0f0f0f, v32
	s_set_vgpr_msb 0                        ;  msbs: dst=0 src0=0 src1=0 src2=0
	v_dual_lshrrev_b32 v27, 4, v27 :: v_dual_lshrrev_b32 v32, 4, v32
	v_ashrrev_i32_e32 v26, v250, v26
	s_set_vgpr_msb 64                       ;  msbs: dst=1 src0=0 src1=0 src2=0
	v_dual_lshlrev_b32 v20 /*v276*/, 11, v25 :: v_dual_lshlrev_b32 v21 /*v277*/, 18, v25
	s_wait_loadcnt 0xb
	v_dual_ashrrev_i32 v5 /*v261*/, v36, v34 :: v_dual_ashrrev_i32 v9 /*v265*/, v249, v34
	s_wait_loadcnt 0x3
	v_dual_ashrrev_i32 v16 /*v272*/, v248, v231 :: v_dual_lshlrev_b32 v19 /*v275*/, 4, v25
	s_wait_loadcnt 0x2
	v_and_b32_e32 v15 /*v271*/, 0xf0f0f0f, v255
	s_set_vgpr_msb 0                        ;  msbs: dst=0 src0=0 src1=0 src2=0
	v_dual_lshrrev_b32 v255, 4, v255 :: v_dual_lshlrev_b32 v25, 25, v25
	s_set_vgpr_msb 64                       ;  msbs: dst=1 src0=0 src1=0 src2=0
	v_and_b32_e32 v6 /*v262*/, 0xf0f0f0f, v33
	s_set_vgpr_msb 0                        ;  msbs: dst=0 src0=0 src1=0 src2=0
	v_cvt_f32_f16_e32 v24, v37
	v_dual_ashrrev_i32 v37, v248, v34 :: v_dual_lshrrev_b32 v33, 4, v33
	s_set_vgpr_msb 64                       ;  msbs: dst=1 src0=0 src1=0 src2=0
	v_and_b32_e32 v7 /*v263*/, 0xf0f0f0f, v227
	s_set_vgpr_msb 0                        ;  msbs: dst=0 src0=0 src1=0 src2=0
	v_dual_lshrrev_b32 v227, 4, v227 :: v_dual_ashrrev_i32 v34, v250, v34
	s_set_vgpr_msb 64                       ;  msbs: dst=1 src0=0 src1=0 src2=0
	v_dual_ashrrev_i32 v10 /*v266*/, v36, v228 :: v_dual_ashrrev_i32 v13 /*v269*/, v249, v228
	s_wait_xcnt 0x0
	s_set_vgpr_msb 0                        ;  msbs: dst=0 src0=0 src1=0 src2=0
	v_cvt_f32_f16_e32 v18, v35
	v_ashrrev_i32_e32 v35, v248, v228
	s_set_vgpr_msb 64                       ;  msbs: dst=1 src0=0 src1=0 src2=0
	v_and_b32_e32 v12 /*v268*/, 0xf0f0f0f, v230
	s_set_vgpr_msb 0                        ;  msbs: dst=0 src0=0 src1=0 src2=0
	v_dual_lshrrev_b32 v230, 4, v230 :: v_dual_ashrrev_i32 v228, v250, v228
	s_set_vgpr_msb 64                       ;  msbs: dst=1 src0=0 src1=0 src2=0
	v_dual_ashrrev_i32 v14 /*v270*/, v36, v231 :: v_dual_ashrrev_i32 v18 /*v274*/, v249, v231
	s_wait_loadcnt 0x1
	s_set_vgpr_msb 0x44                     ;  msbs: dst=1 src0=0 src1=1 src2=0
	v_and_b32_e32 v17 /*v273*/, 0xf0f0f0f, v0 /*v256*/
	v_dual_lshrrev_b32 v0 /*v256*/, 4, v0 /*v256*/ :: v_dual_lshlrev_b32 v22 /*v278*/, 4, v2 /*v258*/
	s_set_vgpr_msb 0                        ;  msbs: dst=0 src0=0 src1=0 src2=0
	v_ashrrev_i32_e32 v231, v250, v231
	s_set_vgpr_msb 0x44                     ;  msbs: dst=1 src0=0 src1=1 src2=0
	v_dual_lshlrev_b32 v23 /*v279*/, 11, v2 /*v258*/ :: v_dual_lshlrev_b32 v24 /*v280*/, 18, v2 /*v258*/
	v_dual_lshlrev_b32 v2 /*v258*/, 25, v2 /*v258*/ :: v_dual_lshlrev_b32 v25 /*v281*/, 4, v4 /*v260*/
	s_set_vgpr_msb 64                       ;  msbs: dst=1 src0=0 src1=0 src2=0
	v_dual_lshlrev_b32 v28 /*v284*/, 4, v26 :: v_dual_lshlrev_b32 v29 /*v285*/, 11, v26
	v_dual_lshlrev_b32 v30 /*v286*/, 18, v26 :: v_dual_lshlrev_b32 v34 /*v290*/, 4, v37
	s_set_vgpr_msb 0                        ;  msbs: dst=0 src0=0 src1=0 src2=0
	v_lshlrev_b32_e32 v26, 25, v26
	s_set_vgpr_msb 0x44                     ;  msbs: dst=1 src0=0 src1=1 src2=0
	v_and_b32_e32 v21 /*v277*/, 0x100000, v21 /*v277*/
	s_set_vgpr_msb 0                        ;  msbs: dst=0 src0=0 src1=0 src2=0
	v_and_b32_e32 v25, 0x10000000, v25
	s_set_vgpr_msb 64                       ;  msbs: dst=1 src0=0 src1=0 src2=0
	v_and_b32_e32 v11 /*v267*/, 0xf0f0f0f, v229
	s_set_vgpr_msb 0                        ;  msbs: dst=0 src0=0 src1=0 src2=0
	v_lshrrev_b32_e32 v229, 4, v229
	s_set_vgpr_msb 0x44                     ;  msbs: dst=1 src0=0 src1=1 src2=0
	v_dual_lshlrev_b32 v26 /*v282*/, 11, v4 /*v260*/ :: v_dual_lshlrev_b32 v27 /*v283*/, 18, v4 /*v260*/
	v_dual_lshlrev_b32 v4 /*v260*/, 25, v4 /*v260*/ :: v_dual_lshlrev_b32 v31 /*v287*/, 4, v5 /*v261*/
	;; [unrolled: 1-line block ×4, first 2 shown]
	s_set_vgpr_msb 64                       ;  msbs: dst=1 src0=0 src1=0 src2=0
	v_dual_lshlrev_b32 v42 /*v298*/, 18, v34 :: v_dual_lshlrev_b32 v46 /*v302*/, 4, v35
	s_set_vgpr_msb 0x44                     ;  msbs: dst=1 src0=0 src1=1 src2=0
	v_dual_lshlrev_b32 v44 /*v300*/, 11, v10 /*v266*/ :: v_dual_lshlrev_b32 v45 /*v301*/, 18, v10 /*v266*/
	v_dual_lshlrev_b32 v10 /*v266*/, 25, v10 /*v266*/ :: v_dual_lshlrev_b32 v49 /*v305*/, 4, v13 /*v269*/
	s_set_vgpr_msb 64                       ;  msbs: dst=1 src0=0 src1=0 src2=0
	v_dual_lshlrev_b32 v47 /*v303*/, 11, v35 :: v_dual_lshlrev_b32 v48 /*v304*/, 18, v35
	s_set_vgpr_msb 0                        ;  msbs: dst=0 src0=0 src1=0 src2=0
	v_lshlrev_b32_e32 v35, 25, v35
	s_set_vgpr_msb 0x44                     ;  msbs: dst=1 src0=0 src1=1 src2=0
	v_dual_lshlrev_b32 v50 /*v306*/, 11, v13 /*v269*/ :: v_dual_lshlrev_b32 v51 /*v307*/, 18, v13 /*v269*/
	v_dual_lshlrev_b32 v13 /*v269*/, 25, v13 /*v269*/ :: v_dual_lshlrev_b32 v55 /*v311*/, 4, v14 /*v270*/
	s_set_vgpr_msb 64                       ;  msbs: dst=1 src0=0 src1=0 src2=0
	v_dual_lshlrev_b32 v52 /*v308*/, 4, v228 :: v_dual_lshlrev_b32 v54 /*v310*/, 18, v228
	v_and_b32_e32 v53 /*v309*/, 0xf0f0f0f, v230
	s_set_vgpr_msb 0                        ;  msbs: dst=0 src0=0 src1=0 src2=0
	v_dual_lshlrev_b32 v230, 11, v228 :: v_dual_lshlrev_b32 v228, 25, v228
	s_set_vgpr_msb 0x44                     ;  msbs: dst=1 src0=0 src1=1 src2=0
	v_dual_lshlrev_b32 v56 /*v312*/, 11, v14 /*v270*/ :: v_dual_lshlrev_b32 v57 /*v313*/, 18, v14 /*v270*/
	v_dual_lshlrev_b32 v14 /*v270*/, 25, v14 /*v270*/ :: v_dual_lshlrev_b32 v58 /*v314*/, 4, v16 /*v272*/
	;; [unrolled: 1-line block ×5, first 2 shown]
	v_dual_lshlrev_b32 v18 /*v274*/, 25, v18 /*v274*/ :: v_dual_bitop2_b32 v19 /*v275*/, 16, v19 /*v275*/ bitop3:0x40
	s_set_vgpr_msb 64                       ;  msbs: dst=1 src0=0 src1=0 src2=0
	v_lshlrev_b32_e32 v64 /*v320*/, 4, v231
	s_set_vgpr_msb 0x44                     ;  msbs: dst=1 src0=0 src1=1 src2=0
	v_and_b32_e32 v65 /*v321*/, 0xf0f0f0f, v0 /*v256*/
	s_set_vgpr_msb 64                       ;  msbs: dst=1 src0=0 src1=0 src2=0
	v_dual_lshlrev_b32 v0 /*v256*/, 11, v231 :: v_dual_lshlrev_b32 v66 /*v322*/, 18, v231
	s_set_vgpr_msb 0                        ;  msbs: dst=0 src0=0 src1=0 src2=0
	v_lshlrev_b32_e32 v231, 25, v231
	s_set_vgpr_msb 0x44                     ;  msbs: dst=1 src0=0 src1=1 src2=0
	v_and_b32_e32 v20 /*v276*/, 0x1000, v20 /*v276*/
	v_and_b32_e32 v22 /*v278*/, 16, v22 /*v278*/
	;; [unrolled: 1-line block ×6, first 2 shown]
	s_set_vgpr_msb 0                        ;  msbs: dst=0 src0=0 src1=0 src2=0
	v_and_b32_e32 v26, 0x10000000, v26
	s_set_vgpr_msb 20                       ;  msbs: dst=0 src0=0 src1=1 src2=1
	v_or3_b32 v25, v25, v1 /*v257*/, v21 /*v277*/
	s_set_vgpr_msb 0                        ;  msbs: dst=0 src0=0 src1=0 src2=0
	v_and_b32_e32 v27, 0xf0f0f0f, v27
	v_and_b32_e32 v32, 0xf0f0f0f, v32
	s_set_vgpr_msb 64                       ;  msbs: dst=1 src0=0 src1=0 src2=0
	v_dual_lshlrev_b32 v35 /*v291*/, 11, v37 :: v_dual_lshlrev_b32 v36 /*v292*/, 18, v37
	s_set_vgpr_msb 0                        ;  msbs: dst=0 src0=0 src1=0 src2=0
	v_lshlrev_b32_e32 v37, 25, v37
	s_set_vgpr_msb 64                       ;  msbs: dst=1 src0=0 src1=0 src2=0
	v_dual_lshlrev_b32 v40 /*v296*/, 4, v34 :: v_dual_lshlrev_b32 v41 /*v297*/, 11, v34
	s_set_vgpr_msb 0                        ;  msbs: dst=0 src0=0 src1=0 src2=0
	v_lshlrev_b32_e32 v34, 25, v34
	s_set_vgpr_msb 0x44                     ;  msbs: dst=1 src0=0 src1=1 src2=0
	v_and_b32_e32 v23 /*v279*/, 0x1000, v23 /*v279*/
	v_and_b32_e32 v27 /*v283*/, 0x100000, v27 /*v283*/
	;; [unrolled: 1-line block ×7, first 2 shown]
	s_set_vgpr_msb 64                       ;  msbs: dst=1 src0=0 src1=0 src2=0
	v_and_b32_e32 v67 /*v323*/, 0x1000, v230
	s_set_vgpr_msb 4                        ;  msbs: dst=0 src0=0 src1=1 src2=0
	v_and_b32_e32 v230, 0x100000, v54 /*v310*/
	s_set_vgpr_msb 0                        ;  msbs: dst=0 src0=0 src1=0 src2=0
	v_and_b32_e32 v228, 0x10000000, v228
	s_set_vgpr_msb 0x44                     ;  msbs: dst=1 src0=0 src1=1 src2=0
	v_and_b32_e32 v54 /*v310*/, 16, v55 /*v311*/
	v_and_b32_e32 v55 /*v311*/, 0x1000, v56 /*v312*/
	;; [unrolled: 1-line block ×11, first 2 shown]
	s_set_vgpr_msb 64                       ;  msbs: dst=1 src0=0 src1=0 src2=0
	v_and_b32_e32 v68 /*v324*/, 0x10000000, v231
	s_set_vgpr_msb 21                       ;  msbs: dst=0 src0=1 src1=1 src2=1
	v_or3_b32 v231, v24 /*v280*/, v2 /*v258*/, v22 /*v278*/
	s_set_vgpr_msb 17                       ;  msbs: dst=0 src0=1 src1=0 src2=1
	v_or3_b32 v26, v30 /*v286*/, v26, v28 /*v284*/
	s_set_vgpr_msb 0x54                     ;  msbs: dst=1 src0=0 src1=1 src2=1
	v_or3_b32 v0 /*v256*/, v25, v19 /*v275*/, v20 /*v276*/
	v_and_b32_e32 v25 /*v281*/, 16, v25 /*v281*/
	v_and_b32_e32 v26 /*v282*/, 0x1000, v26 /*v282*/
	;; [unrolled: 1-line block ×4, first 2 shown]
	s_set_vgpr_msb 0                        ;  msbs: dst=0 src0=0 src1=0 src2=0
	v_and_b32_e32 v37, 0x10000000, v37
	s_set_vgpr_msb 0x44                     ;  msbs: dst=1 src0=0 src1=1 src2=0
	v_and_b32_e32 v40 /*v296*/, 16, v40 /*v296*/
	v_and_b32_e32 v42 /*v298*/, 0x100000, v42 /*v298*/
	s_set_vgpr_msb 17                       ;  msbs: dst=0 src0=1 src1=0 src2=1
	v_and_b32_e32 v34, 0x10000000, v34
	v_or3_b32 v27, v4 /*v260*/, v27, v27 /*v283*/
	s_set_vgpr_msb 0x55                     ;  msbs: dst=1 src0=1 src1=1 src2=1
	v_or3_b32 v1 /*v257*/, v5 /*v261*/, v6 /*v262*/, v33 /*v289*/
	s_set_vgpr_msb 0x50                     ;  msbs: dst=1 src0=0 src1=0 src2=1
	v_or3_b32 v6 /*v262*/, v230, v228, v52 /*v308*/
	s_set_vgpr_msb 20                       ;  msbs: dst=0 src0=0 src1=1 src2=1
	v_or3_b32 v25, v231, v23 /*v279*/, v3 /*v259*/
	s_set_vgpr_msb 4                        ;  msbs: dst=0 src0=0 src1=1 src2=0
	v_or3_b32 v228, v26, v29 /*v285*/, v32
	s_set_vgpr_msb 1                        ;  msbs: dst=0 src0=1 src1=0 src2=0
	v_dot4_i32_iu8 v26, v0 /*v256*/, v38, 0 neg_lo:[1,1,0]
	s_set_vgpr_msb 0x44                     ;  msbs: dst=1 src0=0 src1=1 src2=0
	v_dual_lshlrev_b32 v37 /*v293*/, 4, v9 /*v265*/ :: v_dual_lshlrev_b32 v38 /*v294*/, 11, v9 /*v265*/
	v_dual_lshlrev_b32 v39 /*v295*/, 18, v9 /*v265*/ :: v_dual_lshlrev_b32 v9 /*v265*/, 25, v9 /*v265*/
	s_set_vgpr_msb 0                        ;  msbs: dst=0 src0=0 src1=0 src2=0
	v_and_b32_e32 v227, 0xf0f0f0f, v227
	s_set_vgpr_msb 0x44                     ;  msbs: dst=1 src0=0 src1=1 src2=0
	v_and_b32_e32 v31 /*v287*/, 16, v31 /*v287*/
	v_and_b32_e32 v32 /*v288*/, 0x1000, v32 /*v288*/
	;; [unrolled: 1-line block ×6, first 2 shown]
	s_set_vgpr_msb 17                       ;  msbs: dst=0 src0=1 src1=0 src2=1
	v_and_b32_e32 v35, 0x10000000, v35
	v_or3_b32 v37, v36 /*v292*/, v37, v34 /*v290*/
	v_or3_b32 v34, v42 /*v298*/, v34, v40 /*v296*/
	s_set_vgpr_msb 20                       ;  msbs: dst=0 src0=0 src1=1 src2=1
	v_or3_b32 v230, v27, v25 /*v281*/, v26 /*v282*/
	s_set_vgpr_msb 0                        ;  msbs: dst=0 src0=0 src1=0 src2=0
	v_dot4_i32_iu8 v32, v25, v39, 0 neg_lo:[1,1,0]
	v_cvt_f32_i32_e32 v26, v26
	v_and_b32_e32 v33, 0xf0f0f0f, v33
	v_and_b32_e32 v255, 0xf0f0f0f, v255
	s_set_vgpr_msb 0x44                     ;  msbs: dst=1 src0=0 src1=1 src2=0
	v_and_b32_e32 v39 /*v295*/, 0x100000, v39 /*v295*/
	v_and_b32_e32 v9 /*v265*/, 0x10000000, v9 /*v265*/
	;; [unrolled: 1-line block ×5, first 2 shown]
	s_set_vgpr_msb 0x51                     ;  msbs: dst=1 src0=1 src1=0 src2=1
	v_or3_b32 v4 /*v260*/, v48 /*v304*/, v35, v46 /*v302*/
	s_set_vgpr_msb 21                       ;  msbs: dst=0 src0=1 src1=1 src2=1
	v_or3_b32 v35, v1 /*v257*/, v31 /*v287*/, v32 /*v288*/
	s_set_vgpr_msb 20                       ;  msbs: dst=0 src0=0 src1=1 src2=1
	v_or3_b32 v37, v37, v35 /*v291*/, v7 /*v263*/
	s_set_vgpr_msb 4                        ;  msbs: dst=0 src0=0 src1=1 src2=0
	v_or3_b32 v34, v34, v41 /*v297*/, v227
	s_set_vgpr_msb 0                        ;  msbs: dst=0 src0=0 src1=0 src2=0
	v_dot4_i32_iu8 v227, v230, v40, 0 neg_lo:[1,1,0]
	v_cvt_f32_i32_e32 v32, v32
	v_fma_f32 v26, v0, v26, -v1
	s_set_vgpr_msb 0x44                     ;  msbs: dst=1 src0=0 src1=1 src2=0
	v_and_b32_e32 v37 /*v293*/, 16, v37 /*v293*/
	v_and_b32_e32 v38 /*v294*/, 0x1000, v38 /*v294*/
	;; [unrolled: 1-line block ×4, first 2 shown]
	s_set_vgpr_msb 17                       ;  msbs: dst=0 src0=1 src1=0 src2=1
	v_or3_b32 v33, v9 /*v265*/, v33, v39 /*v295*/
	s_set_vgpr_msb 0x55                     ;  msbs: dst=1 src0=1 src1=1 src2=1
	v_or3_b32 v2 /*v258*/, v10 /*v266*/, v11 /*v267*/, v45 /*v301*/
	s_set_vgpr_msb 0x51                     ;  msbs: dst=1 src0=1 src1=0 src2=1
	v_or3_b32 v11 /*v267*/, v18 /*v274*/, v255, v62 /*v318*/
	s_set_vgpr_msb 0                        ;  msbs: dst=0 src0=0 src1=0 src2=0
	v_dot4_i32_iu8 v231, v228, v41, 0 neg_lo:[1,1,0]
	v_dot4_i32_iu8 v255, v35, v42, 0 neg_lo:[1,1,0]
	s_set_vgpr_msb 64                       ;  msbs: dst=1 src0=0 src1=0 src2=0
	v_dot4_i32_iu8 v1 /*v257*/, v37, v43, 0 neg_lo:[1,1,0]
	s_set_vgpr_msb 0                        ;  msbs: dst=0 src0=0 src1=0 src2=0
	v_cvt_f32_i32_e32 v227, v227
	v_fma_f32 v32, v0, v32, -v1
	s_wait_loadcnt 0x0
	v_fma_mix_f32 v26, v26, v19, 0 op_sel_hi:[0,1,0]
	s_set_vgpr_msb 20                       ;  msbs: dst=0 src0=0 src1=1 src2=1
	v_or3_b32 v33, v33, v37 /*v293*/, v38 /*v294*/
	s_set_vgpr_msb 21                       ;  msbs: dst=0 src0=1 src1=1 src2=1
	v_or3_b32 v27, v2 /*v258*/, v43 /*v299*/, v44 /*v300*/
	s_set_vgpr_msb 0                        ;  msbs: dst=0 src0=0 src1=0 src2=0
	v_cvt_f32_i32_e32 v231, v231
	s_set_vgpr_msb 0x41                     ;  msbs: dst=1 src0=1 src1=0 src2=0
	v_cvt_f32_i32_e32 v3 /*v259*/, v1 /*v257*/
	s_set_vgpr_msb 64                       ;  msbs: dst=1 src0=0 src1=0 src2=0
	v_cvt_f32_i32_e32 v2 /*v258*/, v255
	s_set_vgpr_msb 0                        ;  msbs: dst=0 src0=0 src1=0 src2=0
	v_fma_f32 v227, v0, v227, -v1
	v_fma_mix_f32 v26, v32, v19, v26 op_sel_hi:[0,1,0]
	v_and_b32_e32 v229, 0xf0f0f0f, v229
	s_set_vgpr_msb 0x44                     ;  msbs: dst=1 src0=0 src1=1 src2=0
	v_and_b32_e32 v47 /*v303*/, 0x1000, v47 /*v303*/
	v_and_b32_e32 v51 /*v307*/, 0x100000, v51 /*v307*/
	;; [unrolled: 1-line block ×3, first 2 shown]
	s_set_vgpr_msb 0                        ;  msbs: dst=0 src0=0 src1=0 src2=0
	v_dot4_i32_iu8 v32, v33, v44, 0 neg_lo:[1,1,0]
	v_dot4_i32_iu8 v255, v34, v45, 0 neg_lo:[1,1,0]
	s_set_vgpr_msb 64                       ;  msbs: dst=1 src0=0 src1=0 src2=0
	v_fma_f32 v1 /*v257*/, v0, v231, -v1
	s_set_vgpr_msb 0x44                     ;  msbs: dst=1 src0=0 src1=1 src2=0
	v_pk_fma_f32 v[2:3] /*v[258:259]*/, v[2:3], v[2:3] /*v[258:259]*/, v[82:83] neg_lo:[0,0,1] neg_hi:[0,0,1]
	s_set_vgpr_msb 0                        ;  msbs: dst=0 src0=0 src1=0 src2=0
	v_fma_mix_f32 v26, v227, v19, v26 op_sel_hi:[0,1,0]
	s_set_vgpr_msb 0x44                     ;  msbs: dst=1 src0=0 src1=1 src2=0
	v_and_b32_e32 v49 /*v305*/, 16, v49 /*v305*/
	v_and_b32_e32 v50 /*v306*/, 0x1000, v50 /*v306*/
	s_set_vgpr_msb 17                       ;  msbs: dst=0 src0=1 src1=0 src2=1
	v_or3_b32 v229, v13 /*v269*/, v229, v51 /*v307*/
	s_set_vgpr_msb 21                       ;  msbs: dst=0 src0=1 src1=1 src2=1
	v_or3_b32 v231, v4 /*v260*/, v47 /*v303*/, v12 /*v268*/
	s_set_vgpr_msb 64                       ;  msbs: dst=1 src0=0 src1=0 src2=0
	v_cvt_f32_i32_e32 v5 /*v261*/, v255
	v_cvt_f32_i32_e32 v4 /*v260*/, v32
	s_set_vgpr_msb 0x41                     ;  msbs: dst=1 src0=1 src1=0 src2=0
	v_pk_mul_f32 v[2:3] /*v[258:259]*/, v[2:3] /*v[258:259]*/, v[24:25] op_sel_hi:[1,0]
	s_set_vgpr_msb 1                        ;  msbs: dst=0 src0=1 src1=0 src2=0
	v_fma_mix_f32 v26, v1 /*v257*/, v19, v26 op_sel_hi:[0,1,0]
	s_set_vgpr_msb 0x44                     ;  msbs: dst=1 src0=0 src1=1 src2=0
	v_and_b32_e32 v14 /*v270*/, 0x10000000, v14 /*v270*/
	s_set_vgpr_msb 20                       ;  msbs: dst=0 src0=0 src1=1 src2=1
	v_or3_b32 v227, v229, v49 /*v305*/, v50 /*v306*/
	s_set_vgpr_msb 0                        ;  msbs: dst=0 src0=0 src1=0 src2=0
	v_dot4_i32_iu8 v32, v231, v47, 0 neg_lo:[1,1,0]
	v_dot4_i32_iu8 v229, v27, v46, 0 neg_lo:[1,1,0]
	s_set_vgpr_msb 0x44                     ;  msbs: dst=1 src0=0 src1=1 src2=0
	v_pk_fma_f32 v[4:5] /*v[260:261]*/, v[2:3], v[4:5] /*v[260:261]*/, v[82:83] neg_lo:[0,0,1] neg_hi:[0,0,1]
	s_set_vgpr_msb 4                        ;  msbs: dst=0 src0=0 src1=1 src2=0
	v_add_f32_e32 v26, v26, v2 /*v258*/
	s_set_vgpr_msb 0x55                     ;  msbs: dst=1 src0=1 src1=1 src2=1
	v_and_b32_e32 v16 /*v272*/, 0x10000000, v16 /*v272*/
	v_or3_b32 v9 /*v265*/, v14 /*v270*/, v15 /*v271*/, v56 /*v312*/
	s_set_vgpr_msb 21                       ;  msbs: dst=0 src0=1 src1=1 src2=1
	v_or3_b32 v255, v6 /*v262*/, v67 /*v323*/, v53 /*v309*/
	s_set_vgpr_msb 64                       ;  msbs: dst=1 src0=0 src1=0 src2=0
	v_cvt_f32_i32_e32 v7 /*v263*/, v32
	v_cvt_f32_i32_e32 v6 /*v262*/, v229
	s_set_vgpr_msb 0x41                     ;  msbs: dst=1 src0=1 src1=0 src2=0
	v_pk_mul_f32 v[4:5] /*v[260:261]*/, v[4:5] /*v[260:261]*/, v[24:25] op_sel_hi:[1,0]
	s_set_vgpr_msb 4                        ;  msbs: dst=0 src0=0 src1=1 src2=0
	v_add_f32_e32 v26, v26, v3 /*v259*/
	s_set_vgpr_msb 0x55                     ;  msbs: dst=1 src0=1 src1=1 src2=1
	v_or3_b32 v10 /*v266*/, v59 /*v315*/, v16 /*v272*/, v57 /*v313*/
	s_set_vgpr_msb 21                       ;  msbs: dst=0 src0=1 src1=1 src2=1
	v_or3_b32 v229, v9 /*v265*/, v54 /*v310*/, v55 /*v311*/
	s_set_vgpr_msb 0                        ;  msbs: dst=0 src0=0 src1=0 src2=0
	v_dot4_i32_iu8 v32, v255, v49, 0 neg_lo:[1,1,0]
	s_set_vgpr_msb 64                       ;  msbs: dst=1 src0=0 src1=0 src2=0
	v_dot4_i32_iu8 v9 /*v265*/, v227, v48, 0 neg_lo:[1,1,0]
	s_set_vgpr_msb 0x44                     ;  msbs: dst=1 src0=0 src1=1 src2=0
	v_pk_fma_f32 v[2:3] /*v[258:259]*/, v[4:5], v[6:7] /*v[262:263]*/, v[80:81] neg_lo:[0,0,1] neg_hi:[0,0,1]
	s_set_vgpr_msb 1                        ;  msbs: dst=0 src0=1 src1=0 src2=0
	v_add_f32_e32 v26, v4 /*v260*/, v26
	s_set_vgpr_msb 0x55                     ;  msbs: dst=1 src0=1 src1=1 src2=1
	v_and_b32_e32 v66 /*v322*/, 0x100000, v66 /*v322*/
	v_or3_b32 v1 /*v257*/, v10 /*v266*/, v58 /*v314*/, v17 /*v273*/
	s_set_vgpr_msb 64                       ;  msbs: dst=1 src0=0 src1=0 src2=0
	v_cvt_f32_i32_e32 v7 /*v263*/, v32
	s_set_vgpr_msb 0x41                     ;  msbs: dst=1 src0=1 src1=0 src2=0
	v_cvt_f32_i32_e32 v6 /*v262*/, v9 /*v265*/
	v_pk_mul_f32 v[2:3] /*v[258:259]*/, v[2:3] /*v[258:259]*/, v[18:19] op_sel_hi:[1,0]
	s_set_vgpr_msb 4                        ;  msbs: dst=0 src0=0 src1=1 src2=0
	v_add_f32_e32 v26, v26, v5 /*v261*/
	s_set_vgpr_msb 21                       ;  msbs: dst=0 src0=1 src1=1 src2=1
	v_or3_b32 v32, v66 /*v322*/, v68 /*v324*/, v63 /*v319*/
	s_set_vgpr_msb 0x41                     ;  msbs: dst=1 src0=1 src1=0 src2=0
	v_dot4_i32_iu8 v9 /*v265*/, v1 /*v257*/, v51, 0 neg_lo:[1,1,0]
	s_set_vgpr_msb 64                       ;  msbs: dst=1 src0=0 src1=0 src2=0
	v_dot4_i32_iu8 v10 /*v266*/, v229, v50, 0 neg_lo:[1,1,0]
	s_set_vgpr_msb 0x44                     ;  msbs: dst=1 src0=0 src1=1 src2=0
	v_pk_fma_f32 v[4:5] /*v[260:261]*/, v[4:5], v[6:7] /*v[262:263]*/, v[80:81] neg_lo:[0,0,1] neg_hi:[0,0,1]
	s_set_vgpr_msb 4                        ;  msbs: dst=0 src0=0 src1=1 src2=0
	v_add_f32_e32 v26, v26, v2 /*v258*/
	s_set_vgpr_msb 0x54                     ;  msbs: dst=1 src0=0 src1=1 src2=1
	v_or3_b32 v2 /*v258*/, v32, v64 /*v320*/, v65 /*v321*/
	s_set_vgpr_msb 0x41                     ;  msbs: dst=1 src0=1 src1=0 src2=0
	v_cvt_f32_i32_e32 v7 /*v263*/, v9 /*v265*/
	v_cvt_f32_i32_e32 v6 /*v262*/, v10 /*v266*/
	v_pk_mul_f32 v[4:5] /*v[260:261]*/, v[4:5] /*v[260:261]*/, v[18:19] op_sel_hi:[1,0]
	s_set_vgpr_msb 4                        ;  msbs: dst=0 src0=0 src1=1 src2=0
	v_add_f32_e32 v32, v26, v3 /*v259*/
	s_set_vgpr_msb 0x55                     ;  msbs: dst=1 src0=1 src1=1 src2=1
	v_or3_b32 v3 /*v259*/, v11 /*v267*/, v60 /*v316*/, v61 /*v317*/
	s_set_vgpr_msb 1                        ;  msbs: dst=0 src0=1 src1=0 src2=0
	v_cvt_f32_f16_e64 v26, v8 /*v264*/
	s_set_vgpr_msb 0x41                     ;  msbs: dst=1 src0=1 src1=0 src2=0
	v_dot4_i32_iu8 v8 /*v264*/, v2 /*v258*/, v53, 0 neg_lo:[1,1,0]
	s_set_vgpr_msb 0x44                     ;  msbs: dst=1 src0=0 src1=1 src2=0
	v_pk_fma_f32 v[6:7] /*v[262:263]*/, v[6:7], v[6:7] /*v[262:263]*/, v[78:79] neg_lo:[0,0,1] neg_hi:[0,0,1]
	s_set_vgpr_msb 1                        ;  msbs: dst=0 src0=1 src1=0 src2=0
	v_add_f32_e32 v32, v4 /*v260*/, v32
	s_set_vgpr_msb 0x41                     ;  msbs: dst=1 src0=1 src1=0 src2=0
	v_dot4_i32_iu8 v4 /*v260*/, v3 /*v259*/, v52, 0 neg_lo:[1,1,0]
	v_cvt_f32_i32_e32 v9 /*v265*/, v8 /*v264*/
	v_pk_mul_f32 v[6:7] /*v[262:263]*/, v[6:7] /*v[262:263]*/, v[26:27] op_sel_hi:[1,0]
	s_set_vgpr_msb 4                        ;  msbs: dst=0 src0=0 src1=1 src2=0
	v_add_f32_e32 v32, v32, v5 /*v261*/
	s_set_vgpr_msb 0x41                     ;  msbs: dst=1 src0=1 src1=0 src2=0
	v_cvt_f32_i32_e32 v8 /*v264*/, v4 /*v260*/
	s_set_vgpr_msb 4                        ;  msbs: dst=0 src0=0 src1=1 src2=0
	s_delay_alu instid0(VALU_DEP_2) | instskip(SKIP_1) | instid1(VALU_DEP_2)
	v_add_f32_e32 v32, v32, v6 /*v262*/
	s_set_vgpr_msb 0x44                     ;  msbs: dst=1 src0=0 src1=1 src2=0
	v_pk_fma_f32 v[4:5] /*v[260:261]*/, v[6:7], v[8:9] /*v[264:265]*/, v[78:79] neg_lo:[0,0,1] neg_hi:[0,0,1]
	s_set_vgpr_msb 4                        ;  msbs: dst=0 src0=0 src1=1 src2=0
	s_delay_alu instid0(VALU_DEP_2) | instskip(SKIP_1) | instid1(VALU_DEP_2)
	v_add_f32_e32 v32, v32, v7 /*v263*/
	s_set_vgpr_msb 0x41                     ;  msbs: dst=1 src0=1 src1=0 src2=0
	v_pk_mul_f32 v[4:5] /*v[260:261]*/, v[4:5] /*v[260:261]*/, v[26:27] op_sel_hi:[1,0]
	s_set_vgpr_msb 1                        ;  msbs: dst=0 src0=1 src1=0 src2=0
	s_delay_alu instid0(VALU_DEP_1) | instskip(SKIP_1) | instid1(VALU_DEP_1)
	v_add_f32_e32 v32, v4 /*v260*/, v32
	s_set_vgpr_msb 4                        ;  msbs: dst=0 src0=0 src1=1 src2=0
	v_add_f32_e32 v32, v32, v5 /*v261*/
	s_set_vgpr_msb 64                       ;  msbs: dst=1 src0=0 src1=0 src2=0
	ds_bpermute_b32 v4 /*v260*/, v241, v32
	s_wait_dscnt 0x0
	s_set_vgpr_msb 4                        ;  msbs: dst=0 src0=0 src1=1 src2=0
	v_add_f32_e32 v32, v32, v4 /*v260*/
	s_set_vgpr_msb 0                        ;  msbs: dst=0 src0=0 src1=0 src2=0
	s_cbranch_vccnz .LBB19_23
; %bb.22:                               ;   in Loop: Header=BB19_17 Depth=1
	global_load_u16 v16, v[16:17], off
	s_wait_loadcnt 0x0
	v_fma_mix_f32 v32, v239, v16, v32 op_sel_hi:[0,1,0]
.LBB19_23:                              ;   in Loop: Header=BB19_17 Depth=1
	s_set_vgpr_msb 1                        ;  msbs: dst=0 src0=1 src1=0 src2=0
	v_dot4_i32_iu8 v16, v0 /*v256*/, v54, 0 neg_lo:[1,1,0]
	s_set_vgpr_msb 0                        ;  msbs: dst=0 src0=0 src1=0 src2=0
	v_dot4_i32_iu8 v17, v25, v55, 0 neg_lo:[1,1,0]
	v_dot4_i32_iu8 v230, v230, v56, 0 neg_lo:[1,1,0]
	v_cvt_f32_f16_e32 v19, v19
	v_dot4_i32_iu8 v228, v228, v57, 0 neg_lo:[1,1,0]
	v_cvt_f32_i32_e32 v16, v16
	v_cvt_f32_i32_e32 v17, v17
	;; [unrolled: 1-line block ×3, first 2 shown]
	v_dot4_i32_iu8 v35, v35, v58, 0 neg_lo:[1,1,0]
	v_dot4_i32_iu8 v37, v37, v59, 0 neg_lo:[1,1,0]
	v_fma_f32 v16, v8, v16, -v9
	s_set_vgpr_msb 64                       ;  msbs: dst=1 src0=0 src1=0 src2=0
	v_fma_f32 v0 /*v256*/, v8, v17, -v9
	s_set_vgpr_msb 0                        ;  msbs: dst=0 src0=0 src1=0 src2=0
	v_cvt_f32_i32_e32 v228, v228
	v_mov_b32_e32 v25, v24
	v_cvt_f32_i32_e32 v17, v37
	s_set_vgpr_msb 64                       ;  msbs: dst=1 src0=0 src1=0 src2=0
	v_fma_f32 v4 /*v260*/, v16, v19, 0
	s_set_vgpr_msb 0                        ;  msbs: dst=0 src0=0 src1=0 src2=0
	v_cvt_f32_i32_e32 v16, v35
	v_dual_fma_f32 v35, v8, v230, -v9 :: v_dual_fma_f32 v37, v8, v228, -v9
	v_dot4_i32_iu8 v33, v33, v60, 0 neg_lo:[1,1,0]
	s_set_vgpr_msb 0x41                     ;  msbs: dst=1 src0=1 src1=0 src2=0
	v_fmac_f32_e32 v4 /*v260*/, v0 /*v256*/, v19
	s_set_vgpr_msb 0                        ;  msbs: dst=0 src0=0 src1=0 src2=0
	v_dot4_i32_iu8 v34, v34, v61, 0 neg_lo:[1,1,0]
	v_pk_fma_f32 v[16:17], v[10:11], v[16:17], v[76:77] neg_lo:[0,0,1] neg_hi:[0,0,1]
	v_dot4_i32_iu8 v27, v27, v62, 0 neg_lo:[1,1,0]
	s_and_not1_b32 vcc_lo, exec_lo, s8
	s_set_vgpr_msb 64                       ;  msbs: dst=1 src0=0 src1=0 src2=0
	v_fmac_f32_e32 v4 /*v260*/, v35, v19
	s_set_vgpr_msb 0                        ;  msbs: dst=0 src0=0 src1=0 src2=0
	v_cvt_f32_i32_e32 v35, v34
	v_cvt_f32_i32_e32 v34, v33
	v_cvt_f32_i32_e32 v230, v27
	v_dot4_i32_iu8 v33, v255, v65, 0 neg_lo:[1,1,0]
	s_set_vgpr_msb 64                       ;  msbs: dst=1 src0=0 src1=0 src2=0
	v_fmac_f32_e32 v4 /*v260*/, v37, v19
	s_set_vgpr_msb 0                        ;  msbs: dst=0 src0=0 src1=0 src2=0
	v_dot4_i32_iu8 v19, v231, v63, 0 neg_lo:[1,1,0]
	v_pk_fma_f32 v[34:35], v[10:11], v[34:35], v[76:77] neg_lo:[0,0,1] neg_hi:[0,0,1]
	v_dot4_i32_iu8 v37, v229, v66, 0 neg_lo:[1,1,0]
	s_delay_alu instid0(VALU_DEP_3)
	v_cvt_f32_i32_e32 v231, v19
	v_mov_b32_e32 v19, v18
	v_pk_mul_f32 v[16:17], v[16:17], v[24:25]
	v_pk_mul_f32 v[24:25], v[34:35], v[24:25]
	v_dot4_i32_iu8 v34, v227, v64, 0 neg_lo:[1,1,0]
	v_cvt_f32_i32_e32 v35, v33
	s_set_vgpr_msb 1                        ;  msbs: dst=0 src0=1 src1=0 src2=0
	v_dot4_i32_iu8 v33, v1 /*v257*/, v67, 0 neg_lo:[1,1,0]
	v_add_f32_e32 v16, v4 /*v260*/, v16
	s_set_vgpr_msb 0                        ;  msbs: dst=0 src0=0 src1=0 src2=0
	v_cvt_f32_i32_e32 v34, v34
	s_delay_alu instid0(VALU_DEP_2) | instskip(SKIP_1) | instid1(VALU_DEP_1)
	v_add_f32_e32 v27, v16, v17
	v_pk_fma_f32 v[16:17], v[12:13], v[230:231], v[74:75] neg_lo:[0,0,1] neg_hi:[0,0,1]
	v_pk_mul_f32 v[16:17], v[16:17], v[18:19]
	s_delay_alu instid0(VALU_DEP_3) | instskip(NEXT) | instid1(VALU_DEP_1)
	v_add_f32_e32 v24, v24, v27
	v_add_f32_e32 v27, v24, v25
	v_pk_fma_f32 v[24:25], v[12:13], v[34:35], v[74:75] neg_lo:[0,0,1] neg_hi:[0,0,1]
	v_cvt_f32_i32_e32 v35, v33
	v_cvt_f32_i32_e32 v34, v37
	s_delay_alu instid0(VALU_DEP_4) | instskip(NEXT) | instid1(VALU_DEP_4)
	v_add_f32_e32 v16, v27, v16
	v_pk_mul_f32 v[18:19], v[24:25], v[18:19]
	v_mov_b32_e32 v27, v26
	s_set_vgpr_msb 1                        ;  msbs: dst=0 src0=1 src1=0 src2=0
	v_dot4_i32_iu8 v25, v2 /*v258*/, v69, 0 neg_lo:[1,1,0]
	s_set_vgpr_msb 0                        ;  msbs: dst=0 src0=0 src1=0 src2=0
	v_add_f32_e32 v24, v16, v17
	v_pk_fma_f32 v[16:17], v[14:15], v[34:35], v[72:73] neg_lo:[0,0,1] neg_hi:[0,0,1]
	s_delay_alu instid0(VALU_DEP_3) | instskip(NEXT) | instid1(VALU_DEP_3)
	v_cvt_f32_i32_e32 v25, v25
	v_add_f32_e32 v18, v18, v24
	s_set_vgpr_msb 1                        ;  msbs: dst=0 src0=1 src1=0 src2=0
	v_dot4_i32_iu8 v24, v3 /*v259*/, v68, 0 neg_lo:[1,1,0]
	s_set_vgpr_msb 0                        ;  msbs: dst=0 src0=0 src1=0 src2=0
	v_pk_mul_f32 v[16:17], v[16:17], v[26:27]
	v_add_f32_e32 v18, v18, v19
	s_delay_alu instid0(VALU_DEP_3) | instskip(NEXT) | instid1(VALU_DEP_2)
	v_cvt_f32_i32_e32 v24, v24
	v_add_f32_e32 v16, v18, v16
	s_delay_alu instid0(VALU_DEP_2) | instskip(NEXT) | instid1(VALU_DEP_2)
	v_pk_fma_f32 v[18:19], v[14:15], v[24:25], v[72:73] neg_lo:[0,0,1] neg_hi:[0,0,1]
	v_add_f32_e32 v24, v16, v17
	s_delay_alu instid0(VALU_DEP_2) | instskip(NEXT) | instid1(VALU_DEP_1)
	v_pk_mul_f32 v[16:17], v[18:19], v[26:27]
	v_add_f32_e32 v16, v16, v24
	s_delay_alu instid0(VALU_DEP_1)
	v_add_f32_e32 v16, v16, v17
	ds_bpermute_b32 v17, v241, v16
	s_wait_dscnt 0x0
	v_add_f32_e32 v16, v16, v17
	s_cbranch_vccnz .LBB19_25
; %bb.24:                               ;   in Loop: Header=BB19_17 Depth=1
	v_add_nc_u64_e32 v[18:19], s[14:15], v[92:93]
	global_load_u16 v17, v[18:19], off
	s_wait_loadcnt 0x0
	v_fma_mix_f32 v16, v239, v17, v16 op_sel_hi:[0,1,0]
.LBB19_25:                              ;   in Loop: Header=BB19_17 Depth=1
	v_add_nc_u64_e32 v[18:19], s[4:5], v[98:99]
	v_add_nc_u64_e32 v[24:25], s[4:5], v[94:95]
	;; [unrolled: 1-line block ×5, first 2 shown]
	v_add_f32_e32 v17, 0x40051340, v30
	s_set_vgpr_msb 64                       ;  msbs: dst=1 src0=0 src1=0 src2=0
	v_cndmask_b32_e64 v6 /*v262*/, v16, v31, s1
	s_set_vgpr_msb 0                        ;  msbs: dst=0 src0=0 src1=0 src2=0
	global_load_b32 v37, v[18:19], off
	global_load_b32 v255, v[24:25], off offset:2
	s_wait_xcnt 0x1
	v_add_nc_u64_e32 v[18:19], s[4:5], v[224:225]
	s_set_vgpr_msb 64                       ;  msbs: dst=1 src0=0 src1=0 src2=0
	global_load_u16 v12 /*v268*/, v[24:25], off
	global_load_b32 v13 /*v269*/, v[34:35], off
	global_load_b32 v14 /*v270*/, v[26:27], off offset:2
	s_wait_xcnt 0x1
	s_set_vgpr_msb 0                        ;  msbs: dst=0 src0=0 src1=0 src2=0
	v_add_nc_u64_e32 v[34:35], s[4:5], v[218:219]
	v_add_nc_u64_e32 v[24:25], s[4:5], v[220:221]
	s_set_vgpr_msb 64                       ;  msbs: dst=1 src0=0 src1=0 src2=0
	global_load_u16 v15 /*v271*/, v[26:27], off
	global_load_b32 v16 /*v272*/, v[228:229], off
	global_load_b32 v17 /*v273*/, v[18:19], off offset:2
	s_wait_xcnt 0x1
	s_set_vgpr_msb 0                        ;  msbs: dst=0 src0=0 src1=0 src2=0
	v_add_nc_u64_e32 v[228:229], s[4:5], v[214:215]
	;; [unrolled: 8-line block ×3, first 2 shown]
	v_add_nc_u64_e32 v[18:19], s[4:5], v[212:213]
	s_set_vgpr_msb 64                       ;  msbs: dst=1 src0=0 src1=0 src2=0
	global_load_u16 v21 /*v277*/, v[24:25], off
	global_load_b32 v22 /*v278*/, v[228:229], off
	s_clause 0x1
	global_load_b32 v23 /*v279*/, v[26:27], off offset:2
	global_load_u16 v24 /*v280*/, v[26:27], off
	global_load_b32 v25 /*v281*/, v[34:35], off
	global_load_b32 v26 /*v282*/, v[18:19], off offset:2
	s_wait_xcnt 0x5
	s_set_vgpr_msb 0                        ;  msbs: dst=0 src0=0 src1=0 src2=0
	v_dual_add_f32 v24, 0x40051340, v32 :: v_dual_add_f32 v25, 0x40051340, v31
	s_wait_xcnt 0x2
	v_add_f32_e32 v26, 0x40051340, v16
	s_wait_xcnt 0x1
	v_add_nc_u64_e32 v[34:35], s[4:5], v[200:201]
	s_set_vgpr_msb 64                       ;  msbs: dst=1 src0=0 src1=0 src2=0
	v_add_nc_u64_e32 v[0:1] /*v[256:257]*/, s[4:5], v[194:195]
	s_set_vgpr_msb 0                        ;  msbs: dst=0 src0=0 src1=0 src2=0
	v_max3_num_f32 v17, v29, v17, v24
	v_add_nc_u64_e32 v[230:231], s[4:5], v[196:197]
	v_max3_num_f32 v24, v28, v25, v26
	s_set_vgpr_msb 64                       ;  msbs: dst=1 src0=0 src1=0 src2=0
	v_add_nc_u64_e32 v[2:3] /*v[258:259]*/, s[4:5], v[190:191]
	v_add_nc_u64_e32 v[4:5] /*v[260:261]*/, s[4:5], v[192:193]
	s_set_vgpr_msb 0                        ;  msbs: dst=0 src0=0 src1=0 src2=0
	ds_bpermute_b32 v25, v242, v17
	s_set_vgpr_msb 64                       ;  msbs: dst=1 src0=0 src1=0 src2=0
	v_add_nc_u64_e32 v[10:11] /*v[266:267]*/, s[4:5], v[186:187]
	s_set_vgpr_msb 0                        ;  msbs: dst=0 src0=0 src1=0 src2=0
	ds_bpermute_b32 v26, v242, v24
	s_set_vgpr_msb 64                       ;  msbs: dst=1 src0=0 src1=0 src2=0
	v_add_nc_u64_e32 v[8:9] /*v[264:265]*/, s[4:5], v[188:189]
	s_set_vgpr_msb 0                        ;  msbs: dst=0 src0=0 src1=0 src2=0
	v_add_nc_u64_e32 v[84:85], s[34:35], v[84:85]
	v_add_nc_u64_e32 v[86:87], s[34:35], v[86:87]
	;; [unrolled: 1-line block ×16, first 2 shown]
	s_wait_dscnt 0x1
	v_max_num_f32_e32 v25, v25, v25
	v_add_nc_u64_e32 v[196:197], s[22:23], v[196:197]
	s_wait_dscnt 0x0
	v_max_num_f32_e32 v26, v26, v26
	v_add_nc_u64_e32 v[200:201], s[22:23], v[200:201]
	v_add_nc_u64_e32 v[210:211], s[22:23], v[210:211]
	v_max_num_f32_e32 v17, v17, v25
	v_add_nc_u64_e32 v[212:213], s[22:23], v[212:213]
	v_max_num_f32_e32 v24, v24, v26
	v_add_nc_u64_e32 v[214:215], s[22:23], v[214:215]
	v_add_nc_u64_e32 v[216:217], s[22:23], v[216:217]
	ds_bpermute_b32 v25, v243, v17
	v_add_nc_u64_e32 v[218:219], s[22:23], v[218:219]
	ds_bpermute_b32 v26, v243, v24
	v_add_nc_u64_e32 v[220:221], s[22:23], v[220:221]
	v_add_nc_u64_e32 v[222:223], s[22:23], v[222:223]
	;; [unrolled: 1-line block ×3, first 2 shown]
	s_add_co_i32 s49, s49, s30
	v_cndmask_b32_e64 v228, v226, v30, s1
	v_add_nc_u64_e32 v[30:31], s[4:5], v[202:203]
	v_add_nc_u64_e32 v[226:227], s[4:5], v[198:199]
	;; [unrolled: 1-line block ×4, first 2 shown]
	s_cmp_ge_i32 s49, s29
	s_wait_dscnt 0x0
	v_dual_max_num_f32 v25, v25, v25 :: v_dual_max_num_f32 v26, v26, v26
	s_delay_alu instid0(VALU_DEP_1) | instskip(SKIP_4) | instid1(VALU_DEP_1)
	v_dual_max_num_f32 v17, v17, v25 :: v_dual_max_num_f32 v24, v24, v26
	ds_bpermute_b32 v25, v244, v17
	ds_bpermute_b32 v26, v244, v24
	s_wait_dscnt 0x0
	v_dual_max_num_f32 v25, v25, v25 :: v_dual_max_num_f32 v26, v26, v26
	v_max_num_f32_e32 v33, v17, v25
	v_add_nc_u64_e32 v[16:17], s[4:5], v[208:209]
	s_delay_alu instid0(VALU_DEP_3)
	v_max_num_f32_e32 v229, v24, v26
	v_add_nc_u64_e32 v[24:25], s[4:5], v[206:207]
	s_set_vgpr_msb 64                       ;  msbs: dst=1 src0=0 src1=0 src2=0
	global_load_u16 v28 /*v284*/, v[18:19], off
	global_load_b32 v29 /*v285*/, v[24:25], off
	s_clause 0x1
	global_load_b32 v30 /*v286*/, v[16:17], off offset:2
	global_load_u16 v31 /*v287*/, v[16:17], off
	global_load_b32 v32 /*v288*/, v[30:31], off
	s_set_vgpr_msb 0                        ;  msbs: dst=0 src0=0 src1=0 src2=0
	v_add_nc_u64_e32 v[26:27], s[4:5], v[204:205]
	s_set_vgpr_msb 64                       ;  msbs: dst=1 src0=0 src1=0 src2=0
	s_clause 0x1
	global_load_b32 v33 /*v289*/, v[26:27], off offset:2
	global_load_u16 v34 /*v290*/, v[26:27], off
	global_load_b32 v35 /*v291*/, v[226:227], off
	ds_bpermute_b32 v7 /*v263*/, v245, v33
	s_set_vgpr_msb 0                        ;  msbs: dst=0 src0=0 src1=0 src2=0
	v_cndmask_b32_e64 v32, v32, v228, s1
	v_add_nc_u64_e32 v[204:205], s[22:23], v[204:205]
	v_add_nc_u64_e32 v[206:207], s[22:23], v[206:207]
	;; [unrolled: 1-line block ×3, first 2 shown]
	s_wait_loadcnt 0x18
	v_ashrrev_i32_e32 v37, v251, v37
	s_wait_loadcnt 0x17
	s_set_vgpr_msb 64                       ;  msbs: dst=1 src0=0 src1=0 src2=0
	v_dual_lshrrev_b32 v51 /*v307*/, v247, v255 :: v_dual_lshrrev_b32 v52 /*v308*/, v252, v255
	v_lshrrev_b32_e32 v53 /*v309*/, v253, v255
	s_set_vgpr_msb 0                        ;  msbs: dst=0 src0=0 src1=0 src2=0
	v_lshrrev_b32_e32 v255, v254, v255
	s_wait_loadcnt 0x14
	s_set_vgpr_msb 0x44                     ;  msbs: dst=1 src0=0 src1=1 src2=0
	v_dual_ashrrev_i32 v13 /*v269*/, v251, v13 /*v269*/ :: v_dual_lshrrev_b32 v55 /*v311*/, v252, v14 /*v270*/
	v_dual_lshrrev_b32 v54 /*v310*/, v247, v14 /*v270*/ :: v_dual_lshrrev_b32 v56 /*v312*/, v253, v14 /*v270*/
	s_wait_loadcnt 0x12
	v_dual_lshrrev_b32 v14 /*v270*/, v254, v14 /*v270*/ :: v_dual_ashrrev_i32 v16 /*v272*/, v251, v16 /*v272*/
	v_dual_lshlrev_b32 v52 /*v308*/, 12, v52 /*v308*/ :: v_dual_lshlrev_b32 v53 /*v309*/, 20, v53 /*v309*/
	s_wait_loadcnt 0x8
	v_dual_lshlrev_b32 v51 /*v307*/, 4, v51 /*v307*/ :: v_dual_lshrrev_b32 v66 /*v322*/, v247, v26 /*v282*/
	s_set_vgpr_msb 0                        ;  msbs: dst=0 src0=0 src1=0 src2=0
	v_lshlrev_b32_e32 v255, 28, v255
	s_set_vgpr_msb 0x44                     ;  msbs: dst=1 src0=0 src1=1 src2=0
	v_dual_lshlrev_b32 v54 /*v310*/, 4, v54 /*v310*/ :: v_dual_lshlrev_b32 v55 /*v311*/, 12, v55 /*v311*/
	v_dual_lshlrev_b32 v56 /*v312*/, 20, v56 /*v312*/ :: v_dual_lshlrev_b32 v14 /*v270*/, 28, v14 /*v270*/
	v_dual_lshrrev_b32 v57 /*v313*/, v247, v17 /*v273*/ :: v_dual_lshrrev_b32 v58 /*v314*/, v252, v17 /*v273*/
	v_dual_lshrrev_b32 v59 /*v315*/, v253, v17 /*v273*/ :: v_dual_lshrrev_b32 v17 /*v273*/, v254, v17 /*v273*/
	s_set_vgpr_msb 0                        ;  msbs: dst=0 src0=0 src1=0 src2=0
	v_and_b32_e32 v37, 0xf0f0f0f, v37
	s_set_vgpr_msb 0x44                     ;  msbs: dst=1 src0=0 src1=1 src2=0
	v_and_b32_e32 v13 /*v269*/, 0xf0f0f0f, v13 /*v269*/
	v_and_b32_e32 v51 /*v307*/, 16, v51 /*v307*/
	;; [unrolled: 1-line block ×4, first 2 shown]
	s_set_vgpr_msb 0                        ;  msbs: dst=0 src0=0 src1=0 src2=0
	v_and_b32_e32 v255, 0x10000000, v255
	s_set_vgpr_msb 0x44                     ;  msbs: dst=1 src0=0 src1=1 src2=0
	v_and_b32_e32 v54 /*v310*/, 16, v54 /*v310*/
	v_and_b32_e32 v55 /*v311*/, 0x1000, v55 /*v311*/
	;; [unrolled: 1-line block ×4, first 2 shown]
	v_dual_lshlrev_b32 v57 /*v313*/, 4, v57 /*v313*/ :: v_dual_lshlrev_b32 v58 /*v314*/, 12, v58 /*v314*/
	v_dual_lshlrev_b32 v59 /*v315*/, 20, v59 /*v315*/ :: v_dual_lshlrev_b32 v17 /*v273*/, 28, v17 /*v273*/
	s_set_vgpr_msb 0x51                     ;  msbs: dst=1 src0=1 src1=0 src2=1
	v_or3_b32 v51 /*v307*/, v51 /*v307*/, v37, v52 /*v308*/
	s_set_vgpr_msb 4                        ;  msbs: dst=0 src0=0 src1=1 src2=0
	v_or3_b32 v37, v37, v53 /*v309*/, v255
	s_set_vgpr_msb 21                       ;  msbs: dst=0 src0=1 src1=1 src2=1
	v_or3_b32 v255, v54 /*v310*/, v13 /*v269*/, v55 /*v311*/
	s_set_vgpr_msb 0x55                     ;  msbs: dst=1 src0=1 src1=1 src2=1
	v_or3_b32 v13 /*v269*/, v13 /*v269*/, v56 /*v312*/, v14 /*v270*/
	s_set_vgpr_msb 0x44                     ;  msbs: dst=1 src0=0 src1=1 src2=0
	v_dual_ashrrev_i32 v19 /*v275*/, v251, v19 /*v275*/ :: v_dual_lshrrev_b32 v61 /*v317*/, v252, v20 /*v276*/
	v_dual_lshrrev_b32 v60 /*v316*/, v247, v20 /*v276*/ :: v_dual_lshrrev_b32 v62 /*v318*/, v253, v20 /*v276*/
	v_dual_lshrrev_b32 v20 /*v276*/, v254, v20 /*v276*/ :: v_dual_ashrrev_i32 v22 /*v278*/, v251, v22 /*v278*/
	v_dual_lshrrev_b32 v63 /*v319*/, v247, v23 /*v279*/ :: v_dual_lshrrev_b32 v64 /*v320*/, v252, v23 /*v279*/
	v_dual_lshrrev_b32 v65 /*v321*/, v253, v23 /*v279*/ :: v_dual_lshrrev_b32 v23 /*v279*/, v254, v23 /*v279*/
	v_and_b32_e32 v16 /*v272*/, 0xf0f0f0f, v16 /*v272*/
	v_and_b32_e32 v57 /*v313*/, 16, v57 /*v313*/
	;; [unrolled: 1-line block ×5, first 2 shown]
	v_dual_lshrrev_b32 v13 /*v269*/, 16, v13 /*v269*/ :: v_dual_lshlrev_b32 v60 /*v316*/, 4, v60 /*v316*/
	v_dual_lshlrev_b32 v61 /*v317*/, 12, v61 /*v317*/ :: v_dual_lshlrev_b32 v62 /*v318*/, 20, v62 /*v318*/
	v_dual_lshlrev_b32 v20 /*v276*/, 28, v20 /*v276*/ :: v_dual_lshlrev_b32 v63 /*v319*/, 4, v63 /*v319*/
	;; [unrolled: 1-line block ×3, first 2 shown]
	v_lshlrev_b32_e32 v23 /*v279*/, 28, v23 /*v279*/
	s_set_vgpr_msb 0x55                     ;  msbs: dst=1 src0=1 src1=1 src2=1
	v_or3_b32 v14 /*v270*/, v57 /*v313*/, v16 /*v272*/, v58 /*v314*/
	v_or3_b32 v16 /*v272*/, v16 /*v272*/, v59 /*v315*/, v17 /*v273*/
	v_lshlrev_b16 v59 /*v315*/, 8, v13 /*v269*/
	v_and_b32_e32 v13 /*v269*/, 0x1f00, v13 /*v269*/
	v_and_b32_e32 v19 /*v275*/, 0xf0f0f0f, v19 /*v275*/
	;; [unrolled: 1-line block ×10, first 2 shown]
	v_add_nc_u16 v13 /*v269*/, 0xf000, v13 /*v269*/
	v_and_b32_e32 v63 /*v319*/, 16, v63 /*v319*/
	v_or3_b32 v17 /*v273*/, v60 /*v316*/, v19 /*v275*/, v61 /*v317*/
	v_or3_b32 v19 /*v275*/, v19 /*v275*/, v62 /*v318*/, v20 /*v276*/
	v_lshlrev_b16 v52 /*v308*/, 8, v51 /*v307*/
	v_lshrrev_b32_e32 v13 /*v269*/, 8, v13 /*v269*/
	v_or3_b32 v20 /*v276*/, v63 /*v319*/, v22 /*v278*/, v64 /*v320*/
	v_or3_b32 v22 /*v278*/, v22 /*v278*/, v65 /*v321*/, v23 /*v279*/
	s_set_vgpr_msb 0                        ;  msbs: dst=0 src0=0 src1=0 src2=0
	v_lshrrev_b32_e32 v37, 16, v37
	s_set_vgpr_msb 64                       ;  msbs: dst=1 src0=0 src1=0 src2=0
	v_lshlrev_b16 v53 /*v309*/, 8, v255
	s_set_vgpr_msb 0x44                     ;  msbs: dst=1 src0=0 src1=1 src2=0
	v_lshlrev_b16 v55 /*v311*/, 8, v17 /*v273*/
	v_add_nc_u16 v52 /*v308*/, 0xf000, v52 /*v308*/
	v_lshrrev_b32_e32 v22 /*v278*/, 16, v22 /*v278*/
	v_lshlrev_b16 v54 /*v310*/, 8, v14 /*v270*/
	v_lshlrev_b16 v56 /*v312*/, 8, v20 /*v276*/
	s_set_vgpr_msb 64                       ;  msbs: dst=1 src0=0 src1=0 src2=0
	v_lshlrev_b16 v58 /*v314*/, 8, v37
	s_set_vgpr_msb 0                        ;  msbs: dst=0 src0=0 src1=0 src2=0
	v_and_b32_e32 v37, 0x1f00, v37
	s_set_vgpr_msb 0x44                     ;  msbs: dst=1 src0=0 src1=1 src2=0
	v_lshlrev_b16 v62 /*v318*/, 8, v22 /*v278*/
	v_and_b32_e32 v22 /*v278*/, 0x1f00, v22 /*v278*/
	v_add_nc_u16 v53 /*v309*/, 0xf000, v53 /*v309*/
	v_add_nc_u16 v55 /*v311*/, 0xf000, v55 /*v311*/
	v_lshrrev_b16 v52 /*v308*/, 8, v52 /*v308*/
	v_lshrrev_b32_e32 v16 /*v272*/, 16, v16 /*v272*/
	v_add_nc_u16 v22 /*v278*/, 0xf000, v22 /*v278*/
	s_wait_dscnt 0x0
	s_wait_xcnt 0x4
	s_set_vgpr_msb 5                        ;  msbs: dst=0 src0=1 src1=1 src2=0
	v_max_num_f32_e32 v16, v7 /*v263*/, v7 /*v263*/
	s_set_vgpr_msb 0x44                     ;  msbs: dst=1 src0=0 src1=1 src2=0
	v_add_nc_u16 v54 /*v310*/, 0xf000, v54 /*v310*/
	v_add_nc_u16 v56 /*v312*/, 0xf000, v56 /*v312*/
	s_set_vgpr_msb 0                        ;  msbs: dst=0 src0=0 src1=0 src2=0
	v_add_nc_u16 v37, 0xf000, v37
	s_set_vgpr_msb 0x44                     ;  msbs: dst=1 src0=0 src1=1 src2=0
	v_lshrrev_b16 v53 /*v309*/, 8, v53 /*v309*/
	s_set_vgpr_msb 0                        ;  msbs: dst=0 src0=0 src1=0 src2=0
	v_max_num_f32_e32 v228, v33, v16
	s_set_vgpr_msb 64                       ;  msbs: dst=1 src0=0 src1=0 src2=0
	ds_bpermute_b32 v27 /*v283*/, v245, v229
	s_set_vgpr_msb 0x45                     ;  msbs: dst=1 src0=1 src1=1 src2=0
	v_lshrrev_b16 v55 /*v311*/, 8, v55 /*v311*/
	v_bitop3_b16 v51 /*v307*/, v51 /*v307*/, v52 /*v308*/, 0x1f00 bitop3:0xec
	v_lshrrev_b32_e32 v19 /*v275*/, 16, v19 /*v275*/
	s_set_vgpr_msb 0                        ;  msbs: dst=0 src0=0 src1=0 src2=0
	v_sub_f32_e32 v16, v29, v228
	s_set_vgpr_msb 0x44                     ;  msbs: dst=1 src0=0 src1=1 src2=0
	v_lshlrev_b16 v60 /*v316*/, 8, v16 /*v272*/
	v_and_b32_e32 v16 /*v272*/, 0x1f00, v16 /*v272*/
	v_add_nc_u16 v58 /*v314*/, 0xf000, v58 /*v314*/
	v_lshrrev_b16 v54 /*v310*/, 8, v54 /*v310*/
	v_lshrrev_b16 v56 /*v312*/, 8, v56 /*v312*/
	s_set_vgpr_msb 0                        ;  msbs: dst=0 src0=0 src1=0 src2=0
	v_lshrrev_b32_e32 v37, 8, v37
	s_set_vgpr_msb 4                        ;  msbs: dst=0 src0=0 src1=1 src2=0
	v_bitop3_b16 v255, v255, v53 /*v309*/, 0x1f00 bitop3:0xec
	s_set_vgpr_msb 0x45                     ;  msbs: dst=1 src0=1 src1=1 src2=0
	v_bitop3_b16 v17 /*v273*/, v17 /*v273*/, v55 /*v311*/, 0x1f00 bitop3:0xec
	v_add_nc_u16 v51 /*v307*/, 0xf000, v51 /*v307*/
	s_set_vgpr_msb 0x44                     ;  msbs: dst=1 src0=0 src1=1 src2=0
	v_dual_ashrrev_i32 v25 /*v281*/, v251, v25 /*v281*/ :: v_dual_lshrrev_b32 v67 /*v323*/, v252, v26 /*v282*/
	v_lshlrev_b32_e32 v66 /*v322*/, 4, v66 /*v322*/
	v_lshlrev_b16 v61 /*v317*/, 8, v19 /*v275*/
	v_and_b32_e32 v19 /*v275*/, 0x1f00, v19 /*v275*/
	v_add_nc_u16 v59 /*v315*/, 0xf000, v59 /*v315*/
	s_wait_dscnt 0x0
	s_set_vgpr_msb 5                        ;  msbs: dst=0 src0=1 src1=1 src2=0
	v_max_num_f32_e32 v17, v27 /*v283*/, v27 /*v283*/
	s_set_vgpr_msb 64                       ;  msbs: dst=1 src0=0 src1=0 src2=0
	s_clause 0x1
	global_load_b32 v27 /*v283*/, v[34:35], off offset:2
	global_load_u16 v36 /*v292*/, v[34:35], off
	s_set_vgpr_msb 0x41                     ;  msbs: dst=1 src0=1 src1=0 src2=0
	global_load_b32 v37 /*v293*/, v[0:1] /*v[256:257]*/, off
	s_set_vgpr_msb 64                       ;  msbs: dst=1 src0=0 src1=0 src2=0
	s_clause 0x1
	global_load_b32 v38 /*v294*/, v[230:231], off offset:2
	global_load_u16 v39 /*v295*/, v[230:231], off
	s_set_vgpr_msb 0x41                     ;  msbs: dst=1 src0=1 src1=0 src2=0
	global_load_b32 v40 /*v296*/, v[2:3] /*v[258:259]*/, off
	s_set_vgpr_msb 0x44                     ;  msbs: dst=1 src0=0 src1=1 src2=0
	v_add_nc_u16 v60 /*v316*/, 0xf000, v60 /*v316*/
	s_set_vgpr_msb 0                        ;  msbs: dst=0 src0=0 src1=0 src2=0
	v_dual_max_num_f32 v229, v229, v17 :: v_dual_sub_f32 v17, v32, v228
	v_mul_f32_e32 v24, 0x3fb8aa3b, v16
	s_set_vgpr_msb 0x44                     ;  msbs: dst=1 src0=0 src1=1 src2=0
	v_add_nc_u16 v16 /*v272*/, 0xf000, v16 /*v272*/
	v_ashrrev_i16 v52 /*v308*/, 8, v58 /*v314*/
	s_set_vgpr_msb 1                        ;  msbs: dst=0 src0=1 src1=0 src2=0
	v_sub_f32_e32 v19, v6 /*v262*/, v229
	s_set_vgpr_msb 0                        ;  msbs: dst=0 src0=0 src1=0 src2=0
	v_sub_f32_e32 v18, v28, v229
	v_fma_f32 v28, 0x3fb8aa3b, v16, -v24
	v_rndne_f32_e32 v29, v24
	v_cmp_ngt_f32_e32 vcc_lo, 0xc2ce8ed0, v17
	s_wait_xcnt 0x7
	v_mul_f32_e32 v27, 0x3fb8aa3b, v19
	v_dual_mul_f32 v25, 0x3fb8aa3b, v17 :: v_dual_mul_f32 v26, 0x3fb8aa3b, v18
	s_set_vgpr_msb 0x45                     ;  msbs: dst=1 src0=1 src1=1 src2=0
	v_bitop3_b16 v14 /*v270*/, v14 /*v270*/, v54 /*v310*/, 0x1f00 bitop3:0xec
	v_bitop3_b16 v20 /*v276*/, v20 /*v276*/, v56 /*v312*/, 0x1f00 bitop3:0xec
	s_wait_xcnt 0x4
	s_set_vgpr_msb 0                        ;  msbs: dst=0 src0=0 src1=0 src2=0
	v_fma_f32 v34, 0x3fb8aa3b, v19, -v27
	v_fma_f32 v30, 0x3fb8aa3b, v17, -v25
	v_rndne_f32_e32 v31, v25
	v_rndne_f32_e32 v35, v27
	v_fmac_f32_e32 v28, 0x32a5705f, v16
	v_rndne_f32_e32 v33, v26
	s_delay_alu instid0(VALU_DEP_4) | instskip(NEXT) | instid1(VALU_DEP_4)
	v_dual_fmac_f32 v30, 0x32a5705f, v17 :: v_dual_sub_f32 v25, v25, v31
	v_sub_f32_e32 v27, v27, v35
	v_fmac_f32_e32 v34, 0x32a5705f, v19
	v_fma_f32 v32, 0x3fb8aa3b, v18, -v26
	v_bfe_i32 v37, v37, 0, 8
	v_dual_add_f32 v25, v25, v30 :: v_dual_sub_f32 v24, v24, v29
	s_delay_alu instid0(VALU_DEP_4) | instskip(SKIP_1) | instid1(VALU_DEP_3)
	v_dual_add_f32 v27, v27, v34 :: v_dual_sub_f32 v26, v26, v33
	v_cvt_i32_f32_e32 v30, v35
	v_exp_f32_e32 v25, v25
	s_delay_alu instid0(VALU_DEP_3)
	v_add_f32_e32 v24, v24, v28
	v_cvt_i32_f32_e32 v28, v31
	v_exp_f32_e32 v27, v27
	v_cvt_i32_f32_e32 v29, v29
	v_cvt_i32_f32_e32 v31, v33
	v_exp_f32_e32 v24, v24
	v_ldexp_f32 v25, v25, v28
	v_fmac_f32_e32 v32, 0x32a5705f, v18
	v_add_nc_u16 v255, 0xf000, v255
	v_ldexp_f32 v27, v27, v30
	s_set_vgpr_msb 0x44                     ;  msbs: dst=1 src0=0 src1=1 src2=0
	v_add_nc_u16 v17 /*v273*/, 0xf000, v17 /*v273*/
	s_set_vgpr_msb 0                        ;  msbs: dst=0 src0=0 src1=0 src2=0
	v_cndmask_b32_e32 v25, 0, v25, vcc_lo
	v_cmp_ngt_f32_e32 vcc_lo, 0xc2ce8ed0, v19
	v_add_f32_e32 v26, v26, v32
	v_ldexp_f32 v24, v24, v29
	s_set_vgpr_msb 0x44                     ;  msbs: dst=1 src0=0 src1=1 src2=0
	v_lshrrev_b32_e32 v56 /*v312*/, 8, v51 /*v307*/
	v_lshlrev_b32_e32 v67 /*v323*/, 12, v67 /*v323*/
	s_set_vgpr_msb 0                        ;  msbs: dst=0 src0=0 src1=0 src2=0
	v_cndmask_b32_e32 v27, 0, v27, vcc_lo
	v_cmp_nlt_f32_e32 vcc_lo, 0x42b17218, v17
	v_exp_f32_e32 v26, v26
	s_set_vgpr_msb 0x44                     ;  msbs: dst=1 src0=0 src1=1 src2=0
	v_dual_lshrrev_b32 v16 /*v272*/, 8, v16 /*v272*/ :: v_dual_bitop2_b32 v66 /*v322*/, 16, v66 /*v322*/ bitop3:0x40
	v_add_nc_u16 v19 /*v275*/, 0xf000, v19 /*v275*/
	s_set_vgpr_msb 0                        ;  msbs: dst=0 src0=0 src1=0 src2=0
	v_cndmask_b32_e32 v226, 0x7f800000, v25, vcc_lo
	v_cmp_nlt_f32_e32 vcc_lo, 0x42b17218, v19
	s_set_vgpr_msb 0x44                     ;  msbs: dst=1 src0=0 src1=1 src2=0
	v_ashrrev_i16 v53 /*v309*/, 8, v59 /*v315*/
	s_set_vgpr_msb 0                        ;  msbs: dst=0 src0=0 src1=0 src2=0
	v_ldexp_f32 v26, v26, v31
	s_set_vgpr_msb 0x44                     ;  msbs: dst=1 src0=0 src1=1 src2=0
	v_ashrrev_i16 v54 /*v310*/, 8, v60 /*v316*/
	s_set_vgpr_msb 0x41                     ;  msbs: dst=1 src0=1 src1=0 src2=0
	v_cvt_f16_i16_e64 v52 /*v308*/, v52 /*v308*/
	s_set_vgpr_msb 0                        ;  msbs: dst=0 src0=0 src1=0 src2=0
	v_cndmask_b32_e32 v227, 0x7f800000, v27, vcc_lo
	v_cmp_ngt_f32_e32 vcc_lo, 0xc2ce8ed0, v16
	s_set_vgpr_msb 0x41                     ;  msbs: dst=1 src0=1 src1=0 src2=0
	v_bfe_i32 v13 /*v269*/, v13 /*v269*/, 0, 8
	s_set_vgpr_msb 0x44                     ;  msbs: dst=1 src0=0 src1=1 src2=0
	v_add_nc_u16 v14 /*v270*/, 0xf000, v14 /*v270*/
	s_set_vgpr_msb 0x41                     ;  msbs: dst=1 src0=1 src1=0 src2=0
	v_bfe_i32 v51 /*v307*/, v51 /*v307*/, 0, 8
	s_set_vgpr_msb 0                        ;  msbs: dst=0 src0=0 src1=0 src2=0
	v_cvt_f16_f32_e64 v25, v227
	v_cndmask_b32_e32 v17, 0, v24, vcc_lo
	v_cmp_ngt_f32_e32 vcc_lo, 0xc2ce8ed0, v18
	v_cvt_f16_f32_e64 v24, v226
	ds_store_b16 v237, v24
	ds_store_b16 v237, v25 offset:256
	v_cndmask_b32_e32 v19, 0, v26, vcc_lo
	v_cmp_nlt_f32_e32 vcc_lo, 0x42b17218, v16
	s_wait_xcnt 0x0
	s_set_vgpr_msb 64                       ;  msbs: dst=1 src0=0 src1=0 src2=0
	ds_load_b128 v[0:3] /*v[256:259]*/, v246
	s_set_vgpr_msb 0x41                     ;  msbs: dst=1 src0=1 src1=0 src2=0
	s_clause 0x1
	global_load_b32 v41 /*v297*/, v[4:5] /*v[260:261]*/, off offset:2
	global_load_u16 v42 /*v298*/, v[4:5] /*v[260:261]*/, off
	s_wait_xcnt 0x0
	s_set_vgpr_msb 64                       ;  msbs: dst=1 src0=0 src1=0 src2=0
	ds_load_b128 v[4:7] /*v[260:263]*/, v246 offset:256
	s_set_vgpr_msb 0                        ;  msbs: dst=0 src0=0 src1=0 src2=0
	v_cvt_f16_i16_e32 v37, v37
	v_cndmask_b32_e32 v230, 0x7f800000, v17, vcc_lo
	v_cmp_nlt_f32_e32 vcc_lo, 0x42b17218, v18
	s_set_vgpr_msb 64                       ;  msbs: dst=1 src0=0 src1=0 src2=0
	v_lshrrev_b32_e32 v58 /*v314*/, 8, v255
	s_set_vgpr_msb 0x44                     ;  msbs: dst=1 src0=0 src1=1 src2=0
	v_lshrrev_b32_e32 v60 /*v316*/, 8, v17 /*v273*/
	s_set_vgpr_msb 0x41                     ;  msbs: dst=1 src0=1 src1=0 src2=0
	v_bfe_i32 v56 /*v312*/, v56 /*v312*/, 0, 8
	s_set_vgpr_msb 0                        ;  msbs: dst=0 src0=0 src1=0 src2=0
	v_cvt_f16_f32_e64 v16, v230
	v_cndmask_b32_e32 v231, 0x7f800000, v19, vcc_lo
	s_set_vgpr_msb 0x41                     ;  msbs: dst=1 src0=1 src1=0 src2=0
	global_load_b32 v43 /*v299*/, v[10:11] /*v[266:267]*/, off
	global_load_b32 v44 /*v300*/, v[8:9] /*v[264:265]*/, off offset:2
	s_set_vgpr_msb 0x44                     ;  msbs: dst=1 src0=0 src1=1 src2=0
	v_dual_lshrrev_b32 v19 /*v275*/, 8, v19 /*v275*/ :: v_dual_lshrrev_b32 v59 /*v315*/, 8, v14 /*v270*/
	s_set_vgpr_msb 0                        ;  msbs: dst=0 src0=0 src1=0 src2=0
	v_and_b32_e32 v16, 0xffff, v16
	v_cvt_f16_f32_e64 v17, v231
	s_set_vgpr_msb 0x41                     ;  msbs: dst=1 src0=1 src1=0 src2=0
	v_cvt_f16_i16_e64 v53 /*v309*/, v53 /*v309*/
	v_bfe_i32 v16 /*v272*/, v16 /*v272*/, 0, 8
	s_set_vgpr_msb 0                        ;  msbs: dst=0 src0=0 src1=0 src2=0
	v_bfe_i32 v255, v255, 0, 8
	s_wait_xcnt 0x1
	s_set_vgpr_msb 64                       ;  msbs: dst=1 src0=0 src1=0 src2=0
	v_mul_u32_u24_e32 v10 /*v266*/, 0x10001, v16
	s_set_vgpr_msb 0                        ;  msbs: dst=0 src0=0 src1=0 src2=0
	v_and_b32_e32 v17, 0xffff, v17
	s_set_vgpr_msb 0x41                     ;  msbs: dst=1 src0=1 src1=0 src2=0
	v_cvt_f16_i16_e64 v13 /*v269*/, v13 /*v269*/
	v_cvt_f16_i16_e64 v51 /*v307*/, v51 /*v307*/
	s_set_vgpr_msb 1                        ;  msbs: dst=0 src0=1 src1=0 src2=0
	v_pack_b32_f16 v37, v52 /*v308*/, v37
	s_set_vgpr_msb 0x41                     ;  msbs: dst=1 src0=1 src1=0 src2=0
	v_bfe_i32 v52 /*v308*/, v58 /*v314*/, 0, 8
	v_cvt_f16_i16_e64 v56 /*v312*/, v56 /*v312*/
	v_mul_u32_u24_e32 v11 /*v267*/, 0x10001, v17
	s_set_vgpr_msb 4                        ;  msbs: dst=0 src0=0 src1=1 src2=0
	v_pk_mul_f16 v20, v20, v10 /*v266*/
	v_pk_mul_f16 v21, v21, v10 /*v266*/
	s_wait_dscnt 0x1
	s_set_vgpr_msb 0x44                     ;  msbs: dst=1 src0=0 src1=1 src2=0
	v_lshrrev_b32_e32 v10 /*v266*/, 16, v0 /*v256*/
	v_and_b32_e32 v0 /*v256*/, 0xffff, v0 /*v256*/
	s_wait_dscnt 0x0
	v_dual_lshrrev_b32 v47 /*v303*/, 16, v4 /*v260*/ :: v_dual_lshrrev_b32 v48 /*v304*/, 16, v5 /*v261*/
	v_and_b32_e32 v4 /*v260*/, 0xffff, v4 /*v260*/
	v_mul_u32_u24_e32 v12 /*v268*/, 0x10001, v12 /*v268*/
	s_set_vgpr_msb 0x41                     ;  msbs: dst=1 src0=1 src1=0 src2=0
	v_cvt_f16_i16_e64 v54 /*v310*/, v54 /*v310*/
	v_bfe_i32 v14 /*v270*/, v14 /*v270*/, 0, 8
	v_cvt_f16_i16_e64 v16 /*v272*/, v16 /*v272*/
	s_set_vgpr_msb 0                        ;  msbs: dst=0 src0=0 src1=0 src2=0
	v_cvt_f16_i16_e64 v255, v255
	s_set_vgpr_msb 0x45                     ;  msbs: dst=1 src0=1 src1=1 src2=0
	v_pack_b32_f16 v13 /*v269*/, v53 /*v309*/, v13 /*v269*/
	v_bfe_i32 v53 /*v309*/, v59 /*v315*/, 0, 8
	v_cvt_f16_i16_e64 v52 /*v308*/, v52 /*v308*/
	v_pack_b32_f16 v51 /*v307*/, v51 /*v307*/, v56 /*v312*/
	s_set_vgpr_msb 4                        ;  msbs: dst=0 src0=0 src1=1 src2=0
	v_pk_mul_f16 v22, v22, v11 /*v267*/
	v_pk_mul_f16 v23, v23, v11 /*v267*/
	s_set_vgpr_msb 0x44                     ;  msbs: dst=1 src0=0 src1=1 src2=0
	v_mul_u32_u24_e32 v0 /*v256*/, 0x10001, v0 /*v256*/
	v_mul_u32_u24_e32 v4 /*v260*/, 0x10001, v4 /*v260*/
	;; [unrolled: 1-line block ×3, first 2 shown]
	s_set_vgpr_msb 0x45                     ;  msbs: dst=1 src0=1 src1=1 src2=0
	v_bfe_i32 v17 /*v273*/, v17 /*v273*/, 0, 8
	v_cvt_f16_i16_e64 v14 /*v270*/, v14 /*v270*/
	v_pack_b32_f16 v16 /*v272*/, v54 /*v310*/, v16 /*v272*/
	v_bfe_i32 v54 /*v310*/, v60 /*v316*/, 0, 8
	s_set_vgpr_msb 4                        ;  msbs: dst=0 src0=0 src1=1 src2=0
	v_pk_mul_f16 v37, v37, v12 /*v268*/
	s_set_vgpr_msb 0x41                     ;  msbs: dst=1 src0=1 src1=0 src2=0
	v_cvt_f16_i16_e64 v53 /*v309*/, v53 /*v309*/
	s_set_vgpr_msb 4                        ;  msbs: dst=0 src0=0 src1=1 src2=0
	v_pack_b32_f16 v255, v255, v52 /*v308*/
	s_set_vgpr_msb 0x45                     ;  msbs: dst=1 src0=1 src1=1 src2=0
	v_pk_mul_f16 v12 /*v268*/, v51 /*v307*/, v12 /*v268*/
	v_lshrrev_b32_e32 v11 /*v267*/, 16, v1 /*v257*/
	v_and_b32_e32 v1 /*v257*/, 0xffff, v1 /*v257*/
	v_and_b32_e32 v5 /*v261*/, 0xffff, v5 /*v261*/
	v_mul_u32_u24_e32 v10 /*v266*/, 0x10001, v10 /*v266*/
	v_mul_u32_u24_e32 v47 /*v303*/, 0x10001, v47 /*v303*/
	v_mul_u32_u24_e32 v18 /*v274*/, 0x10001, v18 /*v274*/
	v_and_b32_e32 v25 /*v281*/, 0xf0f0f0f, v25 /*v281*/
	v_and_b32_e32 v67 /*v323*/, 0x1000, v67 /*v323*/
	v_add_nc_u16 v61 /*v317*/, 0xf000, v61 /*v317*/
	v_cvt_f16_i16_e64 v17 /*v273*/, v17 /*v273*/
	v_cvt_f16_i16_e64 v54 /*v310*/, v54 /*v310*/
	s_set_vgpr_msb 4                        ;  msbs: dst=0 src0=0 src1=1 src2=0
	v_pk_fma_f16 v21, v37, v0 /*v256*/, v21
	v_pk_fma_f16 v23, v37, v4 /*v260*/, v23
	s_set_vgpr_msb 5                        ;  msbs: dst=0 src0=1 src1=1 src2=0
	v_pack_b32_f16 v37, v14 /*v270*/, v53 /*v309*/
	s_set_vgpr_msb 4                        ;  msbs: dst=0 src0=0 src1=1 src2=0
	v_pk_mul_f16 v255, v255, v15 /*v271*/
	s_set_vgpr_msb 5                        ;  msbs: dst=0 src0=1 src1=1 src2=0
	v_pk_fma_f16 v20, v12 /*v268*/, v0 /*v256*/, v20
	v_pk_fma_f16 v22, v12 /*v268*/, v4 /*v260*/, v22
	s_set_vgpr_msb 0x55                     ;  msbs: dst=1 src0=1 src1=1 src2=1
	v_mul_u32_u24_e32 v1 /*v257*/, 0x10001, v1 /*v257*/
	v_mul_u32_u24_e32 v5 /*v261*/, 0x10001, v5 /*v261*/
	;; [unrolled: 1-line block ×3, first 2 shown]
	v_or3_b32 v23 /*v279*/, v66 /*v322*/, v25 /*v281*/, v67 /*v323*/
	v_ashrrev_i16 v55 /*v311*/, 8, v61 /*v317*/
	v_bfe_i32 v19 /*v275*/, v19 /*v275*/, 0, 8
	v_add_nc_u16 v20 /*v276*/, 0xf000, v20 /*v276*/
	v_pk_mul_f16 v13 /*v269*/, v13 /*v269*/, v15 /*v271*/
	v_pack_b32_f16 v14 /*v270*/, v17 /*v273*/, v54 /*v310*/
	s_set_vgpr_msb 4                        ;  msbs: dst=0 src0=0 src1=1 src2=0
	v_pk_mul_f16 v37, v37, v18 /*v274*/
	v_pk_fma_f16 v20, v255, v10 /*v266*/, v20
	v_pk_fma_f16 v22, v255, v47 /*v303*/, v22
	s_set_vgpr_msb 0x44                     ;  msbs: dst=1 src0=0 src1=1 src2=0
	v_mul_u32_u24_e32 v11 /*v267*/, 0x10001, v11 /*v267*/
	v_mul_u32_u24_e32 v48 /*v304*/, 0x10001, v48 /*v304*/
	v_lshlrev_b16 v57 /*v313*/, 8, v23 /*v279*/
	s_set_vgpr_msb 0x41                     ;  msbs: dst=1 src0=1 src1=0 src2=0
	v_cvt_f16_i16_e64 v55 /*v311*/, v55 /*v311*/
	v_cvt_f16_i16_e64 v19 /*v275*/, v19 /*v275*/
	s_set_vgpr_msb 0x44                     ;  msbs: dst=1 src0=0 src1=1 src2=0
	v_dual_lshrrev_b32 v61 /*v317*/, 8, v20 /*v276*/ :: v_dual_lshrrev_b32 v0 /*v256*/, v253, v26 /*v282*/
	s_set_vgpr_msb 0x45                     ;  msbs: dst=1 src0=1 src1=1 src2=0
	v_pk_mul_f16 v16 /*v272*/, v16 /*v272*/, v18 /*v274*/
	s_set_vgpr_msb 5                        ;  msbs: dst=0 src0=1 src1=1 src2=0
	v_pk_fma_f16 v21, v13 /*v269*/, v10 /*v266*/, v21
	v_pk_fma_f16 v23, v13 /*v269*/, v47 /*v303*/, v23
	v_pk_mul_f16 v255, v14 /*v270*/, v21 /*v277*/
	s_set_vgpr_msb 4                        ;  msbs: dst=0 src0=0 src1=1 src2=0
	v_pk_fma_f16 v20, v37, v1 /*v257*/, v20
	v_pk_fma_f16 v22, v37, v5 /*v261*/, v22
	s_set_vgpr_msb 0x44                     ;  msbs: dst=1 src0=0 src1=1 src2=0
	v_add_nc_u16 v62 /*v318*/, 0xf000, v62 /*v318*/
	s_set_vgpr_msb 0x45                     ;  msbs: dst=1 src0=1 src1=1 src2=0
	v_bfe_i32 v20 /*v276*/, v20 /*v276*/, 0, 8
	v_pack_b32_f16 v19 /*v275*/, v55 /*v311*/, v19 /*v275*/
	v_bfe_i32 v55 /*v311*/, v61 /*v317*/, 0, 8
	s_set_vgpr_msb 5                        ;  msbs: dst=0 src0=1 src1=1 src2=0
	v_pk_fma_f16 v21, v16 /*v272*/, v1 /*v257*/, v21
	v_pk_fma_f16 v23, v16 /*v272*/, v5 /*v261*/, v23
	s_set_vgpr_msb 4                        ;  msbs: dst=0 src0=0 src1=1 src2=0
	v_pk_fma_f16 v20, v255, v11 /*v267*/, v20
	v_pk_fma_f16 v22, v255, v48 /*v304*/, v22
	v_lshrrev_b32_e32 v255, 8, v22 /*v278*/
	s_set_vgpr_msb 0x44                     ;  msbs: dst=1 src0=0 src1=1 src2=0
	v_dual_lshrrev_b32 v1 /*v257*/, v254, v26 /*v282*/ :: v_dual_lshlrev_b32 v0 /*v256*/, 20, v0 /*v256*/
	v_add_nc_u16 v5 /*v261*/, 0xf000, v57 /*v313*/
	s_set_vgpr_msb 0x41                     ;  msbs: dst=1 src0=1 src1=0 src2=0
	v_cvt_f16_i16_e64 v20 /*v276*/, v20 /*v276*/
	v_cvt_f16_i16_e64 v55 /*v311*/, v55 /*v311*/
	s_set_vgpr_msb 0x44                     ;  msbs: dst=1 src0=0 src1=1 src2=0
	v_ashrrev_i16 v4 /*v260*/, 8, v62 /*v318*/
	s_set_vgpr_msb 0                        ;  msbs: dst=0 src0=0 src1=0 src2=0
	v_bfe_i32 v255, v255, 0, 8
	s_wait_loadcnt 0xf
	s_set_vgpr_msb 0x44                     ;  msbs: dst=1 src0=0 src1=1 src2=0
	v_dual_lshlrev_b32 v1 /*v257*/, 28, v1 /*v257*/ :: v_dual_lshrrev_b32 v12 /*v268*/, v247, v30 /*v286*/
	v_lshrrev_b16 v5 /*v261*/, 8, v5 /*v261*/
	v_dual_lshrrev_b32 v45 /*v301*/, 16, v2 /*v258*/ :: v_dual_lshrrev_b32 v46 /*v302*/, 16, v3 /*v259*/
	v_dual_lshrrev_b32 v49 /*v305*/, 16, v6 /*v262*/ :: v_dual_lshrrev_b32 v50 /*v306*/, 16, v7 /*v263*/
	v_and_b32_e32 v2 /*v258*/, 0xffff, v2 /*v258*/
	v_mul_u32_u24_e32 v24 /*v280*/, 0x10001, v24 /*v280*/
	s_set_vgpr_msb 5                        ;  msbs: dst=0 src0=1 src1=1 src2=0
	v_pack_b32_f16 v37, v20 /*v276*/, v55 /*v311*/
	s_set_vgpr_msb 0x41                     ;  msbs: dst=1 src0=1 src1=0 src2=0
	v_cvt_f16_i16_e64 v4 /*v260*/, v4 /*v260*/
	s_set_vgpr_msb 0                        ;  msbs: dst=0 src0=0 src1=0 src2=0
	v_cvt_f16_i16_e64 v255, v255
	s_set_vgpr_msb 0x45                     ;  msbs: dst=1 src0=1 src1=1 src2=0
	v_and_b32_e32 v0 /*v256*/, 0x100000, v0 /*v256*/
	v_and_b32_e32 v1 /*v257*/, 0x10000000, v1 /*v257*/
	;; [unrolled: 1-line block ×3, first 2 shown]
	v_bitop3_b16 v5 /*v261*/, v23 /*v279*/, v5 /*v261*/, 0x1f00 bitop3:0xec
	v_mul_u32_u24_e32 v2 /*v258*/, 0x10001, v2 /*v258*/
	v_pk_mul_f16 v19 /*v275*/, v19 /*v275*/, v21 /*v277*/
	s_set_vgpr_msb 1                        ;  msbs: dst=0 src0=1 src1=0 src2=0
	v_pack_b32_f16 v255, v4 /*v260*/, v255
	s_set_vgpr_msb 4                        ;  msbs: dst=0 src0=0 src1=1 src2=0
	v_pk_mul_f16 v37, v37, v24 /*v280*/
	s_set_vgpr_msb 0x55                     ;  msbs: dst=1 src0=1 src1=1 src2=1
	v_or3_b32 v0 /*v256*/, v25 /*v281*/, v0 /*v256*/, v1 /*v257*/
	v_mul_u32_u24_e32 v1 /*v257*/, 0x10001, v6 /*v262*/
	v_add_nc_u16 v4 /*v260*/, 0xf000, v5 /*v261*/
	s_set_vgpr_msb 5                        ;  msbs: dst=0 src0=1 src1=1 src2=0
	v_pk_fma_f16 v21, v19 /*v275*/, v11 /*v267*/, v21
	v_pk_fma_f16 v23, v19 /*v275*/, v48 /*v304*/, v23
	s_set_vgpr_msb 4                        ;  msbs: dst=0 src0=0 src1=1 src2=0
	v_pk_mul_f16 v255, v255, v24 /*v280*/
	s_set_vgpr_msb 0x44                     ;  msbs: dst=1 src0=0 src1=1 src2=0
	v_pk_fma_f16 v5 /*v261*/, v37, v2 /*v258*/, v20
	s_set_vgpr_msb 4                        ;  msbs: dst=0 src0=0 src1=1 src2=0
	v_lshrrev_b32_e32 v20, 16, v0 /*v256*/
	v_pk_fma_f16 v37, v37, v1 /*v257*/, v22
	v_lshrrev_b32_e32 v22, 8, v4 /*v260*/
	s_set_vgpr_msb 0x44                     ;  msbs: dst=1 src0=0 src1=1 src2=0
	v_pk_fma_f16 v0 /*v256*/, v255, v2 /*v258*/, v21
	s_set_vgpr_msb 4                        ;  msbs: dst=0 src0=0 src1=1 src2=0
	v_pk_fma_f16 v255, v255, v1 /*v257*/, v23
	s_set_vgpr_msb 0                        ;  msbs: dst=0 src0=0 src1=0 src2=0
	v_lshlrev_b16 v23, 8, v20
	s_set_vgpr_msb 0x41                     ;  msbs: dst=1 src0=1 src1=0 src2=0
	v_bfe_i32 v1 /*v257*/, v4 /*v260*/, 0, 8
	s_set_vgpr_msb 0                        ;  msbs: dst=0 src0=0 src1=0 src2=0
	v_bfe_i32 v22, v22, 0, 8
	ds_load_b128 v[32:35], v246 offset:16
	ds_load_b128 v[24:27], v246 offset:32
	;; [unrolled: 1-line block ×4, first 2 shown]
	s_set_vgpr_msb 0x41                     ;  msbs: dst=1 src0=1 src1=0 src2=0
	v_add_nc_u16 v4 /*v260*/, 0xf000, v23
	v_cvt_f16_i16_e64 v1 /*v257*/, v1 /*v257*/
	s_set_vgpr_msb 64                       ;  msbs: dst=1 src0=0 src1=0 src2=0
	v_cvt_f16_i16_e64 v6 /*v262*/, v22
	s_set_vgpr_msb 0                        ;  msbs: dst=0 src0=0 src1=0 src2=0
	v_add_nc_u64_e32 v[22:23], s[4:5], v[182:183]
	s_set_vgpr_msb 64                       ;  msbs: dst=1 src0=0 src1=0 src2=0
	v_and_b32_e32 v2 /*v258*/, 0x1f00, v20
	s_wait_loadcnt 0xc
	s_set_vgpr_msb 0x44                     ;  msbs: dst=1 src0=0 src1=1 src2=0
	v_dual_lshrrev_b32 v14 /*v270*/, v254, v30 /*v286*/ :: v_dual_lshrrev_b32 v15 /*v271*/, v252, v33 /*v289*/
	s_set_vgpr_msb 0x45                     ;  msbs: dst=1 src0=1 src1=1 src2=0
	v_pack_b32_f16 v1 /*v257*/, v1 /*v257*/, v6 /*v262*/
	s_set_vgpr_msb 0x44                     ;  msbs: dst=1 src0=0 src1=1 src2=0
	v_lshrrev_b32_e32 v6 /*v262*/, v252, v30 /*v286*/
	v_add_nc_u16 v2 /*v258*/, 0xf000, v2 /*v258*/
	global_load_b32 v13 /*v269*/, v[22:23], off
	s_wait_xcnt 0x0
	s_set_vgpr_msb 4                        ;  msbs: dst=0 src0=0 src1=1 src2=0
	v_dual_ashrrev_i32 v22, v251, v29 /*v285*/ :: v_dual_lshlrev_b32 v23, 4, v12 /*v268*/
	s_set_vgpr_msb 0x44                     ;  msbs: dst=1 src0=0 src1=1 src2=0
	v_lshrrev_b32_e32 v12 /*v268*/, v253, v30 /*v286*/
	v_lshlrev_b32_e32 v6 /*v262*/, 12, v6 /*v262*/
	v_lshrrev_b32_e32 v2 /*v258*/, 8, v2 /*v258*/
	s_set_vgpr_msb 0                        ;  msbs: dst=0 src0=0 src1=0 src2=0
	v_and_b32_e32 v22, 0xf0f0f0f, v22
	v_and_b32_e32 v23, 16, v23
	s_set_vgpr_msb 0x44                     ;  msbs: dst=1 src0=0 src1=1 src2=0
	v_ashrrev_i16 v4 /*v260*/, 8, v4 /*v260*/
	v_and_b32_e32 v6 /*v262*/, 0x1000, v6 /*v262*/
	s_set_vgpr_msb 0x41                     ;  msbs: dst=1 src0=1 src1=0 src2=0
	global_load_u16 v8 /*v264*/, v[8:9] /*v[264:265]*/, off
	s_wait_xcnt 0x0
	s_set_vgpr_msb 0x44                     ;  msbs: dst=1 src0=0 src1=1 src2=0
	v_lshlrev_b32_e32 v9 /*v265*/, 20, v12 /*v268*/
	s_set_vgpr_msb 0x41                     ;  msbs: dst=1 src0=1 src1=0 src2=0
	v_bfe_i32 v2 /*v258*/, v2 /*v258*/, 0, 8
	v_cvt_f16_i16_e64 v4 /*v260*/, v4 /*v260*/
	s_set_vgpr_msb 16                       ;  msbs: dst=0 src0=0 src1=0 src2=1
	v_or3_b32 v23, v23, v22, v6 /*v262*/
	s_set_vgpr_msb 0x44                     ;  msbs: dst=1 src0=0 src1=1 src2=0
	v_lshlrev_b32_e32 v6 /*v262*/, 28, v14 /*v270*/
	s_set_vgpr_msb 0                        ;  msbs: dst=0 src0=0 src1=0 src2=0
	v_add_nc_u64_e32 v[20:21], s[4:5], v[184:185]
	s_set_vgpr_msb 0x41                     ;  msbs: dst=1 src0=1 src1=0 src2=0
	v_cvt_f16_i16_e64 v2 /*v258*/, v2 /*v258*/
	s_set_vgpr_msb 0x44                     ;  msbs: dst=1 src0=0 src1=1 src2=0
	v_and_b32_e32 v9 /*v265*/, 0x100000, v9 /*v265*/
	s_set_vgpr_msb 64                       ;  msbs: dst=1 src0=0 src1=0 src2=0
	v_lshlrev_b16 v12 /*v268*/, 8, v23
	s_set_vgpr_msb 0x45                     ;  msbs: dst=1 src0=1 src1=1 src2=0
	v_and_b32_e32 v6 /*v262*/, 0x10000000, v6 /*v262*/
	v_mul_u32_u24_e32 v10 /*v266*/, 0x10001, v28 /*v284*/
	v_pack_b32_f16 v2 /*v258*/, v4 /*v260*/, v2 /*v258*/
	s_set_vgpr_msb 0x44                     ;  msbs: dst=1 src0=0 src1=1 src2=0
	global_load_b32 v11 /*v267*/, v[20:21], off offset:2
	v_add_nc_u16 v4 /*v260*/, 0xf000, v12 /*v268*/
	s_set_vgpr_msb 20                       ;  msbs: dst=0 src0=0 src1=1 src2=1
	v_or3_b32 v22, v22, v9 /*v265*/, v6 /*v262*/
	s_set_vgpr_msb 0x45                     ;  msbs: dst=1 src0=1 src1=1 src2=0
	v_mul_u32_u24_e32 v14 /*v270*/, 0x10001, v45 /*v301*/
	v_pk_mul_f16 v1 /*v257*/, v1 /*v257*/, v10 /*v266*/
	v_mul_u32_u24_e32 v6 /*v262*/, 0x10001, v49 /*v305*/
	v_lshrrev_b16 v4 /*v260*/, 8, v4 /*v260*/
	v_pk_mul_f16 v2 /*v258*/, v2 /*v258*/, v10 /*v266*/
	s_set_vgpr_msb 0                        ;  msbs: dst=0 src0=0 src1=0 src2=0
	v_lshrrev_b32_e32 v22, 16, v22
	s_set_vgpr_msb 0x55                     ;  msbs: dst=1 src0=1 src1=1 src2=1
	v_pk_fma_f16 v5 /*v261*/, v1 /*v257*/, v14 /*v270*/, v5 /*v261*/
	s_set_vgpr_msb 5                        ;  msbs: dst=0 src0=1 src1=1 src2=0
	v_pk_fma_f16 v37, v1 /*v257*/, v6 /*v262*/, v37
	s_set_vgpr_msb 4                        ;  msbs: dst=0 src0=0 src1=1 src2=0
	v_bitop3_b16 v23, v23, v4 /*v260*/, 0x1f00 bitop3:0xec
	s_set_vgpr_msb 0x55                     ;  msbs: dst=1 src0=1 src1=1 src2=1
	v_pk_fma_f16 v9 /*v265*/, v2 /*v258*/, v14 /*v270*/, v0 /*v256*/
	v_and_b32_e32 v0 /*v256*/, 0xffff, v3 /*v259*/
	s_set_vgpr_msb 64                       ;  msbs: dst=1 src0=0 src1=0 src2=0
	v_lshlrev_b16 v1 /*v257*/, 8, v22
	s_set_vgpr_msb 0x44                     ;  msbs: dst=1 src0=0 src1=1 src2=0
	v_lshrrev_b32_e32 v14 /*v270*/, v247, v33 /*v289*/
	s_set_vgpr_msb 64                       ;  msbs: dst=1 src0=0 src1=0 src2=0
	v_add_nc_u16 v3 /*v259*/, 0xf000, v23
	s_set_vgpr_msb 0                        ;  msbs: dst=0 src0=0 src1=0 src2=0
	v_and_b32_e32 v22, 0x1f00, v22
	s_set_vgpr_msb 5                        ;  msbs: dst=0 src0=1 src1=1 src2=0
	v_pk_fma_f16 v255, v2 /*v258*/, v6 /*v262*/, v255
	s_set_vgpr_msb 0x44                     ;  msbs: dst=1 src0=0 src1=1 src2=0
	v_mul_u32_u24_e32 v2 /*v258*/, 0x10001, v0 /*v256*/
	v_add_nc_u16 v4 /*v260*/, 0xf000, v1 /*v257*/
	s_set_vgpr_msb 64                       ;  msbs: dst=1 src0=0 src1=0 src2=0
	v_add_nc_u64_e32 v[0:1] /*v[256:257]*/, s[4:5], v[178:179]
	s_set_vgpr_msb 0x44                     ;  msbs: dst=1 src0=0 src1=1 src2=0
	v_dual_lshrrev_b32 v12 /*v268*/, 8, v3 /*v259*/ :: v_dual_ashrrev_i32 v16 /*v272*/, v251, v32 /*v288*/
	v_dual_lshlrev_b32 v14 /*v270*/, 4, v14 /*v270*/ :: v_dual_lshlrev_b32 v15 /*v271*/, 12, v15 /*v271*/
	s_set_vgpr_msb 64                       ;  msbs: dst=1 src0=0 src1=0 src2=0
	v_add_nc_u16 v6 /*v262*/, 0xf000, v22
	s_set_vgpr_msb 0                        ;  msbs: dst=0 src0=0 src1=0 src2=0
	v_add_nc_u64_e32 v[22:23], s[4:5], v[180:181]
	s_set_vgpr_msb 0x41                     ;  msbs: dst=1 src0=1 src1=0 src2=0
	global_load_b32 v18 /*v274*/, v[0:1] /*v[256:257]*/, off
	s_wait_xcnt 0x0
	v_bfe_i32 v0 /*v256*/, v12 /*v268*/, 0, 8
	s_set_vgpr_msb 0x44                     ;  msbs: dst=1 src0=0 src1=1 src2=0
	v_and_b32_e32 v1 /*v257*/, 0xf0f0f0f, v16 /*v272*/
	v_and_b32_e32 v12 /*v268*/, 16, v14 /*v270*/
	;; [unrolled: 1-line block ×3, first 2 shown]
	v_dual_lshrrev_b32 v15 /*v271*/, v253, v33 /*v289*/ :: v_dual_lshrrev_b32 v16 /*v272*/, v254, v33 /*v289*/
	global_load_b32 v17 /*v273*/, v[22:23], off offset:2
	s_set_vgpr_msb 0x55                     ;  msbs: dst=1 src0=1 src1=1 src2=1
	v_bfe_i32 v3 /*v259*/, v3 /*v259*/, 0, 8
	v_or3_b32 v12 /*v268*/, v12 /*v268*/, v1 /*v257*/, v14 /*v270*/
	s_set_vgpr_msb 64                       ;  msbs: dst=1 src0=0 src1=0 src2=0
	global_load_u16 v14 /*v270*/, v[20:21], off
	s_wait_xcnt 0x0
	s_set_vgpr_msb 4                        ;  msbs: dst=0 src0=0 src1=1 src2=0
	v_dual_lshlrev_b32 v20, 20, v15 /*v271*/ :: v_dual_lshlrev_b32 v21, 28, v16 /*v272*/
	s_set_vgpr_msb 0x41                     ;  msbs: dst=1 src0=1 src1=0 src2=0
	v_cvt_f16_i16_e64 v3 /*v259*/, v3 /*v259*/
	s_set_vgpr_msb 0x44                     ;  msbs: dst=1 src0=0 src1=1 src2=0
	v_lshlrev_b16 v15 /*v271*/, 8, v12 /*v268*/
	s_set_vgpr_msb 0x41                     ;  msbs: dst=1 src0=1 src1=0 src2=0
	v_cvt_f16_i16_e64 v0 /*v256*/, v0 /*v256*/
	s_set_vgpr_msb 0                        ;  msbs: dst=0 src0=0 src1=0 src2=0
	v_and_b32_e32 v20, 0x100000, v20
	v_and_b32_e32 v21, 0x10000000, v21
	s_set_vgpr_msb 0x44                     ;  msbs: dst=1 src0=0 src1=1 src2=0
	v_ashrrev_i16 v4 /*v260*/, 8, v4 /*v260*/
	v_add_nc_u16 v15 /*v271*/, 0xf000, v15 /*v271*/
	v_mul_u32_u24_e32 v10 /*v266*/, 0x10001, v31 /*v287*/
	s_wait_dscnt 0x0
	s_set_vgpr_msb 64                       ;  msbs: dst=1 src0=0 src1=0 src2=0
	v_lshrrev_b32_e32 v19 /*v275*/, 16, v28
	s_set_vgpr_msb 1                        ;  msbs: dst=0 src0=1 src1=0 src2=0
	v_or3_b32 v20, v1 /*v257*/, v20, v21
	s_set_vgpr_msb 5                        ;  msbs: dst=0 src0=1 src1=1 src2=0
	v_pack_b32_f16 v21, v3 /*v259*/, v0 /*v256*/
	s_set_vgpr_msb 0x44                     ;  msbs: dst=1 src0=0 src1=1 src2=0
	v_lshrrev_b16 v0 /*v256*/, 8, v15 /*v271*/
	s_set_vgpr_msb 0x41                     ;  msbs: dst=1 src0=1 src1=0 src2=0
	v_cvt_f16_i16_e64 v4 /*v260*/, v4 /*v260*/
	s_set_vgpr_msb 0x44                     ;  msbs: dst=1 src0=0 src1=1 src2=0
	v_and_b32_e32 v1 /*v257*/, 0xffff, v7 /*v263*/
	s_set_vgpr_msb 0                        ;  msbs: dst=0 src0=0 src1=0 src2=0
	v_lshrrev_b32_e32 v20, 16, v20
	s_set_vgpr_msb 4                        ;  msbs: dst=0 src0=0 src1=1 src2=0
	v_pk_mul_f16 v21, v21, v10 /*v266*/
	s_set_vgpr_msb 0x45                     ;  msbs: dst=1 src0=1 src1=1 src2=0
	v_bitop3_b16 v0 /*v256*/, v12 /*v268*/, v0 /*v256*/, 0x1f00 bitop3:0xec
	v_mul_u32_u24_e32 v7 /*v263*/, 0x10001, v46 /*v302*/
	v_mul_u32_u24_e32 v1 /*v257*/, 0x10001, v1 /*v257*/
	s_wait_loadcnt 0xf
	s_set_vgpr_msb 0x54                     ;  msbs: dst=1 src0=0 src1=1 src2=1
	v_lshrrev_b32_e32 v12 /*v268*/, v254, v27 /*v283*/
	v_pk_fma_f16 v5 /*v261*/, v21, v2 /*v258*/, v5 /*v261*/
	v_add_nc_u16 v0 /*v256*/, 0xf000, v0 /*v256*/
	v_lshrrev_b32_e32 v6 /*v262*/, 8, v6 /*v262*/
	s_set_vgpr_msb 4                        ;  msbs: dst=0 src0=0 src1=1 src2=0
	v_pk_fma_f16 v37, v21, v1 /*v257*/, v37
	s_wait_loadcnt 0xc
	s_set_vgpr_msb 0x44                     ;  msbs: dst=1 src0=0 src1=1 src2=0
	v_lshrrev_b32_e32 v25 /*v281*/, v252, v38 /*v294*/
	s_set_vgpr_msb 64                       ;  msbs: dst=1 src0=0 src1=0 src2=0
	v_lshrrev_b32_e32 v15 /*v271*/, 16, v35
	s_set_vgpr_msb 0                        ;  msbs: dst=0 src0=0 src1=0 src2=0
	v_and_b32_e32 v28, 0xffff, v28
	s_set_vgpr_msb 0x41                     ;  msbs: dst=1 src0=1 src1=0 src2=0
	v_bfe_i32 v6 /*v262*/, v6 /*v262*/, 0, 8
	v_dual_lshrrev_b32 v21 /*v277*/, 16, v29 :: v_dual_lshrrev_b32 v23 /*v279*/, 16, v30
	s_set_vgpr_msb 0                        ;  msbs: dst=0 src0=0 src1=0 src2=0
	v_and_b32_e32 v29, 0xffff, v29
	v_mul_u32_u24_e32 v28, 0x10001, v28
	s_set_vgpr_msb 0x41                     ;  msbs: dst=1 src0=1 src1=0 src2=0
	v_cvt_f16_i16_e64 v6 /*v262*/, v6 /*v262*/
	s_set_vgpr_msb 0                        ;  msbs: dst=0 src0=0 src1=0 src2=0
	v_and_b32_e32 v30, 0xffff, v30
	v_add_nc_u64_e32 v[178:179], s[22:23], v[178:179]
	v_mul_u32_u24_e32 v29, 0x10001, v29
	v_add_nc_u64_e32 v[180:181], s[22:23], v[180:181]
	s_set_vgpr_msb 0x45                     ;  msbs: dst=1 src0=1 src1=1 src2=0
	v_pack_b32_f16 v3 /*v259*/, v4 /*v260*/, v6 /*v262*/
	s_set_vgpr_msb 64                       ;  msbs: dst=1 src0=0 src1=0 src2=0
	v_and_b32_e32 v4 /*v260*/, 0x1f00, v20
	s_set_vgpr_msb 0                        ;  msbs: dst=0 src0=0 src1=0 src2=0
	v_lshlrev_b16 v20, 8, v20
	s_set_vgpr_msb 64                       ;  msbs: dst=1 src0=0 src1=0 src2=0
	global_load_u16 v6 /*v262*/, v[22:23], off
	s_wait_xcnt 0x0
	s_set_vgpr_msb 0                        ;  msbs: dst=0 src0=0 src1=0 src2=0
	v_add_nc_u64_e32 v[22:23], s[4:5], v[174:175]
	s_set_vgpr_msb 0x45                     ;  msbs: dst=1 src0=1 src1=1 src2=0
	v_pk_mul_f16 v3 /*v259*/, v3 /*v259*/, v10 /*v266*/
	s_set_vgpr_msb 4                        ;  msbs: dst=0 src0=0 src1=1 src2=0
	v_add_nc_u16 v21, 0xf000, v4 /*v260*/
	s_set_vgpr_msb 0x44                     ;  msbs: dst=1 src0=0 src1=1 src2=0
	v_lshrrev_b32_e32 v4 /*v260*/, 8, v0 /*v256*/
	s_set_vgpr_msb 0                        ;  msbs: dst=0 src0=0 src1=0 src2=0
	v_add_nc_u16 v20, 0xf000, v20
	s_set_vgpr_msb 0x55                     ;  msbs: dst=1 src0=1 src1=1 src2=1
	v_bfe_i32 v0 /*v256*/, v0 /*v256*/, 0, 8
	v_pk_fma_f16 v2 /*v258*/, v3 /*v259*/, v2 /*v258*/, v9 /*v265*/
	s_set_vgpr_msb 0                        ;  msbs: dst=0 src0=0 src1=0 src2=0
	v_lshrrev_b32_e32 v21, 8, v21
	s_set_vgpr_msb 5                        ;  msbs: dst=0 src0=1 src1=1 src2=0
	v_pk_fma_f16 v255, v3 /*v259*/, v1 /*v257*/, v255
	s_set_vgpr_msb 0x41                     ;  msbs: dst=1 src0=1 src1=0 src2=0
	v_bfe_i32 v1 /*v257*/, v4 /*v260*/, 0, 8
	v_ashrrev_i16 v3 /*v259*/, 8, v20
	v_cvt_f16_i16_e64 v0 /*v256*/, v0 /*v256*/
	s_set_vgpr_msb 64                       ;  msbs: dst=1 src0=0 src1=0 src2=0
	v_bfe_i32 v4 /*v260*/, v21, 0, 8
	s_set_vgpr_msb 0                        ;  msbs: dst=0 src0=0 src1=0 src2=0
	v_add_nc_u64_e32 v[20:21], s[4:5], v[176:177]
	s_set_vgpr_msb 0x41                     ;  msbs: dst=1 src0=1 src1=0 src2=0
	v_cvt_f16_i16_e64 v1 /*v257*/, v1 /*v257*/
	v_cvt_f16_i16_e64 v3 /*v259*/, v3 /*v259*/
	s_set_vgpr_msb 0x44                     ;  msbs: dst=1 src0=0 src1=1 src2=0
	v_mul_u32_u24_e32 v10 /*v266*/, 0x10001, v34 /*v290*/
	s_set_vgpr_msb 0x41                     ;  msbs: dst=1 src0=1 src1=0 src2=0
	v_cvt_f16_i16_e64 v4 /*v260*/, v4 /*v260*/
	s_set_vgpr_msb 0                        ;  msbs: dst=0 src0=0 src1=0 src2=0
	v_mul_u32_u24_e32 v30, 0x10001, v30
	s_set_vgpr_msb 0x45                     ;  msbs: dst=1 src0=1 src1=1 src2=0
	v_pack_b32_f16 v0 /*v256*/, v0 /*v256*/, v1 /*v257*/
	s_set_vgpr_msb 64                       ;  msbs: dst=1 src0=0 src1=0 src2=0
	s_clause 0x1
	global_load_b32 v9 /*v265*/, v[20:21], off offset:2
	global_load_u16 v28 /*v284*/, v[20:21], off
	s_set_vgpr_msb 0x45                     ;  msbs: dst=1 src0=1 src1=1 src2=0
	v_pack_b32_f16 v1 /*v257*/, v3 /*v259*/, v4 /*v260*/
	s_set_vgpr_msb 64                       ;  msbs: dst=1 src0=0 src1=0 src2=0
	global_load_b32 v3 /*v259*/, v[22:23], off
	s_wait_xcnt 0x0
	s_set_vgpr_msb 4                        ;  msbs: dst=0 src0=0 src1=1 src2=0
	v_mul_u32_u24_e32 v22, 0x10001, v50 /*v306*/
	v_lshrrev_b32_e32 v23, v247, v27 /*v283*/
	s_set_vgpr_msb 0x44                     ;  msbs: dst=1 src0=0 src1=1 src2=0
	v_lshrrev_b32_e32 v4 /*v260*/, v252, v27 /*v283*/
	s_set_vgpr_msb 0x45                     ;  msbs: dst=1 src0=1 src1=1 src2=0
	v_pk_mul_f16 v0 /*v256*/, v0 /*v256*/, v10 /*v266*/
	v_pk_mul_f16 v1 /*v257*/, v1 /*v257*/, v10 /*v266*/
	s_set_vgpr_msb 0x44                     ;  msbs: dst=1 src0=0 src1=1 src2=0
	v_ashrrev_i32_e32 v10 /*v266*/, v251, v35 /*v291*/
	s_set_vgpr_msb 0                        ;  msbs: dst=0 src0=0 src1=0 src2=0
	v_lshlrev_b32_e32 v23, 4, v23
	s_set_vgpr_msb 4                        ;  msbs: dst=0 src0=0 src1=1 src2=0
	v_lshlrev_b32_e32 v20, 12, v25 /*v281*/
	s_set_vgpr_msb 0x55                     ;  msbs: dst=1 src0=1 src1=1 src2=1
	v_pk_fma_f16 v5 /*v261*/, v0 /*v256*/, v7 /*v263*/, v5 /*v261*/
	s_set_vgpr_msb 1                        ;  msbs: dst=0 src0=1 src1=0 src2=0
	v_pk_fma_f16 v37, v0 /*v256*/, v22, v37
	s_set_vgpr_msb 0x44                     ;  msbs: dst=1 src0=0 src1=1 src2=0
	v_and_b32_e32 v0 /*v256*/, 0xf0f0f0f, v10 /*v266*/
	v_dual_lshrrev_b32 v10 /*v266*/, v253, v27 /*v283*/ :: v_dual_lshlrev_b32 v4 /*v260*/, 12, v4 /*v260*/
	s_set_vgpr_msb 1                        ;  msbs: dst=0 src0=1 src1=0 src2=0
	v_and_b32_e32 v23, 16, v23
	v_pk_fma_f16 v255, v1 /*v257*/, v22, v255
	s_set_vgpr_msb 0x55                     ;  msbs: dst=1 src0=1 src1=1 src2=1
	v_pk_fma_f16 v2 /*v258*/, v1 /*v257*/, v7 /*v263*/, v2 /*v258*/
	s_set_vgpr_msb 4                        ;  msbs: dst=0 src0=0 src1=1 src2=0
	v_lshlrev_b32_e32 v22, 20, v10 /*v266*/
	s_set_vgpr_msb 0x44                     ;  msbs: dst=1 src0=0 src1=1 src2=0
	v_and_b32_e32 v4 /*v260*/, 0x1000, v4 /*v260*/
	s_set_vgpr_msb 0                        ;  msbs: dst=0 src0=0 src1=0 src2=0
	v_and_b32_e32 v20, 0x1000, v20
	s_set_vgpr_msb 64                       ;  msbs: dst=1 src0=0 src1=0 src2=0
	v_lshrrev_b32_e32 v7 /*v263*/, 16, v32
	s_set_vgpr_msb 0                        ;  msbs: dst=0 src0=0 src1=0 src2=0
	v_and_b32_e32 v32, 0xffff, v32
	s_set_vgpr_msb 64                       ;  msbs: dst=1 src0=0 src1=0 src2=0
	v_lshrrev_b32_e32 v10 /*v266*/, 16, v33
	s_set_vgpr_msb 0x54                     ;  msbs: dst=1 src0=0 src1=1 src2=1
	v_or3_b32 v4 /*v260*/, v23, v0 /*v256*/, v4 /*v260*/
	s_set_vgpr_msb 4                        ;  msbs: dst=0 src0=0 src1=1 src2=0
	v_lshlrev_b32_e32 v23, 28, v12 /*v268*/
	s_set_vgpr_msb 0                        ;  msbs: dst=0 src0=0 src1=0 src2=0
	v_and_b32_e32 v22, 0x100000, v22
	v_mul_u32_u24_e32 v32, 0x10001, v32
	v_and_b32_e32 v33, 0xffff, v33
	s_set_vgpr_msb 0x44                     ;  msbs: dst=1 src0=0 src1=1 src2=0
	v_lshlrev_b16 v1 /*v257*/, 8, v4 /*v260*/
	s_set_vgpr_msb 0                        ;  msbs: dst=0 src0=0 src1=0 src2=0
	v_and_b32_e32 v23, 0x10000000, v23
	s_set_vgpr_msb 0x44                     ;  msbs: dst=1 src0=0 src1=1 src2=0
	v_mul_u32_u24_e32 v7 /*v263*/, 0x10001, v7 /*v263*/
	s_set_vgpr_msb 64                       ;  msbs: dst=1 src0=0 src1=0 src2=0
	v_lshrrev_b32_e32 v12 /*v268*/, 16, v34
	s_set_vgpr_msb 0                        ;  msbs: dst=0 src0=0 src1=0 src2=0
	v_add_nc_u64_e32 v[174:175], s[22:23], v[174:175]
	s_set_vgpr_msb 0x44                     ;  msbs: dst=1 src0=0 src1=1 src2=0
	v_add_nc_u16 v1 /*v257*/, 0xf000, v1 /*v257*/
	s_set_vgpr_msb 0x41                     ;  msbs: dst=1 src0=1 src1=0 src2=0
	v_or3_b32 v0 /*v256*/, v0 /*v256*/, v22, v23
	s_set_vgpr_msb 0                        ;  msbs: dst=0 src0=0 src1=0 src2=0
	v_add_nc_u64_e32 v[22:23], s[4:5], v[172:173]
	v_add_nc_u64_e32 v[172:173], s[22:23], v[172:173]
	;; [unrolled: 1-line block ×3, first 2 shown]
	s_set_vgpr_msb 0x44                     ;  msbs: dst=1 src0=0 src1=1 src2=0
	v_lshrrev_b16 v16 /*v272*/, 8, v1 /*v257*/
	v_lshrrev_b32_e32 v20 /*v276*/, 16, v0 /*v256*/
	s_set_vgpr_msb 64                       ;  msbs: dst=1 src0=0 src1=0 src2=0
	v_add_nc_u64_e32 v[0:1] /*v[256:257]*/, s[4:5], v[170:171]
	s_set_vgpr_msb 0                        ;  msbs: dst=0 src0=0 src1=0 src2=0
	v_add_nc_u64_e32 v[170:171], s[22:23], v[170:171]
	v_add_nc_u64_e32 v[182:183], s[22:23], v[182:183]
	s_set_vgpr_msb 0x45                     ;  msbs: dst=1 src0=1 src1=1 src2=0
	v_bitop3_b16 v4 /*v260*/, v4 /*v260*/, v16 /*v272*/, 0x1f00 bitop3:0xec
	v_lshlrev_b16 v22 /*v278*/, 8, v20 /*v276*/
	s_set_vgpr_msb 0x44                     ;  msbs: dst=1 src0=0 src1=1 src2=0
	global_load_b32 v16 /*v272*/, v[22:23], off offset:2
	v_and_b32_e32 v20 /*v276*/, 0x1f00, v20 /*v276*/
	s_set_vgpr_msb 0x41                     ;  msbs: dst=1 src0=1 src1=0 src2=0
	global_load_b32 v0 /*v256*/, v[0:1] /*v[256:257]*/, off
	s_wait_xcnt 0x0
	s_set_vgpr_msb 0x44                     ;  msbs: dst=1 src0=0 src1=1 src2=0
	v_add_nc_u16 v1 /*v257*/, 0xf000, v4 /*v260*/
	v_add_nc_u16 v4 /*v260*/, 0xf000, v22 /*v278*/
	v_lshrrev_b32_e32 v22 /*v278*/, v247, v38 /*v294*/
	v_add_nc_u16 v20 /*v276*/, 0xf000, v20 /*v276*/
	s_set_vgpr_msb 0                        ;  msbs: dst=0 src0=0 src1=0 src2=0
	v_add_nc_u64_e32 v[184:185], s[22:23], v[184:185]
	s_set_vgpr_msb 0x44                     ;  msbs: dst=1 src0=0 src1=1 src2=0
	v_lshrrev_b32_e32 v26 /*v282*/, 8, v1 /*v257*/
	s_set_vgpr_msb 0x41                     ;  msbs: dst=1 src0=1 src1=0 src2=0
	v_bfe_i32 v1 /*v257*/, v1 /*v257*/, 0, 8
	s_set_vgpr_msb 0x44                     ;  msbs: dst=1 src0=0 src1=1 src2=0
	v_dual_lshlrev_b32 v22 /*v278*/, 4, v22 /*v278*/ :: v_dual_ashrrev_i32 v27 /*v283*/, v251, v37 /*v293*/
	v_ashrrev_i16 v4 /*v260*/, 8, v4 /*v260*/
	s_set_vgpr_msb 1                        ;  msbs: dst=0 src0=1 src1=0 src2=0
	v_bfe_i32 v21, v26 /*v282*/, 0, 8
	s_set_vgpr_msb 0x41                     ;  msbs: dst=1 src0=1 src1=0 src2=0
	v_cvt_f16_i16_e64 v1 /*v257*/, v1 /*v257*/
	s_set_vgpr_msb 0x44                     ;  msbs: dst=1 src0=0 src1=1 src2=0
	v_and_b32_e32 v22 /*v278*/, 16, v22 /*v278*/
	v_and_b32_e32 v25 /*v281*/, 0xf0f0f0f, v27 /*v283*/
	v_lshrrev_b32_e32 v27 /*v283*/, v254, v38 /*v294*/
	s_set_vgpr_msb 0                        ;  msbs: dst=0 src0=0 src1=0 src2=0
	v_cvt_f16_i16_e32 v21, v21
	s_set_vgpr_msb 0x41                     ;  msbs: dst=1 src0=1 src1=0 src2=0
	v_cvt_f16_i16_e64 v4 /*v260*/, v4 /*v260*/
	s_set_vgpr_msb 0x44                     ;  msbs: dst=1 src0=0 src1=1 src2=0
	v_mul_u32_u24_e32 v26 /*v282*/, 0x10001, v36 /*v292*/
	s_set_vgpr_msb 5                        ;  msbs: dst=0 src0=1 src1=1 src2=0
	v_or3_b32 v20, v22 /*v278*/, v25 /*v281*/, v20
	s_set_vgpr_msb 0x44                     ;  msbs: dst=1 src0=0 src1=1 src2=0
	v_dual_lshrrev_b32 v22 /*v278*/, v253, v38 /*v294*/ :: v_dual_lshrrev_b32 v20 /*v276*/, 8, v20 /*v276*/
	v_lshlrev_b32_e32 v27 /*v283*/, 28, v27 /*v283*/
	s_set_vgpr_msb 1                        ;  msbs: dst=0 src0=1 src1=0 src2=0
	v_pack_b32_f16 v21, v1 /*v257*/, v21
	s_set_vgpr_msb 64                       ;  msbs: dst=1 src0=0 src1=0 src2=0
	v_lshlrev_b16 v29 /*v285*/, 8, v20
	s_set_vgpr_msb 0x44                     ;  msbs: dst=1 src0=0 src1=1 src2=0
	v_lshlrev_b32_e32 v22 /*v278*/, 20, v22 /*v278*/
	s_set_vgpr_msb 0x41                     ;  msbs: dst=1 src0=1 src1=0 src2=0
	v_bfe_i32 v20 /*v276*/, v20 /*v276*/, 0, 8
	s_set_vgpr_msb 0x44                     ;  msbs: dst=1 src0=0 src1=1 src2=0
	v_and_b32_e32 v27 /*v283*/, 0x10000000, v27 /*v283*/
	s_set_vgpr_msb 4                        ;  msbs: dst=0 src0=0 src1=1 src2=0
	v_pk_mul_f16 v21, v21, v26 /*v282*/
	s_set_vgpr_msb 0x44                     ;  msbs: dst=1 src0=0 src1=1 src2=0
	v_add_nc_u16 v29 /*v285*/, 0xf000, v29 /*v285*/
	v_and_b32_e32 v22 /*v278*/, 0x100000, v22 /*v278*/
	s_set_vgpr_msb 0x41                     ;  msbs: dst=1 src0=1 src1=0 src2=0
	v_cvt_f16_i16_e64 v20 /*v276*/, v20 /*v276*/
	s_set_vgpr_msb 0x50                     ;  msbs: dst=1 src0=0 src1=0 src2=1
	v_pk_fma_f16 v5 /*v261*/, v21, v32, v5 /*v261*/
	s_set_vgpr_msb 0x55                     ;  msbs: dst=1 src0=1 src1=1 src2=1
	v_lshrrev_b16 v1 /*v257*/, 8, v29 /*v285*/
	v_or3_b32 v22 /*v278*/, v25 /*v281*/, v22 /*v278*/, v27 /*v283*/
	v_pack_b32_f16 v4 /*v260*/, v4 /*v260*/, v20 /*v276*/
	s_set_vgpr_msb 0                        ;  msbs: dst=0 src0=0 src1=0 src2=0
	v_pk_fma_f16 v37, v21, v28, v37
	s_wait_loadcnt 0x11
	s_set_vgpr_msb 0x44                     ;  msbs: dst=1 src0=0 src1=1 src2=0
	v_mul_u32_u24_e32 v27 /*v283*/, 0x10001, v39 /*v295*/
	s_set_vgpr_msb 4                        ;  msbs: dst=0 src0=0 src1=1 src2=0
	v_bitop3_b16 v20, v20, v1 /*v257*/, 0x1f00 bitop3:0xec
	s_set_vgpr_msb 0x45                     ;  msbs: dst=1 src0=1 src1=1 src2=0
	v_lshrrev_b32_e32 v1 /*v257*/, 16, v22 /*v278*/
	v_pk_mul_f16 v4 /*v260*/, v4 /*v260*/, v26 /*v282*/
	s_set_vgpr_msb 64                       ;  msbs: dst=1 src0=0 src1=0 src2=0
	global_load_u16 v22 /*v278*/, v[22:23], off
	s_wait_loadcnt 0x11
	s_wait_xcnt 0x0
	s_set_vgpr_msb 4                        ;  msbs: dst=0 src0=0 src1=1 src2=0
	v_ashrrev_i32_e32 v22, v251, v40 /*v296*/
	s_set_vgpr_msb 0                        ;  msbs: dst=0 src0=0 src1=0 src2=0
	v_add_nc_u16 v20, 0xf000, v20
	s_set_vgpr_msb 64                       ;  msbs: dst=1 src0=0 src1=0 src2=0
	v_lshrrev_b32_e32 v24 /*v280*/, 16, v31
	s_set_vgpr_msb 4                        ;  msbs: dst=0 src0=0 src1=1 src2=0
	v_lshlrev_b16 v21, 8, v1 /*v257*/
	s_set_vgpr_msb 17                       ;  msbs: dst=0 src0=1 src1=0 src2=1
	v_pk_fma_f16 v32, v4 /*v260*/, v32, v2 /*v258*/
	s_set_vgpr_msb 1                        ;  msbs: dst=0 src0=1 src1=0 src2=0
	v_pk_fma_f16 v28, v4 /*v260*/, v28, v255
	s_set_vgpr_msb 64                       ;  msbs: dst=1 src0=0 src1=0 src2=0
	v_lshrrev_b32_e32 v2 /*v258*/, 8, v20
	s_set_vgpr_msb 0x44                     ;  msbs: dst=1 src0=0 src1=1 src2=0
	v_and_b32_e32 v1 /*v257*/, 0x1f00, v1 /*v257*/
	s_set_vgpr_msb 0                        ;  msbs: dst=0 src0=0 src1=0 src2=0
	v_add_nc_u16 v255, 0xf000, v21
	s_wait_loadcnt 0x10
	s_set_vgpr_msb 0x44                     ;  msbs: dst=1 src0=0 src1=1 src2=0
	v_lshrrev_b32_e32 v4 /*v260*/, v252, v41 /*v297*/
	s_set_vgpr_msb 0                        ;  msbs: dst=0 src0=0 src1=0 src2=0
	v_bfe_i32 v20, v20, 0, 8
	s_set_vgpr_msb 1                        ;  msbs: dst=0 src0=1 src1=0 src2=0
	v_bfe_i32 v21, v2 /*v258*/, 0, 8
	s_set_vgpr_msb 0x44                     ;  msbs: dst=1 src0=0 src1=1 src2=0
	v_lshrrev_b32_e32 v2 /*v258*/, v247, v41 /*v297*/
	v_add_nc_u16 v1 /*v257*/, 0xf000, v1 /*v257*/
	s_set_vgpr_msb 64                       ;  msbs: dst=1 src0=0 src1=0 src2=0
	v_and_b32_e32 v25 /*v281*/, 0xf0f0f0f, v22
	v_cvt_f16_i16_e64 v20 /*v276*/, v20
	s_set_vgpr_msb 0                        ;  msbs: dst=0 src0=0 src1=0 src2=0
	v_and_b32_e32 v31, 0xffff, v31
	s_set_vgpr_msb 4                        ;  msbs: dst=0 src0=0 src1=1 src2=0
	v_lshlrev_b32_e32 v23, 4, v2 /*v258*/
	s_set_vgpr_msb 0x44                     ;  msbs: dst=1 src0=0 src1=1 src2=0
	v_dual_lshlrev_b32 v2 /*v258*/, 12, v4 /*v260*/ :: v_dual_lshrrev_b32 v1 /*v257*/, 8, v1 /*v257*/
	v_cvt_f16_i16_e64 v4 /*v260*/, v21
	s_set_vgpr_msb 0                        ;  msbs: dst=0 src0=0 src1=0 src2=0
	v_add_nc_u64_e32 v[20:21], s[4:5], v[168:169]
	s_set_vgpr_msb 64                       ;  msbs: dst=1 src0=0 src1=0 src2=0
	v_and_b32_e32 v26 /*v282*/, 16, v23
	s_set_vgpr_msb 0                        ;  msbs: dst=0 src0=0 src1=0 src2=0
	v_add_nc_u64_e32 v[22:23], s[4:5], v[166:167]
	s_set_vgpr_msb 0x45                     ;  msbs: dst=1 src0=1 src1=1 src2=0
	v_and_b32_e32 v2 /*v258*/, 0x1000, v2 /*v258*/
	v_pack_b32_f16 v4 /*v260*/, v20 /*v276*/, v4 /*v260*/
	s_set_vgpr_msb 0                        ;  msbs: dst=0 src0=0 src1=0 src2=0
	v_mul_u32_u24_e32 v31, 0x10001, v31
	v_add_nc_u64_e32 v[166:167], s[22:23], v[166:167]
	s_set_vgpr_msb 64                       ;  msbs: dst=1 src0=0 src1=0 src2=0
	global_load_b32 v20 /*v276*/, v[20:21], off offset:2
	s_set_vgpr_msb 0x55                     ;  msbs: dst=1 src0=1 src1=1 src2=1
	v_or3_b32 v2 /*v258*/, v26 /*v282*/, v25 /*v281*/, v2 /*v258*/
	s_set_vgpr_msb 0x44                     ;  msbs: dst=1 src0=0 src1=1 src2=0
	v_lshrrev_b32_e32 v26 /*v282*/, v253, v41 /*v297*/
	global_load_b32 v29 /*v285*/, v[22:23], off
	s_wait_xcnt 0x0
	s_set_vgpr_msb 4                        ;  msbs: dst=0 src0=0 src1=1 src2=0
	v_lshrrev_b32_e32 v22, v254, v41 /*v297*/
	s_set_vgpr_msb 1                        ;  msbs: dst=0 src0=1 src1=0 src2=0
	v_ashrrev_i16 v23, 8, v255
	v_bfe_i32 v255, v1 /*v257*/, 0, 8
	s_set_vgpr_msb 0x44                     ;  msbs: dst=1 src0=0 src1=1 src2=0
	v_lshlrev_b32_e32 v1 /*v257*/, 20, v26 /*v282*/
	v_lshlrev_b16 v26 /*v282*/, 8, v2 /*v258*/
	s_set_vgpr_msb 0                        ;  msbs: dst=0 src0=0 src1=0 src2=0
	v_lshlrev_b32_e32 v22, 28, v22
	v_cvt_f16_i16_e32 v23, v23
	v_cvt_f16_i16_e64 v255, v255
	s_set_vgpr_msb 0x44                     ;  msbs: dst=1 src0=0 src1=1 src2=0
	v_and_b32_e32 v1 /*v257*/, 0x100000, v1 /*v257*/
	v_add_nc_u16 v26 /*v282*/, 0xf000, v26 /*v282*/
	s_set_vgpr_msb 0                        ;  msbs: dst=0 src0=0 src1=0 src2=0
	v_and_b32_e32 v22, 0x10000000, v22
	v_add_nc_u64_e32 v[168:169], s[22:23], v[168:169]
	v_pack_b32_f16 v23, v23, v255
	s_set_vgpr_msb 5                        ;  msbs: dst=0 src0=1 src1=1 src2=0
	v_pk_mul_f16 v255, v4 /*v260*/, v27 /*v283*/
	s_set_vgpr_msb 0x44                     ;  msbs: dst=1 src0=0 src1=1 src2=0
	v_lshrrev_b16 v4 /*v260*/, 8, v26 /*v282*/
	s_set_vgpr_msb 5                        ;  msbs: dst=0 src0=1 src1=1 src2=0
	v_or3_b32 v22, v25 /*v281*/, v1 /*v257*/, v22
	s_set_vgpr_msb 0x44                     ;  msbs: dst=1 src0=0 src1=1 src2=0
	v_mul_u32_u24_e32 v1 /*v257*/, 0x10001, v19 /*v275*/
	s_set_vgpr_msb 4                        ;  msbs: dst=0 src0=0 src1=1 src2=0
	v_pk_mul_f16 v23, v23, v27 /*v283*/
	s_set_vgpr_msb 0x54                     ;  msbs: dst=1 src0=0 src1=1 src2=1
	v_pk_fma_f16 v5 /*v261*/, v255, v7 /*v263*/, v5 /*v261*/
	s_set_vgpr_msb 0x45                     ;  msbs: dst=1 src0=1 src1=1 src2=0
	v_bitop3_b16 v2 /*v258*/, v2 /*v258*/, v4 /*v260*/, 0x1f00 bitop3:0xec
	s_set_vgpr_msb 0                        ;  msbs: dst=0 src0=0 src1=0 src2=0
	v_lshrrev_b32_e32 v22, 16, v22
	s_set_vgpr_msb 4                        ;  msbs: dst=0 src0=0 src1=1 src2=0
	v_pk_fma_f16 v37, v255, v1 /*v257*/, v37
	v_pk_fma_f16 v28, v23, v1 /*v257*/, v28
	s_set_vgpr_msb 64                       ;  msbs: dst=1 src0=0 src1=0 src2=0
	v_mul_u32_u24_e32 v1 /*v257*/, 0x10001, v33
	s_wait_loadcnt 0xf
	s_set_vgpr_msb 4                        ;  msbs: dst=0 src0=0 src1=1 src2=0
	v_lshrrev_b32_e32 v33, v247, v44 /*v300*/
	v_pk_fma_f16 v255, v23, v7 /*v263*/, v32
	v_add_nc_u16 v32, 0xf000, v2 /*v258*/
	s_set_vgpr_msb 64                       ;  msbs: dst=1 src0=0 src1=0 src2=0
	v_lshlrev_b16 v2 /*v258*/, 8, v22
	s_set_vgpr_msb 0                        ;  msbs: dst=0 src0=0 src1=0 src2=0
	v_and_b32_e32 v22, 0x1f00, v22
	s_set_vgpr_msb 0x44                     ;  msbs: dst=1 src0=0 src1=1 src2=0
	v_lshrrev_b32_e32 v4 /*v260*/, v252, v44 /*v300*/
	s_set_vgpr_msb 0                        ;  msbs: dst=0 src0=0 src1=0 src2=0
	v_dual_lshlrev_b32 v33, 4, v33 :: v_dual_lshrrev_b32 v23, 8, v32
	s_set_vgpr_msb 0x44                     ;  msbs: dst=1 src0=0 src1=1 src2=0
	v_ashrrev_i32_e32 v25 /*v281*/, v251, v43 /*v299*/
	s_set_vgpr_msb 64                       ;  msbs: dst=1 src0=0 src1=0 src2=0
	v_add_nc_u16 v7 /*v263*/, 0xf000, v22
	s_set_vgpr_msb 0x44                     ;  msbs: dst=1 src0=0 src1=1 src2=0
	v_lshlrev_b32_e32 v4 /*v260*/, 12, v4 /*v260*/
	v_bfe_i32 v26 /*v282*/, v32, 0, 8
	s_set_vgpr_msb 64                       ;  msbs: dst=1 src0=0 src1=0 src2=0
	v_and_b32_e32 v27 /*v283*/, 16, v33
	s_set_vgpr_msb 0                        ;  msbs: dst=0 src0=0 src1=0 src2=0
	v_add_nc_u64_e32 v[32:33], s[4:5], v[162:163]
	s_set_vgpr_msb 64                       ;  msbs: dst=1 src0=0 src1=0 src2=0
	v_bfe_i32 v19 /*v275*/, v23, 0, 8
	s_set_vgpr_msb 0                        ;  msbs: dst=0 src0=0 src1=0 src2=0
	v_add_nc_u64_e32 v[22:23], s[4:5], v[164:165]
	s_set_vgpr_msb 0x44                     ;  msbs: dst=1 src0=0 src1=1 src2=0
	v_and_b32_e32 v25 /*v281*/, 0xf0f0f0f, v25 /*v281*/
	v_lshrrev_b32_e32 v7 /*v263*/, 8, v7 /*v263*/
	v_and_b32_e32 v4 /*v260*/, 0x1000, v4 /*v260*/
	global_load_u16 v30 /*v286*/, v[20:21], off
	global_load_b32 v31 /*v287*/, v[22:23], off offset:2
	s_wait_xcnt 0x1
	s_set_vgpr_msb 1                        ;  msbs: dst=0 src0=1 src1=0 src2=0
	v_cvt_f16_i16_e64 v21, v26 /*v282*/
	s_set_vgpr_msb 0x55                     ;  msbs: dst=1 src0=1 src1=1 src2=1
	v_or3_b32 v4 /*v260*/, v27 /*v283*/, v25 /*v281*/, v4 /*v260*/
	s_set_vgpr_msb 64                       ;  msbs: dst=1 src0=0 src1=0 src2=0
	global_load_b32 v26 /*v282*/, v[32:33], off
	s_wait_xcnt 0x0
	s_set_vgpr_msb 1                        ;  msbs: dst=0 src0=1 src1=0 src2=0
	v_cvt_f16_i16_e64 v32, v19 /*v275*/
	s_set_vgpr_msb 4                        ;  msbs: dst=0 src0=0 src1=1 src2=0
	v_lshrrev_b32_e32 v33, v253, v44 /*v300*/
	s_set_vgpr_msb 0x44                     ;  msbs: dst=1 src0=0 src1=1 src2=0
	v_lshrrev_b32_e32 v19 /*v275*/, v254, v44 /*v300*/
	v_add_nc_u16 v2 /*v258*/, 0xf000, v2 /*v258*/
	v_lshlrev_b16 v27 /*v283*/, 8, v4 /*v260*/
	s_set_vgpr_msb 0x41                     ;  msbs: dst=1 src0=1 src1=0 src2=0
	v_bfe_i32 v7 /*v263*/, v7 /*v263*/, 0, 8
	s_set_vgpr_msb 0                        ;  msbs: dst=0 src0=0 src1=0 src2=0
	v_lshlrev_b32_e32 v33, 20, v33
	s_set_vgpr_msb 0x44                     ;  msbs: dst=1 src0=0 src1=1 src2=0
	v_lshlrev_b32_e32 v19 /*v275*/, 28, v19 /*v275*/
	v_ashrrev_i16 v2 /*v258*/, 8, v2 /*v258*/
	v_add_nc_u16 v27 /*v283*/, 0xf000, v27 /*v283*/
	s_set_vgpr_msb 4                        ;  msbs: dst=0 src0=0 src1=1 src2=0
	v_mul_u32_u24_e32 v20, 0x10001, v42 /*v298*/
	s_set_vgpr_msb 0                        ;  msbs: dst=0 src0=0 src1=0 src2=0
	v_and_b32_e32 v33, 0x100000, v33
	s_set_vgpr_msb 0x41                     ;  msbs: dst=1 src0=1 src1=0 src2=0
	v_cvt_f16_i16_e64 v7 /*v263*/, v7 /*v263*/
	v_cvt_f16_i16_e64 v2 /*v258*/, v2 /*v258*/
	s_set_vgpr_msb 0x44                     ;  msbs: dst=1 src0=0 src1=1 src2=0
	v_lshrrev_b16 v27 /*v283*/, 8, v27 /*v283*/
	s_set_vgpr_msb 0                        ;  msbs: dst=0 src0=0 src1=0 src2=0
	v_pack_b32_f16 v21, v21, v32
	v_add_nc_u64_e32 v[162:163], s[22:23], v[162:163]
	v_add_nc_u64_e32 v[164:165], s[22:23], v[164:165]
	v_pk_fma_f32 v[70:71], v[70:71], v[230:231], v[226:227]
	s_delay_alu instid0(VALU_DEP_4)
	v_pk_mul_f16 v21, v21, v20
	s_wait_loadcnt 0x11
	s_set_vgpr_msb 0x44                     ;  msbs: dst=1 src0=0 src1=1 src2=0
	v_ashrrev_i32_e32 v13 /*v269*/, v251, v13 /*v269*/
	v_and_b32_e32 v19 /*v275*/, 0x10000000, v19 /*v275*/
	s_set_vgpr_msb 0                        ;  msbs: dst=0 src0=0 src1=0 src2=0
	v_pk_fma_f16 v37, v21, v29, v37
	s_set_vgpr_msb 0x44                     ;  msbs: dst=1 src0=0 src1=1 src2=0
	v_and_b32_e32 v13 /*v269*/, 0xf0f0f0f, v13 /*v269*/
	s_set_vgpr_msb 17                       ;  msbs: dst=0 src0=1 src1=0 src2=1
	v_or3_b32 v32, v25 /*v281*/, v33, v19 /*v275*/
	s_set_vgpr_msb 5                        ;  msbs: dst=0 src0=1 src1=1 src2=0
	v_pack_b32_f16 v33, v2 /*v258*/, v7 /*v263*/
	s_set_vgpr_msb 0x45                     ;  msbs: dst=1 src0=1 src1=1 src2=0
	v_bitop3_b16 v2 /*v258*/, v4 /*v260*/, v27 /*v283*/, 0x1f00 bitop3:0xec
	s_set_vgpr_msb 0                        ;  msbs: dst=0 src0=0 src1=0 src2=0
	v_lshrrev_b32_e32 v32, 16, v32
	v_pk_mul_f16 v20, v33, v20
	s_set_vgpr_msb 4                        ;  msbs: dst=0 src0=0 src1=1 src2=0
	v_add_nc_u16 v33, 0xf000, v2 /*v258*/
	s_set_vgpr_msb 0x54                     ;  msbs: dst=1 src0=0 src1=1 src2=1
	v_pk_fma_f16 v2 /*v258*/, v21, v1 /*v257*/, v5 /*v261*/
	s_set_vgpr_msb 0                        ;  msbs: dst=0 src0=0 src1=0 src2=0
	v_and_b32_e32 v21, 0x1f00, v32
	s_set_vgpr_msb 4                        ;  msbs: dst=0 src0=0 src1=1 src2=0
	v_pk_fma_f16 v255, v20, v1 /*v257*/, v255
	s_set_vgpr_msb 64                       ;  msbs: dst=1 src0=0 src1=0 src2=0
	v_pk_fma_f16 v4 /*v260*/, v20, v29, v28
	v_lshrrev_b32_e32 v1 /*v257*/, 8, v33
	s_set_vgpr_msb 0                        ;  msbs: dst=0 src0=0 src1=0 src2=0
	v_bfe_i32 v28, v33, 0, 8
	s_set_vgpr_msb 64                       ;  msbs: dst=1 src0=0 src1=0 src2=0
	v_add_nc_u16 v5 /*v261*/, 0xf000, v21
	s_set_vgpr_msb 0                        ;  msbs: dst=0 src0=0 src1=0 src2=0
	v_add_nc_u64_e32 v[20:21], s[4:5], v[160:161]
	s_wait_loadcnt 0xf
	s_set_vgpr_msb 4                        ;  msbs: dst=0 src0=0 src1=1 src2=0
	v_lshrrev_b32_e32 v29, v247, v11 /*v267*/
	s_set_vgpr_msb 1                        ;  msbs: dst=0 src0=1 src1=0 src2=0
	v_bfe_i32 v33, v1 /*v257*/, 0, 8
	s_set_vgpr_msb 0x44                     ;  msbs: dst=1 src0=0 src1=1 src2=0
	v_lshrrev_b32_e32 v1 /*v257*/, v252, v11 /*v267*/
	v_cvt_f16_i16_e64 v7 /*v263*/, v28
	s_set_vgpr_msb 0                        ;  msbs: dst=0 src0=0 src1=0 src2=0
	v_lshlrev_b16 v32, 8, v32
	s_set_vgpr_msb 64                       ;  msbs: dst=1 src0=0 src1=0 src2=0
	v_lshlrev_b32_e32 v19 /*v275*/, 4, v29
	global_load_b32 v25 /*v281*/, v[20:21], off offset:2
	s_set_vgpr_msb 0x44                     ;  msbs: dst=1 src0=0 src1=1 src2=0
	v_lshlrev_b32_e32 v1 /*v257*/, 12, v1 /*v257*/
	s_set_vgpr_msb 0                        ;  msbs: dst=0 src0=0 src1=0 src2=0
	v_add_nc_u64_e32 v[28:29], s[4:5], v[158:159]
	v_cvt_f16_i16_e32 v33, v33
	s_set_vgpr_msb 0x44                     ;  msbs: dst=1 src0=0 src1=1 src2=0
	v_and_b32_e32 v19 /*v275*/, 16, v19 /*v275*/
	s_set_vgpr_msb 0                        ;  msbs: dst=0 src0=0 src1=0 src2=0
	v_add_nc_u64_e32 v[158:159], s[22:23], v[158:159]
	s_set_vgpr_msb 0x44                     ;  msbs: dst=1 src0=0 src1=1 src2=0
	v_and_b32_e32 v1 /*v257*/, 0x1000, v1 /*v257*/
	s_set_vgpr_msb 0                        ;  msbs: dst=0 src0=0 src1=0 src2=0
	v_add_nc_u64_e32 v[160:161], s[22:23], v[160:161]
	s_set_vgpr_msb 64                       ;  msbs: dst=1 src0=0 src1=0 src2=0
	global_load_b32 v27 /*v283*/, v[28:29], off
	s_wait_xcnt 0x0
	s_set_vgpr_msb 1                        ;  msbs: dst=0 src0=1 src1=0 src2=0
	v_add_nc_u16 v28, 0xf000, v32
	v_pack_b32_f16 v32, v7 /*v263*/, v33
	s_set_vgpr_msb 21                       ;  msbs: dst=0 src0=1 src1=1 src2=1
	v_or3_b32 v33, v19 /*v275*/, v13 /*v269*/, v1 /*v257*/
	v_mul_u32_u24_e32 v29, 0x10001, v8 /*v264*/
	s_set_vgpr_msb 0x44                     ;  msbs: dst=1 src0=0 src1=1 src2=0
	v_dual_lshrrev_b32 v1 /*v257*/, 8, v5 /*v261*/ :: v_dual_lshrrev_b32 v5 /*v261*/, v253, v11 /*v267*/
	v_lshrrev_b32_e32 v7 /*v263*/, v254, v11 /*v267*/
	s_set_vgpr_msb 64                       ;  msbs: dst=1 src0=0 src1=0 src2=0
	v_lshlrev_b16 v8 /*v264*/, 8, v33
	global_load_u16 v11 /*v267*/, v[22:23], off
	s_wait_xcnt 0x0
	s_set_vgpr_msb 1                        ;  msbs: dst=0 src0=1 src1=0 src2=0
	v_bfe_i32 v22, v1 /*v257*/, 0, 8
	s_set_vgpr_msb 4                        ;  msbs: dst=0 src0=0 src1=1 src2=0
	v_lshlrev_b32_e32 v23, 20, v5 /*v261*/
	s_set_vgpr_msb 0                        ;  msbs: dst=0 src0=0 src1=0 src2=0
	v_ashrrev_i16 v28, 8, v28
	s_set_vgpr_msb 0x44                     ;  msbs: dst=1 src0=0 src1=1 src2=0
	v_add_nc_u16 v5 /*v261*/, 0xf000, v8 /*v264*/
	s_set_vgpr_msb 64                       ;  msbs: dst=1 src0=0 src1=0 src2=0
	v_lshrrev_b32_e32 v19 /*v275*/, 16, v26
	s_set_vgpr_msb 0                        ;  msbs: dst=0 src0=0 src1=0 src2=0
	v_cvt_f16_i16_e32 v22, v22
	v_and_b32_e32 v23, 0x100000, v23
	v_cvt_f16_i16_e32 v28, v28
	s_set_vgpr_msb 0x44                     ;  msbs: dst=1 src0=0 src1=1 src2=0
	v_lshrrev_b16 v5 /*v261*/, 8, v5 /*v261*/
	s_set_vgpr_msb 0                        ;  msbs: dst=0 src0=0 src1=0 src2=0
	v_and_b32_e32 v26, 0xffff, v26
	s_wait_loadcnt 0x10
	s_set_vgpr_msb 0x44                     ;  msbs: dst=1 src0=0 src1=1 src2=0
	v_dual_lshrrev_b32 v8 /*v264*/, v252, v17 /*v273*/ :: v_dual_lshlrev_b32 v1 /*v257*/, 28, v7 /*v263*/
	s_set_vgpr_msb 0                        ;  msbs: dst=0 src0=0 src1=0 src2=0
	v_pack_b32_f16 v22, v28, v22
	s_set_vgpr_msb 0x44                     ;  msbs: dst=1 src0=0 src1=1 src2=0
	v_mul_u32_u24_e32 v7 /*v263*/, 0x10001, v10 /*v266*/
	s_set_vgpr_msb 0                        ;  msbs: dst=0 src0=0 src1=0 src2=0
	v_pk_mul_f16 v28, v32, v29
	s_set_vgpr_msb 4                        ;  msbs: dst=0 src0=0 src1=1 src2=0
	v_mul_u32_u24_e32 v32, 0x10001, v21 /*v277*/
	s_set_vgpr_msb 0x44                     ;  msbs: dst=1 src0=0 src1=1 src2=0
	v_and_b32_e32 v1 /*v257*/, 0x10000000, v1 /*v257*/
	s_set_vgpr_msb 0                        ;  msbs: dst=0 src0=0 src1=0 src2=0
	v_pk_mul_f16 v22, v22, v29
	s_set_vgpr_msb 4                        ;  msbs: dst=0 src0=0 src1=1 src2=0
	v_bitop3_b16 v33, v33, v5 /*v261*/, 0x1f00 bitop3:0xec
	s_set_vgpr_msb 0                        ;  msbs: dst=0 src0=0 src1=0 src2=0
	v_mul_u32_u24_e32 v26, 0x10001, v26
	v_pk_fma_f16 v37, v28, v32, v37
	s_set_vgpr_msb 17                       ;  msbs: dst=0 src0=1 src1=0 src2=1
	v_or3_b32 v23, v13 /*v269*/, v23, v1 /*v257*/
	s_set_vgpr_msb 0x54                     ;  msbs: dst=1 src0=0 src1=1 src2=1
	v_pk_fma_f16 v1 /*v257*/, v28, v7 /*v263*/, v2 /*v258*/
	s_set_vgpr_msb 0                        ;  msbs: dst=0 src0=0 src1=0 src2=0
	v_and_b32_e32 v28, 0xffff, v34
	s_set_vgpr_msb 4                        ;  msbs: dst=0 src0=0 src1=1 src2=0
	v_pk_fma_f16 v255, v22, v7 /*v263*/, v255
	s_set_vgpr_msb 0x44                     ;  msbs: dst=1 src0=0 src1=1 src2=0
	v_lshrrev_b32_e32 v7 /*v263*/, v247, v17 /*v273*/
	s_set_vgpr_msb 16                       ;  msbs: dst=0 src0=0 src1=0 src2=1
	v_lshrrev_b32_e32 v23, 16, v23
	v_pk_fma_f16 v32, v22, v32, v4 /*v260*/
	s_set_vgpr_msb 64                       ;  msbs: dst=1 src0=0 src1=0 src2=0
	v_mul_u32_u24_e32 v2 /*v258*/, 0x10001, v28
	s_set_vgpr_msb 0x44                     ;  msbs: dst=1 src0=0 src1=1 src2=0
	v_dual_ashrrev_i32 v10 /*v266*/, v251, v18 /*v274*/ :: v_dual_lshlrev_b32 v7 /*v263*/, 4, v7 /*v263*/
	s_set_vgpr_msb 0                        ;  msbs: dst=0 src0=0 src1=0 src2=0
	v_lshlrev_b16 v29, 8, v23
	v_and_b32_e32 v23, 0x1f00, v23
	s_set_vgpr_msb 0x44                     ;  msbs: dst=1 src0=0 src1=1 src2=0
	v_lshlrev_b32_e32 v8 /*v264*/, 12, v8 /*v264*/
	s_set_vgpr_msb 0                        ;  msbs: dst=0 src0=0 src1=0 src2=0
	v_add_nc_u16 v33, 0xf000, v33
	s_set_vgpr_msb 0x44                     ;  msbs: dst=1 src0=0 src1=1 src2=0
	v_and_b32_e32 v10 /*v266*/, 0xf0f0f0f, v10 /*v266*/
	s_set_vgpr_msb 64                       ;  msbs: dst=1 src0=0 src1=0 src2=0
	v_add_nc_u16 v4 /*v260*/, 0xf000, v29
	s_set_vgpr_msb 0                        ;  msbs: dst=0 src0=0 src1=0 src2=0
	v_add_nc_u64_e32 v[28:29], s[4:5], v[154:155]
	s_set_vgpr_msb 64                       ;  msbs: dst=1 src0=0 src1=0 src2=0
	v_add_nc_u16 v5 /*v261*/, 0xf000, v23
	s_set_vgpr_msb 0x44                     ;  msbs: dst=1 src0=0 src1=1 src2=0
	v_and_b32_e32 v7 /*v263*/, 16, v7 /*v263*/
	s_set_vgpr_msb 0                        ;  msbs: dst=0 src0=0 src1=0 src2=0
	v_add_nc_u64_e32 v[22:23], s[4:5], v[156:157]
	v_lshrrev_b32_e32 v34, 8, v33
	v_bfe_i32 v33, v33, 0, 8
	s_set_vgpr_msb 0x44                     ;  msbs: dst=1 src0=0 src1=1 src2=0
	v_ashrrev_i16 v4 /*v260*/, 8, v4 /*v260*/
	global_load_b32 v18 /*v274*/, v[28:29], off
	s_wait_xcnt 0x0
	s_set_vgpr_msb 4                        ;  msbs: dst=0 src0=0 src1=1 src2=0
	v_and_b32_e32 v28, 0x1000, v8 /*v264*/
	s_set_vgpr_msb 0x44                     ;  msbs: dst=1 src0=0 src1=1 src2=0
	v_lshrrev_b32_e32 v8 /*v264*/, v253, v17 /*v273*/
	s_set_vgpr_msb 0                        ;  msbs: dst=0 src0=0 src1=0 src2=0
	v_bfe_i32 v34, v34, 0, 8
	s_set_vgpr_msb 64                       ;  msbs: dst=1 src0=0 src1=0 src2=0
	global_load_b32 v13 /*v269*/, v[22:23], off offset:2
	s_wait_loadcnt 0x11
	s_set_vgpr_msb 5                        ;  msbs: dst=0 src0=1 src1=1 src2=0
	v_mul_u32_u24_e32 v29, 0x10001, v14 /*v270*/
	v_or3_b32 v28, v7 /*v263*/, v10 /*v266*/, v28
	s_set_vgpr_msb 0x44                     ;  msbs: dst=1 src0=0 src1=1 src2=0
	v_lshrrev_b32_e32 v7 /*v263*/, v254, v17 /*v273*/
	v_dual_lshrrev_b32 v5 /*v261*/, 8, v5 /*v261*/ :: v_dual_lshlrev_b32 v8 /*v264*/, 20, v8 /*v264*/
	global_load_u16 v17 /*v273*/, v[20:21], off
	s_set_vgpr_msb 0                        ;  msbs: dst=0 src0=0 src1=0 src2=0
	v_cvt_f16_i16_e32 v33, v33
	v_cvt_f16_i16_e32 v34, v34
	s_wait_xcnt 0x0
	s_set_vgpr_msb 1                        ;  msbs: dst=0 src0=1 src1=0 src2=0
	v_bfe_i32 v20, v5 /*v261*/, 0, 8
	s_set_vgpr_msb 64                       ;  msbs: dst=1 src0=0 src1=0 src2=0
	v_lshlrev_b16 v14 /*v270*/, 8, v28
	s_set_vgpr_msb 1                        ;  msbs: dst=0 src0=1 src1=0 src2=0
	v_cvt_f16_i16_e64 v21, v4 /*v260*/
	s_set_vgpr_msb 0x44                     ;  msbs: dst=1 src0=0 src1=1 src2=0
	v_lshlrev_b32_e32 v7 /*v263*/, 28, v7 /*v263*/
	s_set_vgpr_msb 0                        ;  msbs: dst=0 src0=0 src1=0 src2=0
	v_pack_b32_f16 v33, v33, v34
	v_cvt_f16_i16_e32 v20, v20
	s_set_vgpr_msb 0x44                     ;  msbs: dst=1 src0=0 src1=1 src2=0
	v_add_nc_u16 v4 /*v260*/, 0xf000, v14 /*v270*/
	v_and_b32_e32 v5 /*v261*/, 0x100000, v8 /*v264*/
	s_set_vgpr_msb 0                        ;  msbs: dst=0 src0=0 src1=0 src2=0
	v_add_nc_u64_e32 v[154:155], s[22:23], v[154:155]
	v_add_nc_u64_e32 v[156:157], s[22:23], v[156:157]
	v_pack_b32_f16 v20, v21, v20
	s_set_vgpr_msb 4                        ;  msbs: dst=0 src0=0 src1=1 src2=0
	v_lshrrev_b16 v34, 8, v4 /*v260*/
	s_set_vgpr_msb 0                        ;  msbs: dst=0 src0=0 src1=0 src2=0
	v_pk_mul_f16 v21, v33, v29
	v_pk_mul_f16 v20, v20, v29
	s_delay_alu instid0(VALU_DEP_3) | instskip(SKIP_1) | instid1(VALU_DEP_3)
	v_bitop3_b16 v28, v28, v34, 0x1f00 bitop3:0xec
	s_set_vgpr_msb 20                       ;  msbs: dst=0 src0=0 src1=1 src2=1
	v_pk_fma_f16 v29, v21, v2 /*v258*/, v1 /*v257*/
	s_set_vgpr_msb 0                        ;  msbs: dst=0 src0=0 src1=0 src2=0
	v_pk_fma_f16 v34, v21, v30, v37
	s_set_vgpr_msb 4                        ;  msbs: dst=0 src0=0 src1=1 src2=0
	v_pk_fma_f16 v37, v20, v2 /*v258*/, v255
	s_wait_loadcnt 0x10
	s_set_vgpr_msb 0x44                     ;  msbs: dst=1 src0=0 src1=1 src2=0
	v_lshrrev_b32_e32 v2 /*v258*/, v247, v9 /*v265*/
	v_and_b32_e32 v7 /*v263*/, 0x10000000, v7 /*v263*/
	s_set_vgpr_msb 4                        ;  msbs: dst=0 src0=0 src1=1 src2=0
	v_mul_u32_u24_e32 v255, 0x10001, v6 /*v262*/
	s_set_vgpr_msb 64                       ;  msbs: dst=1 src0=0 src1=0 src2=0
	global_load_u16 v6 /*v262*/, v[22:23], off
	s_wait_xcnt 0x0
	s_set_vgpr_msb 0                        ;  msbs: dst=0 src0=0 src1=0 src2=0
	v_add_nc_u64_e32 v[22:23], s[4:5], v[150:151]
	v_add_nc_u16 v28, 0xf000, v28
	s_set_vgpr_msb 0x55                     ;  msbs: dst=1 src0=1 src1=1 src2=1
	v_or3_b32 v4 /*v260*/, v10 /*v266*/, v5 /*v261*/, v7 /*v263*/
	s_set_vgpr_msb 0                        ;  msbs: dst=0 src0=0 src1=0 src2=0
	v_pk_fma_f16 v30, v20, v30, v32
	s_wait_loadcnt 0xf
	s_set_vgpr_msb 0x44                     ;  msbs: dst=1 src0=0 src1=1 src2=0
	v_dual_lshrrev_b32 v5 /*v261*/, v252, v9 /*v265*/ :: v_dual_ashrrev_i32 v3 /*v259*/, v251, v3 /*v259*/
	s_set_vgpr_msb 0                        ;  msbs: dst=0 src0=0 src1=0 src2=0
	v_lshrrev_b32_e32 v20, 8, v28
	s_set_vgpr_msb 4                        ;  msbs: dst=0 src0=0 src1=1 src2=0
	v_lshrrev_b32_e32 v33, 16, v4 /*v260*/
	s_set_vgpr_msb 64                       ;  msbs: dst=1 src0=0 src1=0 src2=0
	global_load_b32 v10 /*v266*/, v[22:23], off
	s_wait_xcnt 0x0
	s_set_vgpr_msb 4                        ;  msbs: dst=0 src0=0 src1=1 src2=0
	v_lshrrev_b32_e32 v22, v254, v9 /*v265*/
	s_set_vgpr_msb 0x44                     ;  msbs: dst=1 src0=0 src1=1 src2=0
	v_dual_lshlrev_b32 v2 /*v258*/, 4, v2 /*v258*/ :: v_dual_lshlrev_b32 v5 /*v261*/, 12, v5 /*v261*/
	s_set_vgpr_msb 0                        ;  msbs: dst=0 src0=0 src1=0 src2=0
	v_and_b32_e32 v21, 0x1f00, v33
	v_bfe_i32 v20, v20, 0, 8
	v_lshlrev_b32_e32 v22, 28, v22
	v_lshlrev_b16 v32, 8, v33
	s_set_vgpr_msb 0x44                     ;  msbs: dst=1 src0=0 src1=1 src2=0
	v_and_b32_e32 v3 /*v259*/, 0xf0f0f0f, v3 /*v259*/
	s_set_vgpr_msb 0                        ;  msbs: dst=0 src0=0 src1=0 src2=0
	v_add_nc_u16 v21, 0xf000, v21
	s_set_vgpr_msb 0x44                     ;  msbs: dst=1 src0=0 src1=1 src2=0
	v_cvt_f16_i16_e64 v1 /*v257*/, v20
	v_dual_lshrrev_b32 v8 /*v264*/, v253, v9 /*v265*/ :: v_dual_bitop2_b32 v2 /*v258*/, 16, v2 /*v258*/ bitop3:0x40
	s_set_vgpr_msb 0                        ;  msbs: dst=0 src0=0 src1=0 src2=0
	v_add_nc_u16 v32, 0xf000, v32
	v_lshrrev_b32_e32 v21, 8, v21
	s_set_vgpr_msb 0x44                     ;  msbs: dst=1 src0=0 src1=1 src2=0
	v_and_b32_e32 v5 /*v261*/, 0x1000, v5 /*v261*/
	s_set_vgpr_msb 0                        ;  msbs: dst=0 src0=0 src1=0 src2=0
	v_bfe_i32 v28, v28, 0, 8
	v_and_b32_e32 v22, 0x10000000, v22
	v_ashrrev_i16 v32, 8, v32
	s_set_vgpr_msb 64                       ;  msbs: dst=1 src0=0 src1=0 src2=0
	v_bfe_i32 v4 /*v260*/, v21, 0, 8
	s_set_vgpr_msb 0                        ;  msbs: dst=0 src0=0 src1=0 src2=0
	v_add_nc_u64_e32 v[20:21], s[4:5], v[152:153]
	s_set_vgpr_msb 21                       ;  msbs: dst=0 src0=1 src1=1 src2=1
	v_or3_b32 v23, v2 /*v258*/, v3 /*v259*/, v5 /*v261*/
	s_set_vgpr_msb 0                        ;  msbs: dst=0 src0=0 src1=0 src2=0
	v_cvt_f16_i16_e32 v28, v28
	v_cvt_f16_i16_e32 v32, v32
	s_set_vgpr_msb 0x41                     ;  msbs: dst=1 src0=1 src1=0 src2=0
	v_cvt_f16_i16_e64 v2 /*v258*/, v4 /*v260*/
	s_set_vgpr_msb 0x44                     ;  msbs: dst=1 src0=0 src1=1 src2=0
	v_lshlrev_b32_e32 v4 /*v260*/, 20, v8 /*v264*/
	s_set_vgpr_msb 64                       ;  msbs: dst=1 src0=0 src1=0 src2=0
	v_lshlrev_b16 v5 /*v261*/, 8, v23
	global_load_b32 v7 /*v263*/, v[20:21], off offset:2
	s_set_vgpr_msb 4                        ;  msbs: dst=0 src0=0 src1=1 src2=0
	v_pack_b32_f16 v28, v28, v1 /*v257*/
	v_pack_b32_f16 v32, v32, v2 /*v258*/
	s_set_vgpr_msb 0x44                     ;  msbs: dst=1 src0=0 src1=1 src2=0
	v_and_b32_e32 v1 /*v257*/, 0x100000, v4 /*v260*/
	v_add_nc_u16 v2 /*v258*/, 0xf000, v5 /*v261*/
	s_set_vgpr_msb 4                        ;  msbs: dst=0 src0=0 src1=1 src2=0
	v_mul_u32_u24_e32 v33, 0x10001, v12 /*v268*/
	s_set_vgpr_msb 0                        ;  msbs: dst=0 src0=0 src1=0 src2=0
	v_pk_mul_f16 v28, v28, v255
	v_pk_mul_f16 v32, v32, v255
	s_set_vgpr_msb 0x44                     ;  msbs: dst=1 src0=0 src1=1 src2=0
	v_mul_u32_u24_e32 v4 /*v260*/, 0x10001, v23 /*v279*/
	s_set_vgpr_msb 5                        ;  msbs: dst=0 src0=1 src1=1 src2=0
	v_lshrrev_b16 v255, 8, v2 /*v258*/
	v_or3_b32 v22, v3 /*v259*/, v1 /*v257*/, v22
	s_set_vgpr_msb 64                       ;  msbs: dst=1 src0=0 src1=0 src2=0
	v_pk_fma_f16 v1 /*v257*/, v28, v33, v29
	s_wait_loadcnt 0x10
	s_set_vgpr_msb 4                        ;  msbs: dst=0 src0=0 src1=1 src2=0
	v_lshrrev_b32_e32 v29, v252, v16 /*v272*/
	v_pk_fma_f16 v34, v28, v4 /*v260*/, v34
	s_set_vgpr_msb 0                        ;  msbs: dst=0 src0=0 src1=0 src2=0
	v_bitop3_b16 v23, v23, v255, 0x1f00 bitop3:0xec
	v_and_b32_e32 v28, 0xffff, v35
	v_pk_fma_f16 v33, v32, v33, v37
	s_set_vgpr_msb 4                        ;  msbs: dst=0 src0=0 src1=1 src2=0
	v_pk_fma_f16 v30, v32, v4 /*v260*/, v30
	s_set_vgpr_msb 0                        ;  msbs: dst=0 src0=0 src1=0 src2=0
	v_lshlrev_b32_e32 v29, 12, v29
	v_add_nc_u16 v35, 0xf000, v23
	s_set_vgpr_msb 4                        ;  msbs: dst=0 src0=0 src1=1 src2=0
	v_lshrrev_b32_e32 v23, v247, v16 /*v272*/
	s_set_vgpr_msb 0                        ;  msbs: dst=0 src0=0 src1=0 src2=0
	v_lshrrev_b32_e32 v22, 16, v22
	v_mul_u32_u24_e32 v32, 0x10001, v28
	s_set_vgpr_msb 64                       ;  msbs: dst=1 src0=0 src1=0 src2=0
	v_and_b32_e32 v4 /*v260*/, 0x1000, v29
	s_set_vgpr_msb 0x44                     ;  msbs: dst=1 src0=0 src1=1 src2=0
	v_mul_u32_u24_e32 v5 /*v261*/, 0x10001, v28 /*v284*/
	s_set_vgpr_msb 0                        ;  msbs: dst=0 src0=0 src1=0 src2=0
	v_lshlrev_b32_e32 v23, 4, v23
	v_lshlrev_b16 v28, 8, v22
	v_and_b32_e32 v22, 0x1f00, v22
	v_add_nc_u64_e32 v[150:151], s[22:23], v[150:151]
	v_add_nc_u64_e32 v[152:153], s[22:23], v[152:153]
	s_set_vgpr_msb 64                       ;  msbs: dst=1 src0=0 src1=0 src2=0
	v_and_b32_e32 v3 /*v259*/, 16, v23
	s_set_vgpr_msb 0                        ;  msbs: dst=0 src0=0 src1=0 src2=0
	v_add_nc_u16 v37, 0xf000, v28
	s_wait_loadcnt 0xf
	s_set_vgpr_msb 4                        ;  msbs: dst=0 src0=0 src1=1 src2=0
	v_ashrrev_i32_e32 v28, v251, v0 /*v256*/
	s_set_vgpr_msb 0                        ;  msbs: dst=0 src0=0 src1=0 src2=0
	v_add_nc_u16 v255, 0xf000, v22
	v_add_nc_u64_e32 v[22:23], s[4:5], v[148:149]
	s_set_vgpr_msb 64                       ;  msbs: dst=1 src0=0 src1=0 src2=0
	v_lshrrev_b32_e32 v0 /*v256*/, 8, v35
	s_set_vgpr_msb 0                        ;  msbs: dst=0 src0=0 src1=0 src2=0
	v_bfe_i32 v35, v35, 0, 8
	s_set_vgpr_msb 64                       ;  msbs: dst=1 src0=0 src1=0 src2=0
	v_and_b32_e32 v2 /*v258*/, 0xf0f0f0f, v28
	s_set_vgpr_msb 0                        ;  msbs: dst=0 src0=0 src1=0 src2=0
	v_add_nc_u64_e32 v[28:29], s[4:5], v[146:147]
	v_ashrrev_i16 v37, 8, v37
	s_set_vgpr_msb 0x41                     ;  msbs: dst=1 src0=1 src1=0 src2=0
	v_bfe_i32 v0 /*v256*/, v0 /*v256*/, 0, 8
	s_set_vgpr_msb 0                        ;  msbs: dst=0 src0=0 src1=0 src2=0
	v_add_nc_u64_e32 v[146:147], s[22:23], v[146:147]
	s_set_vgpr_msb 0x55                     ;  msbs: dst=1 src0=1 src1=1 src2=1
	v_or3_b32 v3 /*v259*/, v3 /*v259*/, v2 /*v258*/, v4 /*v260*/
	s_set_vgpr_msb 64                       ;  msbs: dst=1 src0=0 src1=0 src2=0
	global_load_b32 v4 /*v260*/, v[22:23], off offset:2
	global_load_u16 v8 /*v264*/, v[20:21], off
	s_wait_xcnt 0x0
	s_set_vgpr_msb 4                        ;  msbs: dst=0 src0=0 src1=1 src2=0
	v_dual_lshrrev_b32 v20, v253, v16 /*v272*/ :: v_dual_lshrrev_b32 v21, v254, v16 /*v272*/
	s_set_vgpr_msb 64                       ;  msbs: dst=1 src0=0 src1=0 src2=0
	global_load_b32 v9 /*v265*/, v[28:29], off
	s_wait_xcnt 0x0
	s_set_vgpr_msb 4                        ;  msbs: dst=0 src0=0 src1=1 src2=0
	v_lshlrev_b16 v29, 8, v3 /*v259*/
	v_cvt_f16_i16_e32 v28, v35
	s_set_vgpr_msb 1                        ;  msbs: dst=0 src0=1 src1=0 src2=0
	v_dual_lshlrev_b32 v20, 20, v20 :: v_dual_lshlrev_b32 v21, 28, v21
	v_lshrrev_b32_e32 v35, 8, v255
	v_add_nc_u16 v29, 0xf000, v29
	v_cvt_f16_i16_e64 v255, v0 /*v256*/
	s_delay_alu instid0(VALU_DEP_4)
	v_and_b32_e32 v20, 0x100000, v20
	v_and_b32_e32 v21, 0x10000000, v21
	s_set_vgpr_msb 0                        ;  msbs: dst=0 src0=0 src1=0 src2=0
	v_bfe_i32 v35, v35, 0, 8
	v_lshrrev_b16 v29, 8, v29
	v_cvt_f16_i16_e32 v37, v37
	v_pack_b32_f16 v28, v28, v255
	s_set_vgpr_msb 1                        ;  msbs: dst=0 src0=1 src1=0 src2=0
	v_or3_b32 v20, v2 /*v258*/, v20, v21
	s_set_vgpr_msb 0                        ;  msbs: dst=0 src0=0 src1=0 src2=0
	v_cvt_f16_i16_e32 v21, v35
	s_set_vgpr_msb 1                        ;  msbs: dst=0 src0=1 src1=0 src2=0
	v_bitop3_b16 v29, v3 /*v259*/, v29, 0x1f00 bitop3:0xec
	s_set_vgpr_msb 0x44                     ;  msbs: dst=1 src0=0 src1=1 src2=0
	v_mul_u32_u24_e32 v0 /*v256*/, 0x10001, v24 /*v280*/
	s_set_vgpr_msb 4                        ;  msbs: dst=0 src0=0 src1=1 src2=0
	v_pk_mul_f16 v28, v28, v5 /*v261*/
	s_set_vgpr_msb 64                       ;  msbs: dst=1 src0=0 src1=0 src2=0
	v_lshrrev_b32_e32 v16 /*v272*/, 16, v25
	s_set_vgpr_msb 16                       ;  msbs: dst=0 src0=0 src1=0 src2=1
	v_pack_b32_f16 v21, v37, v21
	v_add_nc_u16 v29, 0xf000, v29
	v_lshrrev_b32_e32 v20, 16, v20
	v_pk_fma_f16 v37, v28, v32, v1 /*v257*/
	s_set_vgpr_msb 0                        ;  msbs: dst=0 src0=0 src1=0 src2=0
	v_pk_fma_f16 v28, v28, v31, v34
	s_set_vgpr_msb 4                        ;  msbs: dst=0 src0=0 src1=1 src2=0
	v_pk_mul_f16 v21, v21, v5 /*v261*/
	s_set_vgpr_msb 0                        ;  msbs: dst=0 src0=0 src1=0 src2=0
	v_lshrrev_b32_e32 v255, 8, v29
	v_and_b32_e32 v35, 0x1f00, v20
	v_lshlrev_b16 v20, 8, v20
	v_bfe_i32 v29, v29, 0, 8
	v_add_nc_u64_e32 v[148:149], s[22:23], v[148:149]
	v_bfe_i32 v34, v255, 0, 8
	v_add_nc_u16 v35, 0xf000, v35
	v_add_nc_u16 v20, 0xf000, v20
	v_pk_fma_f16 v255, v21, v32, v33
	v_cvt_f16_i16_e32 v29, v29
	v_cvt_f16_i16_e32 v32, v34
	v_lshrrev_b32_e32 v35, 8, v35
	v_ashrrev_i16 v20, 8, v20
	v_pk_fma_f16 v34, v21, v31, v30
	s_wait_loadcnt 0x11
	s_set_vgpr_msb 4                        ;  msbs: dst=0 src0=0 src1=1 src2=0
	v_mul_u32_u24_e32 v30, 0x10001, v22 /*v278*/
	s_set_vgpr_msb 0                        ;  msbs: dst=0 src0=0 src1=0 src2=0
	v_pack_b32_f16 v21, v29, v32
	v_bfe_i32 v33, v35, 0, 8
	v_cvt_f16_i16_e32 v29, v20
	s_set_vgpr_msb 4                        ;  msbs: dst=0 src0=0 src1=1 src2=0
	v_mul_u32_u24_e32 v35, 0x10001, v15 /*v271*/
	s_set_vgpr_msb 64                       ;  msbs: dst=1 src0=0 src1=0 src2=0
	v_lshrrev_b32_e32 v15 /*v271*/, 16, v24
	v_pk_mul_f16 v1 /*v257*/, v21, v30
	s_set_vgpr_msb 0                        ;  msbs: dst=0 src0=0 src1=0 src2=0
	v_cvt_f16_i16_e32 v31, v33
	v_add_nc_u64_e32 v[32:33], s[4:5], v[144:145]
	v_add_nc_u64_e32 v[20:21], s[4:5], v[142:143]
	s_set_vgpr_msb 64                       ;  msbs: dst=1 src0=0 src1=0 src2=0
	global_load_u16 v2 /*v258*/, v[22:23], off
	global_load_b32 v3 /*v259*/, v[32:33], off offset:2
	s_wait_loadcnt 0x12
	s_wait_xcnt 0x1
	s_set_vgpr_msb 4                        ;  msbs: dst=0 src0=0 src1=1 src2=0
	v_dual_lshrrev_b32 v22, v247, v20 /*v276*/ :: v_dual_lshrrev_b32 v23, v252, v20 /*v276*/
	s_set_vgpr_msb 0                        ;  msbs: dst=0 src0=0 src1=0 src2=0
	v_pack_b32_f16 v29, v29, v31
	s_set_vgpr_msb 64                       ;  msbs: dst=1 src0=0 src1=0 src2=0
	global_load_b32 v12 /*v268*/, v[20:21], off
	s_wait_loadcnt 0x12
	s_wait_xcnt 0x0
	s_set_vgpr_msb 4                        ;  msbs: dst=0 src0=0 src1=1 src2=0
	v_ashrrev_i32_e32 v20, v251, v29 /*v285*/
	s_set_vgpr_msb 0                        ;  msbs: dst=0 src0=0 src1=0 src2=0
	v_dual_lshlrev_b32 v21, 4, v22 :: v_dual_lshlrev_b32 v22, 12, v23
	s_set_vgpr_msb 64                       ;  msbs: dst=1 src0=0 src1=0 src2=0
	v_pk_mul_f16 v5 /*v261*/, v29, v30
	s_set_vgpr_msb 1                        ;  msbs: dst=0 src0=1 src1=0 src2=0
	v_pk_fma_f16 v37, v1 /*v257*/, v35, v37
	s_set_vgpr_msb 0x45                     ;  msbs: dst=1 src0=1 src1=1 src2=0
	v_pk_fma_f16 v14 /*v270*/, v1 /*v257*/, v0 /*v256*/, v28
	s_set_vgpr_msb 0                        ;  msbs: dst=0 src0=0 src1=0 src2=0
	v_and_b32_e32 v20, 0xf0f0f0f, v20
	v_and_b32_e32 v21, 16, v21
	;; [unrolled: 1-line block ×3, first 2 shown]
	ds_load_b128 v[28:31], v246 offset:288
	s_set_vgpr_msb 0x44                     ;  msbs: dst=1 src0=0 src1=1 src2=0
	v_lshrrev_b32_e32 v1 /*v257*/, v254, v20 /*v276*/
	s_set_vgpr_msb 4                        ;  msbs: dst=0 src0=0 src1=1 src2=0
	v_lshrrev_b32_e32 v23, v253, v20 /*v276*/
	s_set_vgpr_msb 1                        ;  msbs: dst=0 src0=1 src1=0 src2=0
	v_pk_fma_f16 v255, v5 /*v261*/, v35, v255
	s_set_vgpr_msb 0                        ;  msbs: dst=0 src0=0 src1=0 src2=0
	v_or3_b32 v35, v21, v20, v22
	s_set_vgpr_msb 0x45                     ;  msbs: dst=1 src0=1 src1=1 src2=0
	v_pk_fma_f16 v5 /*v261*/, v5 /*v261*/, v0 /*v256*/, v34
	s_set_vgpr_msb 4                        ;  msbs: dst=0 src0=0 src1=1 src2=0
	v_lshlrev_b32_e32 v22, 28, v1 /*v257*/
	s_set_vgpr_msb 0                        ;  msbs: dst=0 src0=0 src1=0 src2=0
	v_lshlrev_b32_e32 v21, 20, v23
	s_set_vgpr_msb 64                       ;  msbs: dst=1 src0=0 src1=0 src2=0
	global_load_u16 v36 /*v292*/, v[32:33], off
	s_set_vgpr_msb 0                        ;  msbs: dst=0 src0=0 src1=0 src2=0
	v_lshlrev_b16 v23, 8, v35
	v_and_b32_e32 v24, 0xffff, v24
	v_and_b32_e32 v22, 0x10000000, v22
	;; [unrolled: 1-line block ×3, first 2 shown]
	s_set_vgpr_msb 64                       ;  msbs: dst=1 src0=0 src1=0 src2=0
	v_lshrrev_b32_e32 v20 /*v276*/, 16, v27
	s_set_vgpr_msb 0                        ;  msbs: dst=0 src0=0 src1=0 src2=0
	v_add_nc_u16 v23, 0xf000, v23
	v_mul_u32_u24_e32 v24, 0x10001, v24
	s_wait_loadcnt 0x11
	s_set_vgpr_msb 0x44                     ;  msbs: dst=1 src0=0 src1=1 src2=0
	v_lshrrev_b32_e32 v35 /*v291*/, v252, v31 /*v287*/
	s_set_vgpr_msb 0                        ;  msbs: dst=0 src0=0 src1=0 src2=0
	v_or3_b32 v34, v20, v21, v22
	v_and_b32_e32 v27, 0xffff, v27
	s_set_vgpr_msb 64                       ;  msbs: dst=1 src0=0 src1=0 src2=0
	v_lshrrev_b16 v0 /*v256*/, 8, v23
	s_set_vgpr_msb 0                        ;  msbs: dst=0 src0=0 src1=0 src2=0
	ds_load_b128 v[20:23], v246 offset:304
	s_wait_dscnt 0x1
	s_set_vgpr_msb 64                       ;  msbs: dst=1 src0=0 src1=0 src2=0
	v_dual_lshrrev_b32 v21 /*v277*/, 16, v28 :: v_dual_lshrrev_b32 v1 /*v257*/, 16, v34
	s_wait_loadcnt 0x10
	s_set_vgpr_msb 0x44                     ;  msbs: dst=1 src0=0 src1=1 src2=0
	v_ashrrev_i32_e32 v26 /*v282*/, v251, v26 /*v282*/
	v_bitop3_b16 v23 /*v279*/, v35, v0 /*v256*/, 0x1f00 bitop3:0xec
	v_lshlrev_b32_e32 v35 /*v291*/, 12, v35 /*v291*/
	s_set_vgpr_msb 0                        ;  msbs: dst=0 src0=0 src1=0 src2=0
	v_add_nc_u64_e32 v[34:35], s[4:5], v[140:141]
	s_set_vgpr_msb 0x44                     ;  msbs: dst=1 src0=0 src1=1 src2=0
	v_lshlrev_b16 v28 /*v284*/, 8, v1 /*v257*/
	v_and_b32_e32 v29 /*v285*/, 0x1f00, v1 /*v257*/
	s_set_vgpr_msb 64                       ;  msbs: dst=1 src0=0 src1=0 src2=0
	v_add_nc_u64_e32 v[0:1] /*v[256:257]*/, s[4:5], v[138:139]
	s_set_vgpr_msb 0x44                     ;  msbs: dst=1 src0=0 src1=1 src2=0
	v_add_nc_u16 v23 /*v279*/, 0xf000, v23 /*v279*/
	s_wait_xcnt 0x0
	s_set_vgpr_msb 4                        ;  msbs: dst=0 src0=0 src1=1 src2=0
	v_and_b32_e32 v32, 0xf0f0f0f, v26 /*v282*/
	s_set_vgpr_msb 0x44                     ;  msbs: dst=1 src0=0 src1=1 src2=0
	v_and_b32_e32 v26 /*v282*/, 0x1000, v35 /*v291*/
	v_add_nc_u16 v29 /*v285*/, 0xf000, v29 /*v285*/
	v_add_nc_u16 v28 /*v284*/, 0xf000, v28 /*v284*/
	v_lshrrev_b32_e32 v34 /*v290*/, 8, v23 /*v279*/
	s_set_vgpr_msb 0x41                     ;  msbs: dst=1 src0=1 src1=0 src2=0
	global_load_b32 v0 /*v256*/, v[0:1] /*v[256:257]*/, off
	s_wait_xcnt 0x0
	s_set_vgpr_msb 0x44                     ;  msbs: dst=1 src0=0 src1=1 src2=0
	v_mul_u32_u24_e32 v1 /*v257*/, 0x10001, v30 /*v286*/
	v_lshrrev_b32_e32 v30 /*v286*/, v247, v31 /*v287*/
	s_set_vgpr_msb 0x41                     ;  msbs: dst=1 src0=1 src1=0 src2=0
	v_bfe_i32 v23 /*v279*/, v23 /*v279*/, 0, 8
	v_bfe_i32 v34 /*v290*/, v34 /*v290*/, 0, 8
	s_set_vgpr_msb 0x44                     ;  msbs: dst=1 src0=0 src1=1 src2=0
	v_lshrrev_b32_e32 v29 /*v285*/, 8, v29 /*v285*/
	s_set_vgpr_msb 0                        ;  msbs: dst=0 src0=0 src1=0 src2=0
	v_and_b32_e32 v28, 0xffff, v28
	s_set_vgpr_msb 0x44                     ;  msbs: dst=1 src0=0 src1=1 src2=0
	v_lshlrev_b32_e32 v30 /*v286*/, 4, v30 /*v286*/
	s_set_vgpr_msb 0x41                     ;  msbs: dst=1 src0=1 src1=0 src2=0
	v_cvt_f16_i16_e64 v23 /*v279*/, v23 /*v279*/
	s_set_vgpr_msb 0x44                     ;  msbs: dst=1 src0=0 src1=1 src2=0
	global_load_b32 v33 /*v289*/, v[34:35], off offset:2
	v_mul_u32_u24_e32 v21 /*v277*/, 0x10001, v21 /*v277*/
	s_set_vgpr_msb 0                        ;  msbs: dst=0 src0=0 src1=0 src2=0
	v_mul_u32_u24_e32 v28, 0x10001, v28
	s_set_vgpr_msb 4                        ;  msbs: dst=0 src0=0 src1=1 src2=0
	v_and_b32_e32 v33, 16, v30 /*v286*/
	s_set_vgpr_msb 0x41                     ;  msbs: dst=1 src0=1 src1=0 src2=0
	v_cvt_f16_i16_e64 v30 /*v286*/, v34 /*v290*/
	s_set_vgpr_msb 0x44                     ;  msbs: dst=1 src0=0 src1=1 src2=0
	v_dual_lshrrev_b32 v34 /*v290*/, v253, v31 /*v287*/ :: v_dual_lshrrev_b32 v31 /*v287*/, v254, v31 /*v287*/
	s_set_vgpr_msb 64                       ;  msbs: dst=1 src0=0 src1=0 src2=0
	v_dual_lshrrev_b32 v22 /*v278*/, 16, v29 :: v_dual_lshrrev_b32 v24 /*v280*/, 16, v30
	s_set_vgpr_msb 16                       ;  msbs: dst=0 src0=0 src1=0 src2=1
	v_or3_b32 v33, v33, v32, v26 /*v282*/
	s_set_vgpr_msb 0x44                     ;  msbs: dst=1 src0=0 src1=1 src2=0
	v_ashrrev_i16 v26 /*v282*/, 8, v28 /*v284*/
	s_set_vgpr_msb 0x41                     ;  msbs: dst=1 src0=1 src1=0 src2=0
	v_bfe_i32 v28 /*v284*/, v29 /*v285*/, 0, 8
	s_set_vgpr_msb 0x45                     ;  msbs: dst=1 src0=1 src1=1 src2=0
	v_lshlrev_b32_e32 v29 /*v285*/, 20, v34 /*v290*/
	v_pack_b32_f16 v23 /*v279*/, v23 /*v279*/, v30 /*v286*/
	s_set_vgpr_msb 64                       ;  msbs: dst=1 src0=0 src1=0 src2=0
	v_lshlrev_b16 v34 /*v290*/, 8, v33
	s_set_vgpr_msb 0x44                     ;  msbs: dst=1 src0=0 src1=1 src2=0
	v_lshlrev_b32_e32 v31 /*v287*/, 28, v31 /*v287*/
	s_set_vgpr_msb 0x45                     ;  msbs: dst=1 src0=1 src1=1 src2=0
	v_cvt_f16_i16_e64 v26 /*v282*/, v26 /*v282*/
	v_cvt_f16_i16_e64 v28 /*v284*/, v28 /*v284*/
	v_pk_mul_f16 v23 /*v279*/, v23 /*v279*/, v1 /*v257*/
	v_add_nc_u16 v34 /*v290*/, 0xf000, v34 /*v290*/
	v_and_b32_e32 v29 /*v285*/, 0x100000, v29 /*v285*/
	s_set_vgpr_msb 0                        ;  msbs: dst=0 src0=0 src1=0 src2=0
	v_and_b32_e32 v29, 0xffff, v29
	s_set_vgpr_msb 0x45                     ;  msbs: dst=1 src0=1 src1=1 src2=0
	v_pack_b32_f16 v26 /*v282*/, v26 /*v282*/, v28 /*v284*/
	s_set_vgpr_msb 1                        ;  msbs: dst=0 src0=1 src1=0 src2=0
	v_pk_fma_f16 v37, v23 /*v279*/, v24, v37
	s_set_vgpr_msb 0x44                     ;  msbs: dst=1 src0=0 src1=1 src2=0
	v_lshrrev_b16 v28 /*v284*/, 8, v34 /*v290*/
	s_set_vgpr_msb 0x51                     ;  msbs: dst=1 src0=1 src1=0 src2=1
	v_pk_fma_f16 v14 /*v270*/, v23 /*v279*/, v28, v14 /*v270*/
	s_wait_loadcnt 0x11
	s_set_vgpr_msb 0x44                     ;  msbs: dst=1 src0=0 src1=1 src2=0
	v_lshrrev_b32_e32 v23 /*v279*/, v252, v25 /*v281*/
	v_and_b32_e32 v31 /*v287*/, 0x10000000, v31 /*v287*/
	s_set_vgpr_msb 0x45                     ;  msbs: dst=1 src0=1 src1=1 src2=0
	v_pk_mul_f16 v1 /*v257*/, v26 /*v282*/, v1 /*v257*/
	s_set_vgpr_msb 4                        ;  msbs: dst=0 src0=0 src1=1 src2=0
	v_bitop3_b16 v33, v33, v28 /*v284*/, 0x1f00 bitop3:0xec
	s_set_vgpr_msb 0                        ;  msbs: dst=0 src0=0 src1=0 src2=0
	v_mul_u32_u24_e32 v29, 0x10001, v29
	s_set_vgpr_msb 0x44                     ;  msbs: dst=1 src0=0 src1=1 src2=0
	v_lshlrev_b32_e32 v23 /*v279*/, 12, v23 /*v279*/
	s_set_vgpr_msb 20                       ;  msbs: dst=0 src0=0 src1=1 src2=1
	v_or3_b32 v32, v32, v29 /*v285*/, v31 /*v287*/
	s_set_vgpr_msb 1                        ;  msbs: dst=0 src0=1 src1=0 src2=0
	v_pk_fma_f16 v24, v1 /*v257*/, v24, v255
	v_add_nc_u16 v33, 0xf000, v33
	s_set_vgpr_msb 64                       ;  msbs: dst=1 src0=0 src1=0 src2=0
	v_lshrrev_b32_e32 v32 /*v288*/, 16, v31
	s_set_vgpr_msb 17                       ;  msbs: dst=0 src0=1 src1=0 src2=1
	v_pk_fma_f16 v28, v1 /*v257*/, v28, v5 /*v261*/
	v_lshrrev_b32_e32 v32, 16, v32
	s_set_vgpr_msb 0x44                     ;  msbs: dst=1 src0=0 src1=1 src2=0
	v_mul_u32_u24_e32 v1 /*v257*/, 0x10001, v15 /*v271*/
	s_set_vgpr_msb 64                       ;  msbs: dst=1 src0=0 src1=0 src2=0
	v_lshrrev_b32_e32 v5 /*v261*/, 8, v33
	s_set_vgpr_msb 0                        ;  msbs: dst=0 src0=0 src1=0 src2=0
	v_bfe_i32 v33, v33, 0, 8
	s_set_vgpr_msb 64                       ;  msbs: dst=1 src0=0 src1=0 src2=0
	global_load_u16 v29 /*v285*/, v[34:35], off
	s_set_vgpr_msb 0                        ;  msbs: dst=0 src0=0 src1=0 src2=0
	v_lshlrev_b16 v255, 8, v32
	v_and_b32_e32 v32, 0x1f00, v32
	s_set_vgpr_msb 0x41                     ;  msbs: dst=1 src0=1 src1=0 src2=0
	v_bfe_i32 v5 /*v261*/, v5 /*v261*/, 0, 8
	s_wait_xcnt 0x0
	s_set_vgpr_msb 0                        ;  msbs: dst=0 src0=0 src1=0 src2=0
	v_add_nc_u64_e32 v[34:35], s[4:5], v[134:135]
	s_set_vgpr_msb 64                       ;  msbs: dst=1 src0=0 src1=0 src2=0
	v_cvt_f16_i16_e64 v26 /*v282*/, v33
	s_set_vgpr_msb 0                        ;  msbs: dst=0 src0=0 src1=0 src2=0
	v_add_nc_u16 v255, 0xf000, v255
	s_set_vgpr_msb 64                       ;  msbs: dst=1 src0=0 src1=0 src2=0
	v_add_nc_u16 v15 /*v271*/, 0xf000, v32
	s_set_vgpr_msb 4                        ;  msbs: dst=0 src0=0 src1=1 src2=0
	v_lshrrev_b32_e32 v32, v247, v25 /*v281*/
	s_set_vgpr_msb 0x41                     ;  msbs: dst=1 src0=1 src1=0 src2=0
	v_cvt_f16_i16_e64 v5 /*v261*/, v5 /*v261*/
	s_wait_loadcnt 0x10
	s_set_vgpr_msb 0x44                     ;  msbs: dst=1 src0=0 src1=1 src2=0
	v_mul_u32_u24_e32 v11 /*v267*/, 0x10001, v11 /*v267*/
	s_set_vgpr_msb 0                        ;  msbs: dst=0 src0=0 src1=0 src2=0
	v_and_b32_e32 v30, 0xffff, v30
	s_set_vgpr_msb 0x44                     ;  msbs: dst=1 src0=0 src1=1 src2=0
	v_lshrrev_b32_e32 v15 /*v271*/, 8, v15 /*v271*/
	s_set_vgpr_msb 64                       ;  msbs: dst=1 src0=0 src1=0 src2=0
	v_lshlrev_b32_e32 v28 /*v284*/, 4, v32
	s_set_vgpr_msb 0x44                     ;  msbs: dst=1 src0=0 src1=1 src2=0
	v_ashrrev_i32_e32 v27 /*v283*/, v251, v27 /*v283*/
	s_set_vgpr_msb 0x45                     ;  msbs: dst=1 src0=1 src1=1 src2=0
	v_pack_b32_f16 v5 /*v261*/, v26 /*v282*/, v5 /*v261*/
	s_set_vgpr_msb 64                       ;  msbs: dst=1 src0=0 src1=0 src2=0
	global_load_b32 v26 /*v282*/, v[34:35], off
	s_wait_xcnt 0x0
	s_set_vgpr_msb 0                        ;  msbs: dst=0 src0=0 src1=0 src2=0
	v_ashrrev_i16 v34, 8, v255
	s_set_vgpr_msb 0x44                     ;  msbs: dst=1 src0=0 src1=1 src2=0
	v_and_b32_e32 v28 /*v284*/, 16, v28 /*v284*/
	v_and_b32_e32 v27 /*v283*/, 0xf0f0f0f, v27 /*v283*/
	s_set_vgpr_msb 1                        ;  msbs: dst=0 src0=1 src1=0 src2=0
	v_bfe_i32 v255, v15 /*v271*/, 0, 8
	s_set_vgpr_msb 0x44                     ;  msbs: dst=1 src0=0 src1=1 src2=0
	v_lshrrev_b32_e32 v15 /*v271*/, v253, v25 /*v281*/
	v_and_b32_e32 v23 /*v279*/, 0x1000, v23 /*v279*/
	v_lshrrev_b32_e32 v25 /*v281*/, v254, v25 /*v281*/
	s_set_vgpr_msb 0                        ;  msbs: dst=0 src0=0 src1=0 src2=0
	v_cvt_f16_i16_e32 v34, v34
	v_cvt_f16_i16_e64 v255, v255
	s_set_vgpr_msb 0x55                     ;  msbs: dst=1 src0=1 src1=1 src2=1
	v_lshlrev_b32_e32 v15 /*v271*/, 20, v15 /*v271*/
	v_or3_b32 v23 /*v279*/, v28 /*v284*/, v27 /*v283*/, v23 /*v279*/
	v_lshlrev_b32_e32 v25 /*v281*/, 28, v25 /*v281*/
	s_set_vgpr_msb 0                        ;  msbs: dst=0 src0=0 src1=0 src2=0
	v_add_nc_u64_e32 v[32:33], s[4:5], v[136:137]
	v_pack_b32_f16 v34, v34, v255
	s_set_vgpr_msb 4                        ;  msbs: dst=0 src0=0 src1=1 src2=0
	v_and_b32_e32 v255, 0x100000, v15 /*v271*/
	v_lshlrev_b16 v35, 8, v23 /*v279*/
	s_set_vgpr_msb 0x45                     ;  msbs: dst=1 src0=1 src1=1 src2=0
	v_and_b32_e32 v15 /*v271*/, 0x10000000, v25 /*v281*/
	v_pk_mul_f16 v5 /*v261*/, v5 /*v261*/, v11 /*v267*/
	s_set_vgpr_msb 4                        ;  msbs: dst=0 src0=0 src1=1 src2=0
	v_pk_mul_f16 v34, v34, v11 /*v267*/
	s_set_vgpr_msb 64                       ;  msbs: dst=1 src0=0 src1=0 src2=0
	s_clause 0x1
	global_load_b32 v30 /*v286*/, v[32:33], off offset:2
	global_load_u16 v28 /*v284*/, v[32:33], off
	s_set_vgpr_msb 17                       ;  msbs: dst=0 src0=1 src1=0 src2=1
	v_add_nc_u16 v35, 0xf000, v35
	v_or3_b32 v255, v27 /*v283*/, v255, v15 /*v271*/
	s_set_vgpr_msb 5                        ;  msbs: dst=0 src0=1 src1=1 src2=0
	v_pk_fma_f16 v37, v5 /*v261*/, v1 /*v257*/, v37
	s_set_vgpr_msb 0x44                     ;  msbs: dst=1 src0=0 src1=1 src2=0
	v_pk_fma_f16 v1 /*v257*/, v34, v1 /*v257*/, v24
	s_set_vgpr_msb 0                        ;  msbs: dst=0 src0=0 src1=0 src2=0
	v_and_b32_e32 v24, 0xffff, v25
	v_lshrrev_b16 v35, 8, v35
	v_lshrrev_b32_e32 v25, 16, v255
	s_set_vgpr_msb 0x55                     ;  msbs: dst=1 src0=1 src1=1 src2=1
	v_pk_fma_f16 v5 /*v261*/, v5 /*v261*/, v21 /*v277*/, v14 /*v270*/
	s_set_vgpr_msb 4                        ;  msbs: dst=0 src0=0 src1=1 src2=0
	v_pk_fma_f16 v28, v34, v21 /*v277*/, v28
	s_set_vgpr_msb 1                        ;  msbs: dst=0 src0=1 src1=0 src2=0
	v_mul_u32_u24_e32 v255, 0x10001, v24
	v_bitop3_b16 v35, v23 /*v279*/, v35, 0x1f00 bitop3:0xec
	s_set_vgpr_msb 64                       ;  msbs: dst=1 src0=0 src1=0 src2=0
	v_and_b32_e32 v14 /*v270*/, 0x1f00, v25
	s_wait_loadcnt 0x11
	s_set_vgpr_msb 0x44                     ;  msbs: dst=1 src0=0 src1=1 src2=0
	v_dual_ashrrev_i32 v18 /*v274*/, v251, v18 /*v274*/ :: v_dual_lshrrev_b32 v21 /*v277*/, v252, v13 /*v269*/
	s_set_vgpr_msb 0                        ;  msbs: dst=0 src0=0 src1=0 src2=0
	v_mul_u32_u24_e32 v30, 0x10001, v30
	v_add_nc_u16 v35, 0xf000, v35
	s_wait_xcnt 0x0
	s_set_vgpr_msb 4                        ;  msbs: dst=0 src0=0 src1=1 src2=0
	v_add_nc_u16 v33, 0xf000, v14 /*v270*/
	s_set_vgpr_msb 0x44                     ;  msbs: dst=1 src0=0 src1=1 src2=0
	v_and_b32_e32 v18 /*v274*/, 0xf0f0f0f, v18 /*v274*/
	s_set_vgpr_msb 0                        ;  msbs: dst=0 src0=0 src1=0 src2=0
	v_add_nc_u64_e32 v[134:135], s[22:23], v[134:135]
	v_add_nc_u64_e32 v[136:137], s[22:23], v[136:137]
	v_dual_lshrrev_b32 v34, 8, v35 :: v_dual_lshrrev_b32 v33, 8, v33
	s_set_vgpr_msb 64                       ;  msbs: dst=1 src0=0 src1=0 src2=0
	v_lshlrev_b16 v11 /*v267*/, 8, v25
	s_set_vgpr_msb 0                        ;  msbs: dst=0 src0=0 src1=0 src2=0
	v_add_nc_u64_e32 v[24:25], s[4:5], v[132:133]
	v_bfe_i32 v35, v35, 0, 8
	v_bfe_i32 v34, v34, 0, 8
	;; [unrolled: 1-line block ×3, first 2 shown]
	v_add_nc_u64_e32 v[132:133], s[22:23], v[132:133]
	v_add_nc_u64_e32 v[138:139], s[22:23], v[138:139]
	s_set_vgpr_msb 64                       ;  msbs: dst=1 src0=0 src1=0 src2=0
	v_cvt_f16_i16_e64 v15 /*v271*/, v35
	global_load_b32 v27 /*v283*/, v[24:25], off offset:2
	s_set_vgpr_msb 4                        ;  msbs: dst=0 src0=0 src1=1 src2=0
	v_lshrrev_b32_e32 v35, v247, v13 /*v269*/
	s_set_vgpr_msb 64                       ;  msbs: dst=1 src0=0 src1=0 src2=0
	v_cvt_f16_i16_e64 v23 /*v279*/, v34
	s_set_vgpr_msb 0                        ;  msbs: dst=0 src0=0 src1=0 src2=0
	v_cvt_f16_i16_e32 v33, v33
	v_add_nc_u64_e32 v[140:141], s[22:23], v[140:141]
	v_add_nc_u64_e32 v[142:143], s[22:23], v[142:143]
	s_set_vgpr_msb 64                       ;  msbs: dst=1 src0=0 src1=0 src2=0
	v_lshlrev_b32_e32 v25 /*v281*/, 4, v35
	s_set_vgpr_msb 0x45                     ;  msbs: dst=1 src0=1 src1=1 src2=0
	v_pack_b32_f16 v14 /*v270*/, v15 /*v271*/, v23 /*v279*/
	s_set_vgpr_msb 0x44                     ;  msbs: dst=1 src0=0 src1=1 src2=0
	v_dual_lshrrev_b32 v15 /*v271*/, v253, v13 /*v269*/ :: v_dual_lshrrev_b32 v13 /*v269*/, v254, v13 /*v269*/
	v_lshlrev_b32_e32 v21 /*v277*/, 12, v21 /*v277*/
	v_and_b32_e32 v25 /*v281*/, 16, v25 /*v281*/
	s_set_vgpr_msb 0                        ;  msbs: dst=0 src0=0 src1=0 src2=0
	v_add_nc_u64_e32 v[34:35], s[4:5], v[130:131]
	s_set_vgpr_msb 0x44                     ;  msbs: dst=1 src0=0 src1=1 src2=0
	v_dual_lshlrev_b32 v15 /*v271*/, 20, v15 /*v271*/ :: v_dual_lshlrev_b32 v13 /*v269*/, 28, v13 /*v269*/
	s_set_vgpr_msb 4                        ;  msbs: dst=0 src0=0 src1=1 src2=0
	v_and_b32_e32 v32, 0x1000, v21 /*v277*/
	s_wait_loadcnt 0x10
	s_set_vgpr_msb 0x44                     ;  msbs: dst=1 src0=0 src1=1 src2=0
	v_mul_u32_u24_e32 v6 /*v262*/, 0x10001, v6 /*v262*/
	s_set_vgpr_msb 0                        ;  msbs: dst=0 src0=0 src1=0 src2=0
	v_add_nc_u64_e32 v[130:131], s[22:23], v[130:131]
	s_set_vgpr_msb 0x44                     ;  msbs: dst=1 src0=0 src1=1 src2=0
	v_and_b32_e32 v15 /*v271*/, 0x100000, v15 /*v271*/
	s_set_vgpr_msb 0                        ;  msbs: dst=0 src0=0 src1=0 src2=0
	global_load_b32 v34, v[34:35], off
	s_set_vgpr_msb 5                        ;  msbs: dst=0 src0=1 src1=1 src2=0
	v_or3_b32 v32, v25 /*v281*/, v18 /*v274*/, v32
	s_wait_xcnt 0x0
	v_add_nc_u16 v35, 0xf000, v11 /*v267*/
	s_set_vgpr_msb 0x44                     ;  msbs: dst=1 src0=0 src1=1 src2=0
	v_mul_u32_u24_e32 v11 /*v267*/, 0x10001, v17 /*v273*/
	s_set_vgpr_msb 0                        ;  msbs: dst=0 src0=0 src1=0 src2=0
	v_add_nc_u64_e32 v[144:145], s[22:23], v[144:145]
	s_set_vgpr_msb 64                       ;  msbs: dst=1 src0=0 src1=0 src2=0
	v_lshlrev_b16 v17 /*v273*/, 8, v32
	s_set_vgpr_msb 0                        ;  msbs: dst=0 src0=0 src1=0 src2=0
	v_ashrrev_i16 v35, 8, v35
	s_wait_loadcnt 0x10
	s_set_vgpr_msb 0x44                     ;  msbs: dst=1 src0=0 src1=1 src2=0
	v_ashrrev_i32_e32 v10 /*v266*/, v251, v10 /*v266*/
	v_and_b32_e32 v13 /*v269*/, 0x10000000, v13 /*v269*/
	v_add_nc_u16 v17 /*v273*/, 0xf000, v17 /*v273*/
	s_set_vgpr_msb 0                        ;  msbs: dst=0 src0=0 src1=0 src2=0
	v_cvt_f16_i16_e32 v35, v35
	s_set_vgpr_msb 0x55                     ;  msbs: dst=1 src0=1 src1=1 src2=1
	v_and_b32_e32 v10 /*v266*/, 0xf0f0f0f, v10 /*v266*/
	v_or3_b32 v13 /*v269*/, v18 /*v274*/, v15 /*v271*/, v13 /*v269*/
	v_lshrrev_b16 v17 /*v273*/, 8, v17 /*v273*/
	s_set_vgpr_msb 0                        ;  msbs: dst=0 src0=0 src1=0 src2=0
	v_pack_b32_f16 v33, v35, v33
	s_set_vgpr_msb 5                        ;  msbs: dst=0 src0=1 src1=1 src2=0
	v_pk_mul_f16 v35, v14 /*v270*/, v11 /*v267*/
	s_set_vgpr_msb 4                        ;  msbs: dst=0 src0=0 src1=1 src2=0
	v_bitop3_b16 v32, v32, v17 /*v273*/, 0x1f00 bitop3:0xec
	v_pk_mul_f16 v33, v33, v11 /*v267*/
	s_set_vgpr_msb 0x44                     ;  msbs: dst=1 src0=0 src1=1 src2=0
	v_lshrrev_b32_e32 v11 /*v267*/, 16, v13 /*v269*/
	s_set_vgpr_msb 0                        ;  msbs: dst=0 src0=0 src1=0 src2=0
	v_pk_fma_f16 v37, v35, v255, v37
	s_set_vgpr_msb 16                       ;  msbs: dst=0 src0=0 src1=0 src2=1
	v_pk_fma_f16 v35, v35, v29, v5 /*v261*/
	v_add_nc_u16 v32, 0xf000, v32
	v_pk_fma_f16 v255, v33, v255, v1 /*v257*/
	s_set_vgpr_msb 64                       ;  msbs: dst=1 src0=0 src1=0 src2=0
	v_pk_fma_f16 v1 /*v257*/, v33, v29, v28
	s_set_vgpr_msb 4                        ;  msbs: dst=0 src0=0 src1=1 src2=0
	v_lshlrev_b16 v28, 8, v11 /*v267*/
	v_and_b32_e32 v33, 0x1f00, v11 /*v267*/
	s_set_vgpr_msb 0                        ;  msbs: dst=0 src0=0 src1=0 src2=0
	v_lshrrev_b32_e32 v29, 8, v32
	v_bfe_i32 v32, v32, 0, 8
	s_set_vgpr_msb 0x44                     ;  msbs: dst=1 src0=0 src1=1 src2=0
	v_mul_u32_u24_e32 v5 /*v261*/, 0x10001, v16 /*v272*/
	s_set_vgpr_msb 64                       ;  msbs: dst=1 src0=0 src1=0 src2=0
	v_add_nc_u16 v13 /*v269*/, 0xf000, v28
	v_add_nc_u16 v15 /*v271*/, 0xf000, v33
	v_bfe_i32 v14 /*v270*/, v29, 0, 8
	s_set_vgpr_msb 0                        ;  msbs: dst=0 src0=0 src1=0 src2=0
	v_add_nc_u64_e32 v[28:29], s[4:5], v[128:129]
	s_set_vgpr_msb 64                       ;  msbs: dst=1 src0=0 src1=0 src2=0
	v_cvt_f16_i16_e64 v16 /*v272*/, v32
	s_set_vgpr_msb 0                        ;  msbs: dst=0 src0=0 src1=0 src2=0
	v_add_nc_u64_e32 v[32:33], s[4:5], v[126:127]
	s_wait_loadcnt 0xf
	s_set_vgpr_msb 0x44                     ;  msbs: dst=1 src0=0 src1=1 src2=0
	v_lshrrev_b32_e32 v17 /*v273*/, v247, v7 /*v263*/
	global_load_u16 v18 /*v274*/, v[24:25], off
	global_load_b32 v21 /*v277*/, v[28:29], off offset:2
	s_wait_xcnt 0x1
	s_set_vgpr_msb 4                        ;  msbs: dst=0 src0=0 src1=1 src2=0
	v_lshrrev_b32_e32 v24, v252, v7 /*v263*/
	v_lshrrev_b32_e32 v25, 8, v15 /*v271*/
	s_set_vgpr_msb 64                       ;  msbs: dst=1 src0=0 src1=0 src2=0
	global_load_b32 v15 /*v271*/, v[32:33], off
	s_wait_xcnt 0x0
	s_set_vgpr_msb 4                        ;  msbs: dst=0 src0=0 src1=1 src2=0
	v_lshlrev_b32_e32 v32, 4, v17 /*v273*/
	v_ashrrev_i16 v33, 8, v13 /*v269*/
	s_set_vgpr_msb 0                        ;  msbs: dst=0 src0=0 src1=0 src2=0
	v_lshlrev_b32_e32 v24, 12, v24
	v_bfe_i32 v25, v25, 0, 8
	s_set_vgpr_msb 0x41                     ;  msbs: dst=1 src0=1 src1=0 src2=0
	v_cvt_f16_i16_e64 v14 /*v270*/, v14 /*v270*/
	s_set_vgpr_msb 0                        ;  msbs: dst=0 src0=0 src1=0 src2=0
	v_and_b32_e32 v32, 16, v32
	v_cvt_f16_i16_e32 v33, v33
	v_and_b32_e32 v24, 0x1000, v24
	v_cvt_f16_i16_e32 v25, v25
	s_set_vgpr_msb 0x44                     ;  msbs: dst=1 src0=0 src1=1 src2=0
	v_dual_lshrrev_b32 v13 /*v269*/, v253, v7 /*v263*/ :: v_dual_lshrrev_b32 v7 /*v263*/, v254, v7 /*v263*/
	v_mul_u32_u24_e32 v11 /*v267*/, 0x10001, v22 /*v278*/
	s_set_vgpr_msb 4                        ;  msbs: dst=0 src0=0 src1=1 src2=0
	v_or3_b32 v32, v32, v10 /*v266*/, v24
	s_set_vgpr_msb 5                        ;  msbs: dst=0 src0=1 src1=1 src2=0
	v_pack_b32_f16 v24, v16 /*v272*/, v14 /*v270*/
	s_set_vgpr_msb 0                        ;  msbs: dst=0 src0=0 src1=0 src2=0
	v_pack_b32_f16 v25, v33, v25
	s_set_vgpr_msb 4                        ;  msbs: dst=0 src0=0 src1=1 src2=0
	v_lshlrev_b32_e32 v33, 20, v13 /*v269*/
	s_set_vgpr_msb 0x44                     ;  msbs: dst=1 src0=0 src1=1 src2=0
	v_lshlrev_b32_e32 v7 /*v263*/, 28, v7 /*v263*/
	s_set_vgpr_msb 64                       ;  msbs: dst=1 src0=0 src1=0 src2=0
	v_lshlrev_b16 v13 /*v269*/, 8, v32
	s_set_vgpr_msb 4                        ;  msbs: dst=0 src0=0 src1=1 src2=0
	v_pk_mul_f16 v24, v24, v6 /*v262*/
	s_set_vgpr_msb 0x44                     ;  msbs: dst=1 src0=0 src1=1 src2=0
	v_pk_mul_f16 v6 /*v262*/, v25, v6 /*v262*/
	s_set_vgpr_msb 0                        ;  msbs: dst=0 src0=0 src1=0 src2=0
	v_and_b32_e32 v25, 0x100000, v33
	s_set_vgpr_msb 4                        ;  msbs: dst=0 src0=0 src1=1 src2=0
	v_and_b32_e32 v33, 0x10000000, v7 /*v263*/
	s_set_vgpr_msb 0x44                     ;  msbs: dst=1 src0=0 src1=1 src2=0
	v_add_nc_u16 v7 /*v263*/, 0xf000, v13 /*v269*/
	s_set_vgpr_msb 4                        ;  msbs: dst=0 src0=0 src1=1 src2=0
	v_pk_fma_f16 v37, v24, v5 /*v261*/, v37
	v_pk_fma_f16 v35, v24, v11 /*v267*/, v35
	s_set_vgpr_msb 5                        ;  msbs: dst=0 src0=1 src1=1 src2=0
	v_pk_fma_f16 v255, v6 /*v262*/, v5 /*v261*/, v255
	s_set_vgpr_msb 1                        ;  msbs: dst=0 src0=1 src1=0 src2=0
	v_or3_b32 v33, v10 /*v266*/, v25, v33
	v_add_nc_u64_e32 v[24:25], s[4:5], v[124:125]
	s_set_vgpr_msb 0x55                     ;  msbs: dst=1 src0=1 src1=1 src2=1
	v_lshrrev_b16 v5 /*v261*/, 8, v7 /*v263*/
	v_pk_fma_f16 v1 /*v257*/, v6 /*v262*/, v11 /*v267*/, v1 /*v257*/
	s_wait_loadcnt 0x11
	s_set_vgpr_msb 0x44                     ;  msbs: dst=1 src0=0 src1=1 src2=0
	v_lshrrev_b32_e32 v13 /*v269*/, v252, v4 /*v260*/
	s_set_vgpr_msb 64                       ;  msbs: dst=1 src0=0 src1=0 src2=0
	v_lshrrev_b32_e32 v6 /*v262*/, 16, v33
	global_load_u16 v14 /*v270*/, v[28:29], off
	s_set_vgpr_msb 0x44                     ;  msbs: dst=1 src0=0 src1=1 src2=0
	v_bitop3_b16 v5 /*v261*/, v32, v5 /*v261*/, 0x1f00 bitop3:0xec
	global_load_b32 v7 /*v263*/, v[24:25], off offset:2
	s_set_vgpr_msb 0                        ;  msbs: dst=0 src0=0 src1=0 src2=0
	v_add_nc_u64_e32 v[32:33], s[4:5], v[122:123]
	s_set_vgpr_msb 0x44                     ;  msbs: dst=1 src0=0 src1=1 src2=0
	v_lshlrev_b16 v10 /*v266*/, 8, v6 /*v262*/
	v_and_b32_e32 v6 /*v262*/, 0x1f00, v6 /*v262*/
	v_add_nc_u16 v5 /*v261*/, 0xf000, v5 /*v261*/
	s_wait_xcnt 0x1
	s_set_vgpr_msb 4                        ;  msbs: dst=0 src0=0 src1=1 src2=0
	v_lshlrev_b32_e32 v28, 12, v13 /*v269*/
	s_wait_loadcnt 0x12
	s_set_vgpr_msb 0x44                     ;  msbs: dst=1 src0=0 src1=1 src2=0
	v_mul_u32_u24_e32 v8 /*v264*/, 0x10001, v8 /*v264*/
	s_set_vgpr_msb 0                        ;  msbs: dst=0 src0=0 src1=0 src2=0
	v_add_nc_u64_e32 v[122:123], s[22:23], v[122:123]
	s_set_vgpr_msb 64                       ;  msbs: dst=1 src0=0 src1=0 src2=0
	global_load_b32 v11 /*v267*/, v[32:33], off
	s_wait_xcnt 0x0
	s_set_vgpr_msb 4                        ;  msbs: dst=0 src0=0 src1=1 src2=0
	v_add_nc_u16 v32, 0xf000, v10 /*v266*/
	s_set_vgpr_msb 0x44                     ;  msbs: dst=1 src0=0 src1=1 src2=0
	v_lshrrev_b32_e32 v10 /*v266*/, v247, v4 /*v260*/
	v_add_nc_u16 v6 /*v262*/, 0xf000, v6 /*v262*/
	s_wait_loadcnt 0x12
	v_ashrrev_i32_e32 v9 /*v265*/, v251, v9 /*v265*/
	s_set_vgpr_msb 4                        ;  msbs: dst=0 src0=0 src1=1 src2=0
	v_lshrrev_b32_e32 v33, 8, v5 /*v261*/
	s_set_vgpr_msb 1                        ;  msbs: dst=0 src0=1 src1=0 src2=0
	v_bfe_i32 v29, v5 /*v261*/, 0, 8
	s_set_vgpr_msb 0x44                     ;  msbs: dst=1 src0=0 src1=1 src2=0
	v_lshlrev_b32_e32 v10 /*v266*/, 4, v10 /*v266*/
	v_lshrrev_b32_e32 v5 /*v261*/, 8, v6 /*v262*/
	v_and_b32_e32 v6 /*v262*/, 0xf0f0f0f, v9 /*v265*/
	s_set_vgpr_msb 0                        ;  msbs: dst=0 src0=0 src1=0 src2=0
	v_and_b32_e32 v28, 0x1000, v28
	v_bfe_i32 v33, v33, 0, 8
	s_set_vgpr_msb 0x44                     ;  msbs: dst=1 src0=0 src1=1 src2=0
	v_and_b32_e32 v9 /*v265*/, 16, v10 /*v266*/
	s_set_vgpr_msb 0                        ;  msbs: dst=0 src0=0 src1=0 src2=0
	v_ashrrev_i16 v32, 8, v32
	v_cvt_f16_i16_e32 v29, v29
	v_add_nc_u64_e32 v[124:125], s[22:23], v[124:125]
	v_cvt_f16_i16_e32 v33, v33
	s_set_vgpr_msb 5                        ;  msbs: dst=0 src0=1 src1=1 src2=0
	v_or3_b32 v28, v9 /*v265*/, v6 /*v262*/, v28
	s_set_vgpr_msb 0x44                     ;  msbs: dst=1 src0=0 src1=1 src2=0
	v_lshrrev_b32_e32 v9 /*v265*/, v253, v4 /*v260*/
	s_set_vgpr_msb 0x41                     ;  msbs: dst=1 src0=1 src1=0 src2=0
	v_bfe_i32 v5 /*v261*/, v5 /*v261*/, 0, 8
	s_set_vgpr_msb 0                        ;  msbs: dst=0 src0=0 src1=0 src2=0
	v_cvt_f16_i16_e32 v32, v32
	v_pack_b32_f16 v29, v29, v33
	s_set_vgpr_msb 64                       ;  msbs: dst=1 src0=0 src1=0 src2=0
	v_lshlrev_b16 v10 /*v266*/, 8, v28
	s_set_vgpr_msb 0x44                     ;  msbs: dst=1 src0=0 src1=1 src2=0
	v_lshrrev_b32_e32 v4 /*v260*/, v254, v4 /*v260*/
	s_set_vgpr_msb 0x41                     ;  msbs: dst=1 src0=1 src1=0 src2=0
	v_cvt_f16_i16_e64 v5 /*v261*/, v5 /*v261*/
	s_set_vgpr_msb 4                        ;  msbs: dst=0 src0=0 src1=1 src2=0
	v_lshlrev_b32_e32 v33, 20, v9 /*v265*/
	v_pk_mul_f16 v29, v29, v8 /*v264*/
	s_set_vgpr_msb 0                        ;  msbs: dst=0 src0=0 src1=0 src2=0
	v_add_nc_u64_e32 v[126:127], s[22:23], v[126:127]
	s_set_vgpr_msb 0x44                     ;  msbs: dst=1 src0=0 src1=1 src2=0
	v_lshlrev_b32_e32 v4 /*v260*/, 28, v4 /*v260*/
	s_set_vgpr_msb 4                        ;  msbs: dst=0 src0=0 src1=1 src2=0
	v_pack_b32_f16 v32, v32, v5 /*v261*/
	s_set_vgpr_msb 0x44                     ;  msbs: dst=1 src0=0 src1=1 src2=0
	v_add_nc_u16 v5 /*v261*/, 0xf000, v10 /*v266*/
	s_set_vgpr_msb 0                        ;  msbs: dst=0 src0=0 src1=0 src2=0
	v_pk_fma_f16 v37, v29, v26, v37
	v_pk_fma_f16 v35, v29, v30, v35
	v_and_b32_e32 v33, 0x100000, v33
	s_set_vgpr_msb 4                        ;  msbs: dst=0 src0=0 src1=1 src2=0
	v_pk_mul_f16 v32, v32, v8 /*v264*/
	s_set_vgpr_msb 0x44                     ;  msbs: dst=1 src0=0 src1=1 src2=0
	v_lshrrev_b16 v5 /*v261*/, 8, v5 /*v261*/
	v_and_b32_e32 v4 /*v260*/, 0x10000000, v4 /*v260*/
	s_set_vgpr_msb 0                        ;  msbs: dst=0 src0=0 src1=0 src2=0
	v_add_nc_u64_e32 v[128:129], s[22:23], v[128:129]
	v_pk_fma_f16 v26, v32, v26, v255
	s_set_vgpr_msb 4                        ;  msbs: dst=0 src0=0 src1=1 src2=0
	v_bitop3_b16 v255, v28, v5 /*v261*/, 0x1f00 bitop3:0xec
	s_set_vgpr_msb 17                       ;  msbs: dst=0 src0=1 src1=0 src2=1
	v_add_nc_u64_e32 v[28:29], s[4:5], v[120:121]
	v_or3_b32 v33, v6 /*v262*/, v33, v4 /*v260*/
	s_set_vgpr_msb 16                       ;  msbs: dst=0 src0=0 src1=0 src2=1
	v_pk_fma_f16 v30, v32, v30, v1 /*v257*/
	s_set_vgpr_msb 0x44                     ;  msbs: dst=1 src0=0 src1=1 src2=0
	v_mul_u32_u24_e32 v4 /*v260*/, 0x10001, v19 /*v275*/
	s_set_vgpr_msb 0                        ;  msbs: dst=0 src0=0 src1=0 src2=0
	v_add_nc_u16 v255, 0xf000, v255
	s_set_vgpr_msb 0x44                     ;  msbs: dst=1 src0=0 src1=1 src2=0
	v_mul_u32_u24_e32 v5 /*v261*/, 0x10001, v24 /*v280*/
	s_set_vgpr_msb 64                       ;  msbs: dst=1 src0=0 src1=0 src2=0
	v_lshrrev_b32_e32 v1 /*v257*/, 16, v33
	global_load_b32 v8 /*v264*/, v[28:29], off offset:2
	s_set_vgpr_msb 0                        ;  msbs: dst=0 src0=0 src1=0 src2=0
	v_add_nc_u64_e32 v[32:33], s[4:5], v[118:119]
	s_set_vgpr_msb 0x44                     ;  msbs: dst=1 src0=0 src1=1 src2=0
	global_load_u16 v10 /*v266*/, v[24:25], off
	global_load_b32 v13 /*v269*/, v[32:33], off
	v_lshlrev_b16 v6 /*v262*/, 8, v1 /*v257*/
	v_and_b32_e32 v1 /*v257*/, 0x1f00, v1 /*v257*/
	s_set_vgpr_msb 64                       ;  msbs: dst=1 src0=0 src1=0 src2=0
	v_lshrrev_b32_e32 v9 /*v265*/, 8, v255
	s_wait_xcnt 0x0
	s_set_vgpr_msb 4                        ;  msbs: dst=0 src0=0 src1=1 src2=0
	v_bfe_i32 v32, v255, 0, 8
	s_wait_loadcnt 0x14
	v_mul_u32_u24_e32 v255, 0x10001, v2 /*v258*/
	s_wait_loadcnt 0x13
	s_set_vgpr_msb 0x44                     ;  msbs: dst=1 src0=0 src1=1 src2=0
	v_lshrrev_b32_e32 v2 /*v258*/, v252, v3 /*v259*/
	s_set_vgpr_msb 4                        ;  msbs: dst=0 src0=0 src1=1 src2=0
	v_add_nc_u16 v25, 0xf000, v1 /*v257*/
	s_set_vgpr_msb 0x44                     ;  msbs: dst=1 src0=0 src1=1 src2=0
	v_lshrrev_b32_e32 v1 /*v257*/, v247, v3 /*v259*/
	s_set_vgpr_msb 4                        ;  msbs: dst=0 src0=0 src1=1 src2=0
	v_add_nc_u16 v24, 0xf000, v6 /*v262*/
	s_wait_loadcnt 0x12
	s_set_vgpr_msb 0x44                     ;  msbs: dst=1 src0=0 src1=1 src2=0
	v_dual_ashrrev_i32 v6 /*v262*/, v251, v12 /*v268*/ :: v_dual_lshlrev_b32 v2 /*v258*/, 12, v2 /*v258*/
	s_set_vgpr_msb 1                        ;  msbs: dst=0 src0=1 src1=0 src2=0
	v_bfe_i32 v33, v9 /*v265*/, 0, 8
	s_set_vgpr_msb 0x44                     ;  msbs: dst=1 src0=0 src1=1 src2=0
	v_lshlrev_b32_e32 v1 /*v257*/, 4, v1 /*v257*/
	s_set_vgpr_msb 0                        ;  msbs: dst=0 src0=0 src1=0 src2=0
	v_lshrrev_b32_e32 v25, 8, v25
	s_set_vgpr_msb 0x44                     ;  msbs: dst=1 src0=0 src1=1 src2=0
	v_and_b32_e32 v6 /*v262*/, 0xf0f0f0f, v6 /*v262*/
	v_and_b32_e32 v2 /*v258*/, 0x1000, v2 /*v258*/
	s_set_vgpr_msb 0                        ;  msbs: dst=0 src0=0 src1=0 src2=0
	v_cvt_f16_i16_e32 v32, v32
	s_set_vgpr_msb 0x44                     ;  msbs: dst=1 src0=0 src1=1 src2=0
	v_dual_lshrrev_b32 v9 /*v265*/, v253, v3 /*v259*/ :: v_dual_bitop2_b32 v1 /*v257*/, 16, v1 /*v257*/ bitop3:0x40
	s_set_vgpr_msb 0                        ;  msbs: dst=0 src0=0 src1=0 src2=0
	v_cvt_f16_i16_e32 v33, v33
	v_ashrrev_i16 v24, 8, v24
	v_bfe_i32 v25, v25, 0, 8
	s_set_vgpr_msb 0x44                     ;  msbs: dst=1 src0=0 src1=1 src2=0
	v_lshrrev_b32_e32 v3 /*v259*/, v254, v3 /*v259*/
	s_set_vgpr_msb 0x55                     ;  msbs: dst=1 src0=1 src1=1 src2=1
	v_or3_b32 v1 /*v257*/, v1 /*v257*/, v6 /*v262*/, v2 /*v258*/
	s_set_vgpr_msb 0                        ;  msbs: dst=0 src0=0 src1=0 src2=0
	v_pack_b32_f16 v32, v32, v33
	v_cvt_f16_i16_e32 v24, v24
	v_cvt_f16_i16_e32 v25, v25
	s_set_vgpr_msb 4                        ;  msbs: dst=0 src0=0 src1=1 src2=0
	v_lshlrev_b32_e32 v33, 20, v9 /*v265*/
	s_set_vgpr_msb 0                        ;  msbs: dst=0 src0=0 src1=0 src2=0
	v_add_nc_u64_e32 v[118:119], s[22:23], v[118:119]
	s_set_vgpr_msb 64                       ;  msbs: dst=1 src0=0 src1=0 src2=0
	v_pk_mul_f16 v9 /*v265*/, v32, v255
	s_set_vgpr_msb 0                        ;  msbs: dst=0 src0=0 src1=0 src2=0
	v_add_nc_u64_e32 v[120:121], s[22:23], v[120:121]
	v_pack_b32_f16 v24, v24, v25
	v_and_b32_e32 v32, 0x100000, v33
	s_set_vgpr_msb 5                        ;  msbs: dst=0 src0=1 src1=1 src2=0
	v_pk_fma_f16 v37, v9 /*v265*/, v4 /*v260*/, v37
	v_pk_fma_f16 v35, v9 /*v265*/, v5 /*v261*/, v35
	s_set_vgpr_msb 0                        ;  msbs: dst=0 src0=0 src1=0 src2=0
	v_pk_mul_f16 v255, v24, v255
	v_add_nc_u64_e32 v[24:25], s[4:5], v[116:117]
	s_wait_loadcnt 0x10
	s_set_vgpr_msb 0x44                     ;  msbs: dst=1 src0=0 src1=1 src2=0
	v_dual_ashrrev_i32 v0 /*v256*/, v251, v0 /*v256*/ :: v_dual_lshlrev_b32 v2 /*v258*/, 28, v3 /*v259*/
	v_lshlrev_b16 v3 /*v259*/, 8, v1 /*v257*/
	s_set_vgpr_msb 4                        ;  msbs: dst=0 src0=0 src1=1 src2=0
	v_pk_fma_f16 v30, v255, v5 /*v261*/, v30
	s_set_vgpr_msb 0                        ;  msbs: dst=0 src0=0 src1=0 src2=0
	v_add_nc_u64_e32 v[116:117], s[22:23], v[116:117]
	s_set_vgpr_msb 0x44                     ;  msbs: dst=1 src0=0 src1=1 src2=0
	v_and_b32_e32 v0 /*v256*/, 0xf0f0f0f, v0 /*v256*/
	s_set_vgpr_msb 4                        ;  msbs: dst=0 src0=0 src1=1 src2=0
	v_and_b32_e32 v33, 0x10000000, v2 /*v258*/
	s_set_vgpr_msb 0x44                     ;  msbs: dst=1 src0=0 src1=1 src2=0
	v_add_nc_u16 v2 /*v258*/, 0xf000, v3 /*v259*/
	s_set_vgpr_msb 0x41                     ;  msbs: dst=1 src0=1 src1=0 src2=0
	s_delay_alu instid0(VALU_DEP_2) | instskip(SKIP_1) | instid1(VALU_DEP_2)
	v_or3_b32 v3 /*v259*/, v6 /*v262*/, v32, v33
	s_set_vgpr_msb 0x44                     ;  msbs: dst=1 src0=0 src1=1 src2=0
	v_lshrrev_b16 v2 /*v258*/, 8, v2 /*v258*/
	s_set_vgpr_msb 0                        ;  msbs: dst=0 src0=0 src1=0 src2=0
	v_add_nc_u64_e32 v[32:33], s[4:5], v[114:115]
	s_set_vgpr_msb 64                       ;  msbs: dst=1 src0=0 src1=0 src2=0
	global_load_b32 v6 /*v262*/, v[24:25], off offset:2
	s_set_vgpr_msb 0                        ;  msbs: dst=0 src0=0 src1=0 src2=0
	v_add_nc_u64_e32 v[114:115], s[22:23], v[114:115]
	s_set_vgpr_msb 0x45                     ;  msbs: dst=1 src0=1 src1=1 src2=0
	v_lshrrev_b32_e32 v3 /*v259*/, 16, v3 /*v259*/
	v_bitop3_b16 v1 /*v257*/, v1 /*v257*/, v2 /*v258*/, 0x1f00 bitop3:0xec
	s_set_vgpr_msb 64                       ;  msbs: dst=1 src0=0 src1=0 src2=0
	global_load_u16 v2 /*v258*/, v[28:29], off
	global_load_b32 v9 /*v265*/, v[32:33], off
	s_wait_xcnt 0x0
	s_set_vgpr_msb 4                        ;  msbs: dst=0 src0=0 src1=1 src2=0
	v_pk_fma_f16 v32, v255, v4 /*v260*/, v26
	s_set_vgpr_msb 0                        ;  msbs: dst=0 src0=0 src1=0 src2=0
	v_mul_u32_u24_e32 v33, 0x10001, v27
	s_set_vgpr_msb 4                        ;  msbs: dst=0 src0=0 src1=1 src2=0
	v_add_nc_u16 v27, 0xf000, v1 /*v257*/
	s_wait_loadcnt 0x12
	v_dual_lshrrev_b32 v28, v247, v33 /*v289*/ :: v_dual_lshrrev_b32 v29, v252, v33 /*v289*/
	v_and_b32_e32 v255, 0x1f00, v3 /*v259*/
	v_lshlrev_b16 v26, 8, v3 /*v259*/
	s_set_vgpr_msb 64                       ;  msbs: dst=1 src0=0 src1=0 src2=0
	v_lshrrev_b32_e32 v1 /*v257*/, 8, v27
	s_set_vgpr_msb 0x44                     ;  msbs: dst=1 src0=0 src1=1 src2=0
	v_lshrrev_b32_e32 v4 /*v260*/, v254, v33 /*v289*/
	s_set_vgpr_msb 0                        ;  msbs: dst=0 src0=0 src1=0 src2=0
	v_lshlrev_b32_e32 v29, 12, v29
	v_add_nc_u16 v255, 0xf000, v255
	v_lshlrev_b32_e32 v28, 4, v28
	s_set_vgpr_msb 0x41                     ;  msbs: dst=1 src0=1 src1=0 src2=0
	v_bfe_i32 v1 /*v257*/, v1 /*v257*/, 0, 8
	s_set_vgpr_msb 0                        ;  msbs: dst=0 src0=0 src1=0 src2=0
	v_add_nc_u16 v26, 0xf000, v26
	v_and_b32_e32 v29, 0x1000, v29
	v_dual_lshrrev_b32 v255, 8, v255 :: v_dual_bitop2_b32 v28, 16, v28 bitop3:0x40
	v_bfe_i32 v27, v27, 0, 8
	s_set_vgpr_msb 0x44                     ;  msbs: dst=1 src0=0 src1=1 src2=0
	v_lshlrev_b32_e32 v4 /*v260*/, 28, v4 /*v260*/
	s_set_vgpr_msb 0                        ;  msbs: dst=0 src0=0 src1=0 src2=0
	v_ashrrev_i16 v26, 8, v26
	v_bfe_i32 v255, v255, 0, 8
	s_set_vgpr_msb 4                        ;  msbs: dst=0 src0=0 src1=1 src2=0
	v_or3_b32 v28, v28, v0 /*v256*/, v29
	s_set_vgpr_msb 1                        ;  msbs: dst=0 src0=1 src1=0 src2=0
	v_cvt_f16_i16_e64 v29, v1 /*v257*/
	s_set_vgpr_msb 0x44                     ;  msbs: dst=1 src0=0 src1=1 src2=0
	v_lshrrev_b32_e32 v1 /*v257*/, v253, v33 /*v289*/
	s_set_vgpr_msb 0                        ;  msbs: dst=0 src0=0 src1=0 src2=0
	v_cvt_f16_i16_e32 v27, v27
	s_set_vgpr_msb 0x44                     ;  msbs: dst=1 src0=0 src1=1 src2=0
	v_and_b32_e32 v4 /*v260*/, 0x10000000, v4 /*v260*/
	s_set_vgpr_msb 64                       ;  msbs: dst=1 src0=0 src1=0 src2=0
	v_lshlrev_b16 v5 /*v261*/, 8, v28
	s_set_vgpr_msb 0                        ;  msbs: dst=0 src0=0 src1=0 src2=0
	v_cvt_f16_i16_e32 v26, v26
	s_set_vgpr_msb 0x44                     ;  msbs: dst=1 src0=0 src1=1 src2=0
	v_lshlrev_b32_e32 v1 /*v257*/, 20, v1 /*v257*/
	s_set_vgpr_msb 0                        ;  msbs: dst=0 src0=0 src1=0 src2=0
	v_cvt_f16_i16_e64 v255, v255
	s_set_vgpr_msb 0x44                     ;  msbs: dst=1 src0=0 src1=1 src2=0
	v_mul_u32_u24_e32 v3 /*v259*/, 0x10001, v36 /*v292*/
	v_add_nc_u16 v5 /*v261*/, 0xf000, v5 /*v261*/
	s_set_vgpr_msb 0                        ;  msbs: dst=0 src0=0 src1=0 src2=0
	v_pack_b32_f16 v27, v27, v29
	s_set_vgpr_msb 0x44                     ;  msbs: dst=1 src0=0 src1=1 src2=0
	v_and_b32_e32 v1 /*v257*/, 0x100000, v1 /*v257*/
	s_set_vgpr_msb 0                        ;  msbs: dst=0 src0=0 src1=0 src2=0
	v_and_b32_e32 v29, 0xffff, v31
	v_pack_b32_f16 v26, v26, v255
	s_set_vgpr_msb 0x44                     ;  msbs: dst=1 src0=0 src1=1 src2=0
	v_lshrrev_b16 v5 /*v261*/, 8, v5 /*v261*/
	s_set_vgpr_msb 4                        ;  msbs: dst=0 src0=0 src1=1 src2=0
	v_pk_mul_f16 v255, v27, v3 /*v259*/
	s_set_vgpr_msb 21                       ;  msbs: dst=0 src0=1 src1=1 src2=1
	v_or3_b32 v31, v0 /*v256*/, v1 /*v257*/, v4 /*v260*/
	s_set_vgpr_msb 64                       ;  msbs: dst=1 src0=0 src1=0 src2=0
	v_mul_u32_u24_e32 v0 /*v256*/, 0x10001, v29
	s_set_vgpr_msb 0x44                     ;  msbs: dst=1 src0=0 src1=1 src2=0
	v_pk_mul_f16 v1 /*v257*/, v26, v3 /*v259*/
	s_set_vgpr_msb 4                        ;  msbs: dst=0 src0=0 src1=1 src2=0
	v_bitop3_b16 v28, v28, v5 /*v261*/, 0x1f00 bitop3:0xec
	s_set_vgpr_msb 0                        ;  msbs: dst=0 src0=0 src1=0 src2=0
	v_add_nc_u64_e32 v[26:27], s[4:5], v[112:113]
	v_lshrrev_b32_e32 v31, 16, v31
	v_pk_fma_f16 v37, v255, v33, v37
	s_set_vgpr_msb 4                        ;  msbs: dst=0 src0=0 src1=1 src2=0
	v_pk_fma_f16 v35, v255, v0 /*v256*/, v35
	s_set_vgpr_msb 64                       ;  msbs: dst=1 src0=0 src1=0 src2=0
	v_add_nc_u16 v3 /*v259*/, 0xf000, v28
	s_set_vgpr_msb 0                        ;  msbs: dst=0 src0=0 src1=0 src2=0
	v_add_nc_u64_e32 v[28:29], s[4:5], v[110:111]
	v_and_b32_e32 v255, 0x1f00, v31
	v_lshlrev_b16 v31, 8, v31
	s_set_vgpr_msb 0x44                     ;  msbs: dst=1 src0=0 src1=1 src2=0
	global_load_u16 v5 /*v261*/, v[24:25], off
	global_load_b32 v12 /*v268*/, v[26:27], off offset:2
	v_lshrrev_b32_e32 v4 /*v260*/, 8, v3 /*v259*/
	s_set_vgpr_msb 1                        ;  msbs: dst=0 src0=1 src1=0 src2=0
	v_pk_fma_f16 v32, v1 /*v257*/, v33, v32
	s_wait_xcnt 0x1
	v_add_nc_u16 v24, 0xf000, v255
	v_bfe_i32 v255, v3 /*v259*/, 0, 8
	s_set_vgpr_msb 64                       ;  msbs: dst=1 src0=0 src1=0 src2=0
	global_load_b32 v3 /*v259*/, v[28:29], off
	s_wait_xcnt 0x0
	s_set_vgpr_msb 0                        ;  msbs: dst=0 src0=0 src1=0 src2=0
	v_add_nc_u16 v28, 0xf000, v31
	s_set_vgpr_msb 5                        ;  msbs: dst=0 src0=1 src1=1 src2=0
	v_pk_fma_f16 v30, v1 /*v257*/, v0 /*v256*/, v30
	s_set_vgpr_msb 0                        ;  msbs: dst=0 src0=0 src1=0 src2=0
	v_lshrrev_b32_e32 v24, 8, v24
	v_cvt_f16_i16_e64 v29, v255
	s_wait_loadcnt 0x14
	s_set_vgpr_msb 4                        ;  msbs: dst=0 src0=0 src1=1 src2=0
	v_mul_u32_u24_e32 v31, 0x10001, v29 /*v285*/
	s_set_vgpr_msb 0                        ;  msbs: dst=0 src0=0 src1=0 src2=0
	v_ashrrev_i16 v28, 8, v28
	s_set_vgpr_msb 4                        ;  msbs: dst=0 src0=0 src1=1 src2=0
	v_mul_u32_u24_e32 v33, 0x10001, v20 /*v276*/
	v_bfe_i32 v24, v24, 0, 8
	v_mul_u32_u24_e32 v255, 0x10001, v32 /*v288*/
	global_load_u16 v26, v[26:27], off
	s_wait_loadcnt 0x13
	s_set_vgpr_msb 0x44                     ;  msbs: dst=1 src0=0 src1=1 src2=0
	v_lshrrev_b32_e32 v1 /*v257*/, v252, v30 /*v286*/
	s_set_vgpr_msb 1                        ;  msbs: dst=0 src0=1 src1=0 src2=0
	v_bfe_i32 v25, v4 /*v260*/, 0, 8
	s_set_vgpr_msb 0                        ;  msbs: dst=0 src0=0 src1=0 src2=0
	v_cvt_f16_i16_e32 v28, v28
	v_cvt_f16_i16_e32 v24, v24
	s_set_vgpr_msb 0x44                     ;  msbs: dst=1 src0=0 src1=1 src2=0
	v_dual_ashrrev_i32 v16 /*v272*/, v251, v26 /*v282*/ :: v_dual_lshlrev_b32 v1 /*v257*/, 12, v1 /*v257*/
	s_set_vgpr_msb 0                        ;  msbs: dst=0 src0=0 src1=0 src2=0
	v_cvt_f16_i16_e32 v25, v25
	s_set_vgpr_msb 0x44                     ;  msbs: dst=1 src0=0 src1=1 src2=0
	v_lshrrev_b32_e32 v19 /*v275*/, v253, v30 /*v286*/
	s_set_vgpr_msb 64                       ;  msbs: dst=1 src0=0 src1=0 src2=0
	v_pack_b32_f16 v4 /*v260*/, v28, v24
	s_wait_loadcnt 0x12
	s_set_vgpr_msb 0x44                     ;  msbs: dst=1 src0=0 src1=1 src2=0
	v_mul_u32_u24_e32 v24 /*v280*/, 0x10001, v28 /*v284*/
	v_and_b32_e32 v1 /*v257*/, 0x1000, v1 /*v257*/
	s_set_vgpr_msb 0                        ;  msbs: dst=0 src0=0 src1=0 src2=0
	v_pack_b32_f16 v25, v29, v25
	s_set_vgpr_msb 4                        ;  msbs: dst=0 src0=0 src1=1 src2=0
	v_lshrrev_b32_e32 v29, v247, v30 /*v286*/
	s_wait_dscnt 0x0
	s_set_vgpr_msb 64                       ;  msbs: dst=1 src0=0 src1=0 src2=0
	v_lshrrev_b32_e32 v20 /*v276*/, 16, v23
	s_set_vgpr_msb 0                        ;  msbs: dst=0 src0=0 src1=0 src2=0
	v_and_b32_e32 v23, 0xffff, v23
	v_add_nc_u64_e32 v[110:111], s[22:23], v[110:111]
	s_set_vgpr_msb 64                       ;  msbs: dst=1 src0=0 src1=0 src2=0
	v_pk_mul_f16 v0 /*v256*/, v25, v31
	v_lshlrev_b32_e32 v17 /*v273*/, 4, v29
	s_set_vgpr_msb 1                        ;  msbs: dst=0 src0=1 src1=0 src2=0
	v_add_nc_u64_e32 v[28:29], s[4:5], v[106:107]
	v_pk_mul_f16 v31, v4 /*v260*/, v31
	s_set_vgpr_msb 0x44                     ;  msbs: dst=1 src0=0 src1=1 src2=0
	v_and_b32_e32 v4 /*v260*/, 0xf0f0f0f, v16 /*v272*/
	s_set_vgpr_msb 1                        ;  msbs: dst=0 src0=1 src1=0 src2=0
	v_pk_fma_f16 v37, v0 /*v256*/, v33, v37
	s_set_vgpr_msb 0x44                     ;  msbs: dst=1 src0=0 src1=1 src2=0
	v_and_b32_e32 v17 /*v273*/, 16, v17 /*v273*/
	s_set_vgpr_msb 1                        ;  msbs: dst=0 src0=1 src1=0 src2=0
	v_pk_fma_f16 v35, v0 /*v256*/, v255, v35
	s_set_vgpr_msb 0                        ;  msbs: dst=0 src0=0 src1=0 src2=0
	v_pk_fma_f16 v32, v31, v33, v32
	global_load_b32 v28, v[28:29], off
	s_wait_xcnt 0x0
	s_set_vgpr_msb 4                        ;  msbs: dst=0 src0=0 src1=1 src2=0
	v_lshrrev_b32_e32 v29, v254, v30 /*v286*/
	s_set_vgpr_msb 0x55                     ;  msbs: dst=1 src0=1 src1=1 src2=1
	v_or3_b32 v0 /*v256*/, v17 /*v273*/, v4 /*v260*/, v1 /*v257*/
	s_set_vgpr_msb 0                        ;  msbs: dst=0 src0=0 src1=0 src2=0
	v_pk_fma_f16 v30, v31, v255, v30
	v_add_nc_u64_e32 v[24:25], s[4:5], v[108:109]
	v_dual_lshrrev_b32 v255, 16, v16 :: v_dual_lshlrev_b32 v29, 28, v29
	s_wait_loadcnt 0x12
	s_set_vgpr_msb 0x44                     ;  msbs: dst=1 src0=0 src1=1 src2=0
	v_dual_lshrrev_b32 v22 /*v278*/, v247, v27 /*v283*/ :: v_dual_lshrrev_b32 v23 /*v279*/, v252, v27 /*v283*/
	v_lshlrev_b32_e32 v1 /*v257*/, 20, v19 /*v275*/
	s_set_vgpr_msb 4                        ;  msbs: dst=0 src0=0 src1=1 src2=0
	v_lshlrev_b16 v31, 8, v0 /*v256*/
	s_set_vgpr_msb 0                        ;  msbs: dst=0 src0=0 src1=0 src2=0
	v_and_b32_e32 v29, 0x10000000, v29
	s_set_vgpr_msb 0x44                     ;  msbs: dst=1 src0=0 src1=1 src2=0
	v_lshlrev_b32_e32 v22 /*v278*/, 4, v22 /*v278*/
	global_load_b32 v16 /*v272*/, v[24:25], off offset:2
	s_set_vgpr_msb 4                        ;  msbs: dst=0 src0=0 src1=1 src2=0
	v_and_b32_e32 v33, 0x100000, v1 /*v257*/
	s_set_vgpr_msb 0                        ;  msbs: dst=0 src0=0 src1=0 src2=0
	v_add_nc_u16 v31, 0xf000, v31
	s_set_vgpr_msb 0x44                     ;  msbs: dst=1 src0=0 src1=1 src2=0
	v_dual_lshlrev_b32 v23 /*v279*/, 12, v23 /*v279*/ :: v_dual_bitop2_b32 v22 /*v278*/, 16, v22 /*v278*/ bitop3:0x40
	v_lshrrev_b32_e32 v26 /*v282*/, v253, v27 /*v283*/
	s_set_vgpr_msb 1                        ;  msbs: dst=0 src0=1 src1=0 src2=0
	v_or3_b32 v29, v4 /*v260*/, v33, v29
	v_lshrrev_b16 v31, 8, v31
	s_set_vgpr_msb 0x44                     ;  msbs: dst=1 src0=0 src1=1 src2=0
	v_and_b32_e32 v23 /*v279*/, 0x1000, v23 /*v279*/
	s_set_vgpr_msb 0                        ;  msbs: dst=0 src0=0 src1=0 src2=0
	global_load_u16 v24, v[24:25], off
	v_and_b32_e32 v16, 0xffff, v16
	v_lshrrev_b32_e32 v29, 16, v29
	s_set_vgpr_msb 1                        ;  msbs: dst=0 src0=1 src1=0 src2=0
	v_bitop3_b16 v31, v0 /*v256*/, v31, 0x1f00 bitop3:0xec
	s_wait_loadcnt 0x13
	s_set_vgpr_msb 0                        ;  msbs: dst=0 src0=0 src1=0 src2=0
	v_ashrrev_i32_e32 v34, v251, v34
	s_set_vgpr_msb 64                       ;  msbs: dst=1 src0=0 src1=0 src2=0
	v_lshrrev_b32_e32 v17 /*v273*/, 16, v20
	s_set_vgpr_msb 0                        ;  msbs: dst=0 src0=0 src1=0 src2=0
	v_and_b32_e32 v20, 0xffff, v20
	v_lshlrev_b16 v27, 8, v29
	v_and_b32_e32 v29, 0x1f00, v29
	v_add_nc_u16 v31, 0xf000, v31
	v_and_b32_e32 v34, 0xf0f0f0f, v34
	v_mul_u32_u24_e32 v16, 0x10001, v16
	v_add_nc_u16 v27, 0xf000, v27
	v_add_nc_u16 v29, 0xf000, v29
	s_set_vgpr_msb 0x51                     ;  msbs: dst=1 src0=1 src1=0 src2=1
	v_lshrrev_b32_e32 v25 /*v281*/, 8, v31
	v_or3_b32 v22 /*v278*/, v22 /*v278*/, v34, v23 /*v279*/
	s_set_vgpr_msb 0x44                     ;  msbs: dst=1 src0=0 src1=1 src2=0
	v_lshrrev_b32_e32 v23 /*v279*/, v254, v27 /*v283*/
	s_set_vgpr_msb 0                        ;  msbs: dst=0 src0=0 src1=0 src2=0
	v_bfe_i32 v31, v31, 0, 8
	v_lshrrev_b32_e32 v29, 8, v29
	s_set_vgpr_msb 0x41                     ;  msbs: dst=1 src0=1 src1=0 src2=0
	v_bfe_i32 v25 /*v281*/, v25 /*v281*/, 0, 8
	s_set_vgpr_msb 0                        ;  msbs: dst=0 src0=0 src1=0 src2=0
	v_ashrrev_i16 v27, 8, v27
	s_set_vgpr_msb 0x44                     ;  msbs: dst=1 src0=0 src1=1 src2=0
	v_dual_lshlrev_b32 v26 /*v282*/, 20, v26 /*v282*/ :: v_dual_lshlrev_b32 v23 /*v279*/, 28, v23 /*v279*/
	s_set_vgpr_msb 0                        ;  msbs: dst=0 src0=0 src1=0 src2=0
	v_bfe_i32 v29, v29, 0, 8
	v_cvt_f16_i16_e32 v31, v31
	s_set_vgpr_msb 0x41                     ;  msbs: dst=1 src0=1 src1=0 src2=0
	v_cvt_f16_i16_e64 v25 /*v281*/, v25 /*v281*/
	s_set_vgpr_msb 0x44                     ;  msbs: dst=1 src0=0 src1=1 src2=0
	v_lshlrev_b16 v27 /*v283*/, 8, v22 /*v278*/
	s_wait_xcnt 0x0
	s_set_vgpr_msb 0                        ;  msbs: dst=0 src0=0 src1=0 src2=0
	v_cvt_f16_i16_e32 v25, v27
	v_cvt_f16_i16_e32 v27, v29
	s_set_vgpr_msb 0x44                     ;  msbs: dst=1 src0=0 src1=1 src2=0
	v_and_b32_e32 v26 /*v282*/, 0x100000, v26 /*v282*/
	v_and_b32_e32 v23 /*v279*/, 0x10000000, v23 /*v279*/
	s_set_vgpr_msb 4                        ;  msbs: dst=0 src0=0 src1=1 src2=0
	v_add_nc_u16 v29, 0xf000, v27 /*v283*/
	v_pack_b32_f16 v31, v31, v25 /*v281*/
	s_set_vgpr_msb 0                        ;  msbs: dst=0 src0=0 src1=0 src2=0
	v_pack_b32_f16 v25, v25, v27
	v_mul_u32_u24_e32 v20, 0x10001, v20
	s_set_vgpr_msb 20                       ;  msbs: dst=0 src0=0 src1=1 src2=1
	v_or3_b32 v27, v34, v26 /*v282*/, v23 /*v279*/
	s_set_vgpr_msb 0                        ;  msbs: dst=0 src0=0 src1=0 src2=0
	v_lshrrev_b16 v29, 8, v29
	s_set_vgpr_msb 4                        ;  msbs: dst=0 src0=0 src1=1 src2=0
	v_pk_mul_f16 v31, v31, v24 /*v280*/
	v_pk_mul_f16 v25, v25, v24 /*v280*/
	s_set_vgpr_msb 1                        ;  msbs: dst=0 src0=1 src1=0 src2=0
	v_dual_lshrrev_b32 v33, 16, v18 :: v_dual_lshrrev_b32 v27, 16, v27
	v_bitop3_b16 v29, v22 /*v278*/, v29, 0x1f00 bitop3:0xec
	s_set_vgpr_msb 0                        ;  msbs: dst=0 src0=0 src1=0 src2=0
	v_pk_fma_f16 v34, v31, v16, v37
	v_pk_fma_f16 v31, v31, v20, v35
	;; [unrolled: 1-line block ×4, first 2 shown]
	v_and_b32_e32 v25, 0x1f00, v27
	v_add_nc_u16 v29, 0xf000, v29
	v_lshlrev_b16 v32, 8, v27
	v_mul_u32_u24_e32 v30, 0x10001, v255
	s_wait_loadcnt 0x11
	s_set_vgpr_msb 4                        ;  msbs: dst=0 src0=0 src1=1 src2=0
	v_dual_lshrrev_b32 v37, v247, v21 /*v277*/ :: v_dual_lshrrev_b32 v255, v252, v21 /*v277*/
	s_set_vgpr_msb 0                        ;  msbs: dst=0 src0=0 src1=0 src2=0
	v_add_nc_u16 v25, 0xf000, v25
	v_lshrrev_b32_e32 v27, 8, v29
	v_add_nc_u16 v32, 0xf000, v32
	s_wait_loadcnt 0x10
	s_set_vgpr_msb 0x44                     ;  msbs: dst=1 src0=0 src1=1 src2=0
	v_ashrrev_i32_e32 v15 /*v271*/, v251, v15 /*v271*/
	s_set_vgpr_msb 0                        ;  msbs: dst=0 src0=0 src1=0 src2=0
	v_lshlrev_b32_e32 v37, 4, v37
	v_dual_lshrrev_b32 v25, 8, v25 :: v_dual_lshlrev_b32 v255, 12, v255
	v_bfe_i32 v29, v29, 0, 8
	v_bfe_i32 v27, v27, 0, 8
	s_set_vgpr_msb 4                        ;  msbs: dst=0 src0=0 src1=1 src2=0
	v_mul_u32_u24_e32 v35, 0x10001, v18 /*v274*/
	s_set_vgpr_msb 0                        ;  msbs: dst=0 src0=0 src1=0 src2=0
	v_ashrrev_i16 v32, 8, v32
	v_and_b32_e32 v37, 16, v37
	s_set_vgpr_msb 0x44                     ;  msbs: dst=1 src0=0 src1=1 src2=0
	v_lshrrev_b32_e32 v18 /*v274*/, v253, v21 /*v277*/
	v_and_b32_e32 v15 /*v271*/, 0xf0f0f0f, v15 /*v271*/
	s_set_vgpr_msb 0                        ;  msbs: dst=0 src0=0 src1=0 src2=0
	v_and_b32_e32 v255, 0x1000, v255
	v_bfe_i32 v25, v25, 0, 8
	v_cvt_f16_i16_e32 v29, v29
	v_cvt_f16_i16_e32 v27, v27
	s_set_vgpr_msb 0x44                     ;  msbs: dst=1 src0=0 src1=1 src2=0
	v_dual_lshrrev_b32 v21 /*v277*/, v254, v21 /*v277*/ :: v_dual_lshlrev_b32 v18 /*v274*/, 20, v18 /*v274*/
	s_set_vgpr_msb 4                        ;  msbs: dst=0 src0=0 src1=1 src2=0
	v_cvt_f16_i16_e32 v32, v32
	v_or3_b32 v37, v37, v15 /*v271*/, v255
	v_cvt_f16_i16_e32 v25, v25
	s_set_vgpr_msb 0                        ;  msbs: dst=0 src0=0 src1=0 src2=0
	v_pack_b32_f16 v27, v29, v27
	s_set_vgpr_msb 4                        ;  msbs: dst=0 src0=0 src1=1 src2=0
	v_and_b32_e32 v29, 0x100000, v18 /*v274*/
	v_lshlrev_b32_e32 v255, 28, v21 /*v277*/
	s_set_vgpr_msb 64                       ;  msbs: dst=1 src0=0 src1=0 src2=0
	v_lshlrev_b16 v18 /*v274*/, 8, v37
	s_set_vgpr_msb 0                        ;  msbs: dst=0 src0=0 src1=0 src2=0
	v_pack_b32_f16 v25, v32, v25
	v_pk_mul_f16 v27, v27, v35
	s_set_vgpr_msb 4                        ;  msbs: dst=0 src0=0 src1=1 src2=0
	v_mul_u32_u24_e32 v32, 0x10001, v17 /*v273*/
	s_set_vgpr_msb 64                       ;  msbs: dst=1 src0=0 src1=0 src2=0
	v_dual_lshrrev_b32 v1 /*v257*/, 16, v17 :: v_dual_lshrrev_b32 v4 /*v260*/, 16, v19
	s_set_vgpr_msb 0x44                     ;  msbs: dst=1 src0=0 src1=1 src2=0
	v_add_nc_u16 v17 /*v273*/, 0xf000, v18 /*v274*/
	s_set_vgpr_msb 0                        ;  msbs: dst=0 src0=0 src1=0 src2=0
	v_pk_mul_f16 v25, v25, v35
	v_pk_fma_f16 v34, v27, v30, v34
	v_pk_fma_f16 v27, v27, v32, v31
	v_and_b32_e32 v17, 0xffff, v17
	s_set_vgpr_msb 4                        ;  msbs: dst=0 src0=0 src1=1 src2=0
	v_lshrrev_b16 v31, 8, v17 /*v273*/
	s_set_vgpr_msb 0                        ;  msbs: dst=0 src0=0 src1=0 src2=0
	v_pk_fma_f16 v20, v25, v32, v20
	s_wait_loadcnt 0xe
	s_set_vgpr_msb 4                        ;  msbs: dst=0 src0=0 src1=1 src2=0
	v_lshrrev_b32_e32 v32, v252, v7 /*v263*/
	s_set_vgpr_msb 0                        ;  msbs: dst=0 src0=0 src1=0 src2=0
	v_and_b32_e32 v255, 0x10000000, v255
	v_pk_fma_f16 v16, v25, v30, v16
	v_bitop3_b16 v25, v37, v31, 0x1f00 bitop3:0xec
	s_set_vgpr_msb 4                        ;  msbs: dst=0 src0=0 src1=1 src2=0
	v_lshrrev_b32_e32 v31, v247, v7 /*v263*/
	s_wait_loadcnt 0xd
	v_ashrrev_i32_e32 v35, v251, v11 /*v267*/
	s_set_vgpr_msb 1                        ;  msbs: dst=0 src0=1 src1=0 src2=0
	v_or3_b32 v29, v15 /*v271*/, v29, v255
	v_lshlrev_b32_e32 v32, 12, v32
	v_add_nc_u16 v25, 0xf000, v25
	v_lshlrev_b32_e32 v31, 4, v31
	v_and_b32_e32 v35, 0xf0f0f0f, v35
	v_lshrrev_b32_e32 v29, 16, v29
	v_and_b32_e32 v32, 0x1000, v32
	s_set_vgpr_msb 4                        ;  msbs: dst=0 src0=0 src1=1 src2=0
	v_mul_u32_u24_e32 v255, 0x10001, v14 /*v270*/
	s_set_vgpr_msb 0                        ;  msbs: dst=0 src0=0 src1=0 src2=0
	v_and_b32_e32 v31, 16, v31
	s_set_vgpr_msb 64                       ;  msbs: dst=1 src0=0 src1=0 src2=0
	v_dual_lshrrev_b32 v19 /*v275*/, 16, v21 :: v_dual_lshrrev_b32 v0 /*v256*/, 16, v22
	s_set_vgpr_msb 0                        ;  msbs: dst=0 src0=0 src1=0 src2=0
	v_lshlrev_b16 v30, 8, v29
	v_and_b32_e32 v29, 0x1f00, v29
	v_or3_b32 v31, v31, v35, v32
	v_mul_u32_u24_e32 v17, 0x10001, v17
	v_and_b32_e32 v21, 0xffff, v21
	v_add_nc_u16 v30, 0xf000, v30
	v_add_nc_u16 v29, 0xf000, v29
	s_set_vgpr_msb 64                       ;  msbs: dst=1 src0=0 src1=0 src2=0
	v_lshlrev_b16 v11 /*v267*/, 8, v31
	s_set_vgpr_msb 0                        ;  msbs: dst=0 src0=0 src1=0 src2=0
	v_and_b32_e32 v18, 0xffff, v18
	v_mul_u32_u24_e32 v21, 0x10001, v21
	v_ashrrev_i16 v30, 8, v30
	v_lshrrev_b32_e32 v29, 8, v29
	s_set_vgpr_msb 0x44                     ;  msbs: dst=1 src0=0 src1=1 src2=0
	v_add_nc_u16 v11 /*v267*/, 0xf000, v11 /*v267*/
	s_set_vgpr_msb 0                        ;  msbs: dst=0 src0=0 src1=0 src2=0
	v_and_b32_e32 v22, 0xffff, v22
	v_mul_u32_u24_e32 v18, 0x10001, v18
	v_cvt_f16_i16_e32 v30, v30
	v_bfe_i32 v29, v29, 0, 8
	s_set_vgpr_msb 0x44                     ;  msbs: dst=1 src0=0 src1=1 src2=0
	v_lshrrev_b16 v11 /*v267*/, 8, v11 /*v267*/
	s_set_vgpr_msb 0                        ;  msbs: dst=0 src0=0 src1=0 src2=0
	v_mul_u32_u24_e32 v22, 0x10001, v22
	v_and_b32_e32 v19, 0xffff, v19
	v_mul_u32_u24_e32 v23, 0x10001, v23
	v_cvt_f16_i16_e32 v29, v29
	v_add_nc_u64_e32 v[106:107], s[22:23], v[106:107]
	v_add_nc_u64_e32 v[108:109], s[22:23], v[108:109]
	v_mul_u32_u24_e32 v19, 0x10001, v19
	v_add_nc_u64_e32 v[112:113], s[22:23], v[112:113]
	v_pack_b32_f16 v29, v30, v29
	s_set_vgpr_msb 4                        ;  msbs: dst=0 src0=0 src1=1 src2=0
	v_bitop3_b16 v30, v31, v11 /*v267*/, 0x1f00 bitop3:0xec
	s_set_vgpr_msb 0                        ;  msbs: dst=0 src0=0 src1=0 src2=0
	s_delay_alu instid0(VALU_DEP_2) | instskip(NEXT) | instid1(VALU_DEP_2)
	v_pk_mul_f16 v29, v29, v255
	v_add_nc_u16 v30, 0xf000, v30
	v_lshrrev_b32_e32 v37, 8, v25
	v_bfe_i32 v25, v25, 0, 8
	s_delay_alu instid0(VALU_DEP_4) | instskip(SKIP_1) | instid1(VALU_DEP_4)
	v_pk_fma_f16 v16, v29, v17, v16
	v_pk_fma_f16 v20, v29, v21, v20
	v_bfe_i32 v37, v37, 0, 8
	s_delay_alu instid0(VALU_DEP_4) | instskip(NEXT) | instid1(VALU_DEP_2)
	v_cvt_f16_i16_e32 v25, v25
	v_cvt_f16_i16_e32 v32, v37
	s_set_vgpr_msb 4                        ;  msbs: dst=0 src0=0 src1=1 src2=0
	v_lshrrev_b32_e32 v37, v253, v7 /*v263*/
	s_set_vgpr_msb 0x44                     ;  msbs: dst=1 src0=0 src1=1 src2=0
	v_lshrrev_b32_e32 v7 /*v263*/, v254, v7 /*v263*/
	s_set_vgpr_msb 0                        ;  msbs: dst=0 src0=0 src1=0 src2=0
	v_pack_b32_f16 v25, v25, v32
	s_set_vgpr_msb 0x44                     ;  msbs: dst=1 src0=0 src1=1 src2=0
	s_delay_alu instid0(VALU_DEP_2) | instskip(SKIP_1) | instid1(VALU_DEP_2)
	v_lshlrev_b32_e32 v7 /*v263*/, 28, v7 /*v263*/
	s_set_vgpr_msb 0                        ;  msbs: dst=0 src0=0 src1=0 src2=0
	v_pk_mul_f16 v25, v25, v255
	s_set_vgpr_msb 4                        ;  msbs: dst=0 src0=0 src1=1 src2=0
	v_mul_u32_u24_e32 v255, 0x10001, v1 /*v257*/
	s_set_vgpr_msb 0x44                     ;  msbs: dst=1 src0=0 src1=1 src2=0
	v_and_b32_e32 v7 /*v263*/, 0x10000000, v7 /*v263*/
	s_set_vgpr_msb 0                        ;  msbs: dst=0 src0=0 src1=0 src2=0
	v_pk_fma_f16 v32, v25, v17, v34
	v_lshrrev_b32_e32 v17, 8, v30
	v_bfe_i32 v30, v30, 0, 8
	v_pk_fma_f16 v25, v25, v21, v27
	s_wait_loadcnt 0xb
	s_set_vgpr_msb 4                        ;  msbs: dst=0 src0=0 src1=1 src2=0
	v_mul_u32_u24_e32 v34, 0x10001, v10 /*v266*/
	v_bfe_i32 v17, v17, 0, 8
	v_cvt_f16_i16_e32 v29, v30
	v_lshrrev_b32_e32 v30, v247, v8 /*v264*/
	s_set_vgpr_msb 16                       ;  msbs: dst=0 src0=0 src1=0 src2=1
	v_lshlrev_b32_e32 v37, 20, v37
	v_cvt_f16_i16_e32 v17, v17
	s_delay_alu instid0(VALU_DEP_3) | instskip(NEXT) | instid1(VALU_DEP_3)
	v_lshlrev_b32_e32 v30, 4, v30
	v_and_b32_e32 v37, 0x100000, v37
	s_delay_alu instid0(VALU_DEP_3) | instskip(NEXT) | instid1(VALU_DEP_3)
	v_pack_b32_f16 v17, v29, v17
	v_and_b32_e32 v30, 16, v30
	s_delay_alu instid0(VALU_DEP_3)
	v_or3_b32 v31, v35, v37, v7 /*v263*/
	s_wait_loadcnt 0xa
	s_set_vgpr_msb 4                        ;  msbs: dst=0 src0=0 src1=1 src2=0
	v_dual_ashrrev_i32 v35, v251, v13 /*v269*/ :: v_dual_lshrrev_b32 v37, v254, v8 /*v264*/
	s_set_vgpr_msb 0                        ;  msbs: dst=0 src0=0 src1=0 src2=0
	v_pk_mul_f16 v17, v17, v34
	v_lshrrev_b32_e32 v31, 16, v31
	s_delay_alu instid0(VALU_DEP_2) | instskip(NEXT) | instid1(VALU_DEP_2)
	v_pk_fma_f16 v32, v17, v255, v32
	v_lshlrev_b16 v27, 8, v31
	v_and_b32_e32 v31, 0x1f00, v31
	s_delay_alu instid0(VALU_DEP_2) | instskip(NEXT) | instid1(VALU_DEP_2)
	v_add_nc_u16 v21, 0xf000, v27
	v_add_nc_u16 v27, 0xf000, v31
	s_set_vgpr_msb 4                        ;  msbs: dst=0 src0=0 src1=1 src2=0
	v_lshrrev_b32_e32 v31, v252, v8 /*v264*/
	s_set_vgpr_msb 0                        ;  msbs: dst=0 src0=0 src1=0 src2=0
	v_ashrrev_i16 v21, 8, v21
	v_lshrrev_b32_e32 v27, 8, v27
	s_delay_alu instid0(VALU_DEP_3)
	v_lshlrev_b32_e32 v29, 12, v31
	v_and_b32_e32 v31, 0xf0f0f0f, v35
	s_set_vgpr_msb 4                        ;  msbs: dst=0 src0=0 src1=1 src2=0
	v_lshrrev_b32_e32 v35, v253, v8 /*v264*/
	v_cvt_f16_i16_e32 v21, v21
	v_bfe_i32 v27, v27, 0, 8
	s_set_vgpr_msb 0                        ;  msbs: dst=0 src0=0 src1=0 src2=0
	v_and_b32_e32 v29, 0x1000, v29
	v_lshlrev_b32_e32 v35, 20, v35
	s_delay_alu instid0(VALU_DEP_3) | instskip(NEXT) | instid1(VALU_DEP_3)
	v_cvt_f16_i16_e32 v27, v27
	v_or3_b32 v29, v30, v31, v29
	v_lshlrev_b32_e32 v30, 28, v37
	s_delay_alu instid0(VALU_DEP_4) | instskip(NEXT) | instid1(VALU_DEP_4)
	v_and_b32_e32 v35, 0x100000, v35
	v_pack_b32_f16 v21, v21, v27
	s_delay_alu instid0(VALU_DEP_4) | instskip(NEXT) | instid1(VALU_DEP_4)
	v_lshlrev_b16 v37, 8, v29
	v_and_b32_e32 v30, 0x10000000, v30
	s_delay_alu instid0(VALU_DEP_3) | instskip(NEXT) | instid1(VALU_DEP_3)
	v_pk_mul_f16 v21, v21, v34
	v_add_nc_u16 v27, 0xf000, v37
	s_delay_alu instid0(VALU_DEP_3)
	v_or3_b32 v30, v31, v35, v30
	s_set_vgpr_msb 4                        ;  msbs: dst=0 src0=0 src1=1 src2=0
	v_mul_u32_u24_e32 v31, 0x10001, v19 /*v275*/
	s_wait_loadcnt 0x7
	v_ashrrev_i32_e32 v35, v251, v9 /*v265*/
	s_set_vgpr_msb 0                        ;  msbs: dst=0 src0=0 src1=0 src2=0
	v_pk_fma_f16 v16, v21, v255, v16
	v_lshrrev_b16 v27, 8, v27
	s_set_vgpr_msb 4                        ;  msbs: dst=0 src0=0 src1=1 src2=0
	v_dual_lshrrev_b32 v37, v253, v6 /*v262*/ :: v_dual_lshrrev_b32 v255, v254, v6 /*v262*/
	s_set_vgpr_msb 0                        ;  msbs: dst=0 src0=0 src1=0 src2=0
	v_pk_fma_f16 v17, v17, v31, v25
	v_pk_fma_f16 v20, v21, v31, v20
	v_bitop3_b16 v25, v29, v27, 0x1f00 bitop3:0xec
	v_and_b32_e32 v35, 0xf0f0f0f, v35
	s_set_vgpr_msb 4                        ;  msbs: dst=0 src0=0 src1=1 src2=0
	v_mul_u32_u24_e32 v34, 0x10001, v2 /*v258*/
	s_set_vgpr_msb 0                        ;  msbs: dst=0 src0=0 src1=0 src2=0
	v_add_nc_u16 v21, 0xf000, v25
	s_delay_alu instid0(VALU_DEP_1) | instskip(NEXT) | instid1(VALU_DEP_1)
	v_dual_lshrrev_b32 v30, 16, v30 :: v_dual_lshrrev_b32 v31, 8, v21
	v_lshlrev_b16 v27, 8, v30
	v_and_b32_e32 v29, 0x1f00, v30
	s_set_vgpr_msb 4                        ;  msbs: dst=0 src0=0 src1=1 src2=0
	v_lshrrev_b32_e32 v30, v252, v6 /*v262*/
	v_bfe_i32 v21, v21, 0, 8
	v_bfe_i32 v31, v31, 0, 8
	s_set_vgpr_msb 0                        ;  msbs: dst=0 src0=0 src1=0 src2=0
	v_add_nc_u16 v25, 0xf000, v27
	v_add_nc_u16 v27, 0xf000, v29
	s_set_vgpr_msb 4                        ;  msbs: dst=0 src0=0 src1=1 src2=0
	v_lshrrev_b32_e32 v29, v247, v6 /*v262*/
	s_set_vgpr_msb 0                        ;  msbs: dst=0 src0=0 src1=0 src2=0
	v_lshlrev_b32_e32 v30, 12, v30
	v_cvt_f16_i16_e32 v21, v21
	v_ashrrev_i16 v25, 8, v25
	v_dual_lshrrev_b32 v27, 8, v27 :: v_dual_lshlrev_b32 v29, 4, v29
	s_delay_alu instid0(VALU_DEP_4) | instskip(SKIP_1) | instid1(VALU_DEP_4)
	v_and_b32_e32 v30, 0x1000, v30
	v_cvt_f16_i16_e32 v31, v31
	v_cvt_f16_i16_e32 v25, v25
	s_delay_alu instid0(VALU_DEP_4) | instskip(SKIP_1) | instid1(VALU_DEP_4)
	v_bfe_i32 v27, v27, 0, 8
	v_and_b32_e32 v29, 16, v29
	v_pack_b32_f16 v21, v21, v31
	s_delay_alu instid0(VALU_DEP_3) | instskip(NEXT) | instid1(VALU_DEP_3)
	v_cvt_f16_i16_e32 v27, v27
	v_or3_b32 v29, v29, v35, v30
	v_dual_lshlrev_b32 v30, 20, v37 :: v_dual_lshlrev_b32 v37, 28, v255
	s_delay_alu instid0(VALU_DEP_4) | instskip(NEXT) | instid1(VALU_DEP_4)
	v_pk_mul_f16 v21, v21, v34
	v_pack_b32_f16 v25, v25, v27
	s_delay_alu instid0(VALU_DEP_4) | instskip(NEXT) | instid1(VALU_DEP_4)
	v_lshlrev_b16 v255, 8, v29
	v_and_b32_e32 v30, 0x100000, v30
	v_and_b32_e32 v37, 0x10000000, v37
	v_pk_fma_f16 v17, v21, v22, v17
	v_pk_mul_f16 v25, v25, v34
	v_add_nc_u16 v255, 0xf000, v255
	s_wait_loadcnt 0x3
	v_mul_u32_u24_e32 v26, 0x10001, v26
	v_or3_b32 v30, v35, v30, v37
	v_pk_fma_f16 v16, v25, v18, v16
	v_lshrrev_b16 v31, 8, v255
	s_delay_alu instid0(VALU_DEP_1)
	v_bitop3_b16 v29, v29, v31, 0x1f00 bitop3:0xec
	v_pk_fma_f16 v31, v21, v18, v32
	v_pk_fma_f16 v18, v25, v22, v20
	s_set_vgpr_msb 4                        ;  msbs: dst=0 src0=0 src1=1 src2=0
	v_lshrrev_b32_e32 v32, v247, v12 /*v268*/
	s_set_vgpr_msb 0                        ;  msbs: dst=0 src0=0 src1=0 src2=0
	v_add_nc_u16 v21, 0xf000, v29
	s_delay_alu instid0(VALU_DEP_1) | instskip(NEXT) | instid1(VALU_DEP_1)
	v_dual_lshrrev_b32 v27, 16, v30 :: v_dual_lshrrev_b32 v20, 8, v21
	v_and_b32_e32 v30, 0x1f00, v27
	v_bfe_i32 v21, v21, 0, 8
	v_lshlrev_b16 v27, 8, v27
	s_delay_alu instid0(VALU_DEP_4) | instskip(NEXT) | instid1(VALU_DEP_4)
	v_bfe_i32 v20, v20, 0, 8
	v_add_nc_u16 v29, 0xf000, v30
	s_delay_alu instid0(VALU_DEP_4) | instskip(NEXT) | instid1(VALU_DEP_4)
	v_cvt_f16_i16_e32 v21, v21
	v_add_nc_u16 v22, 0xf000, v27
	s_set_vgpr_msb 4                        ;  msbs: dst=0 src0=0 src1=1 src2=0
	v_mul_u32_u24_e32 v30, 0x10001, v5 /*v261*/
	v_cvt_f16_i16_e32 v20, v20
	s_set_vgpr_msb 0                        ;  msbs: dst=0 src0=0 src1=0 src2=0
	v_mul_u32_u24_e32 v27, 0x10001, v33
	s_set_vgpr_msb 4                        ;  msbs: dst=0 src0=0 src1=1 src2=0
	v_lshrrev_b32_e32 v33, v254, v12 /*v268*/
	s_set_vgpr_msb 0                        ;  msbs: dst=0 src0=0 src1=0 src2=0
	v_ashrrev_i16 v22, 8, v22
	v_pack_b32_f16 v20, v21, v20
	s_set_vgpr_msb 4                        ;  msbs: dst=0 src0=0 src1=1 src2=0
	v_lshrrev_b32_e32 v21, v252, v12 /*v268*/
	s_set_vgpr_msb 0                        ;  msbs: dst=0 src0=0 src1=0 src2=0
	v_dual_lshrrev_b32 v25, 8, v29 :: v_dual_lshlrev_b32 v32, 4, v32
	v_cvt_f16_i16_e32 v22, v22
	s_set_vgpr_msb 4                        ;  msbs: dst=0 src0=0 src1=1 src2=0
	v_mul_u32_u24_e32 v29, 0x10001, v0 /*v256*/
	s_set_vgpr_msb 0                        ;  msbs: dst=0 src0=0 src1=0 src2=0
	v_lshlrev_b32_e32 v21, 12, v21
	v_bfe_i32 v25, v25, 0, 8
	v_pk_mul_f16 v20, v20, v30
	s_wait_loadcnt 0x0
	v_mul_u32_u24_e32 v24, 0x10001, v24
	s_delay_alu instid0(VALU_DEP_3) | instskip(NEXT) | instid1(VALU_DEP_3)
	v_cvt_f16_i16_e32 v25, v25
	v_pk_fma_f16 v31, v20, v27, v31
	v_pk_fma_f16 v17, v20, v29, v17
	s_delay_alu instid0(VALU_DEP_3) | instskip(SKIP_3) | instid1(VALU_DEP_2)
	v_pack_b32_f16 v22, v22, v25
	s_set_vgpr_msb 4                        ;  msbs: dst=0 src0=0 src1=1 src2=0
	v_ashrrev_i32_e32 v25, v251, v3 /*v259*/
	s_set_vgpr_msb 0                        ;  msbs: dst=0 src0=0 src1=0 src2=0
	v_pk_mul_f16 v22, v22, v30
	v_and_b32_e32 v30, 16, v32
	s_set_vgpr_msb 4                        ;  msbs: dst=0 src0=0 src1=1 src2=0
	v_lshrrev_b32_e32 v32, v253, v12 /*v268*/
	s_set_vgpr_msb 0                        ;  msbs: dst=0 src0=0 src1=0 src2=0
	v_and_b32_e32 v25, 0xf0f0f0f, v25
	v_and_b32_e32 v21, 0x1000, v21
	v_pk_fma_f16 v16, v22, v27, v16
	v_pk_fma_f16 v18, v22, v29, v18
	v_lshlrev_b32_e32 v20, 20, v32
	s_set_vgpr_msb 4                        ;  msbs: dst=0 src0=0 src1=1 src2=0
	v_lshrrev_b32_e32 v29, v253, v16 /*v272*/
	s_set_vgpr_msb 0                        ;  msbs: dst=0 src0=0 src1=0 src2=0
	v_or3_b32 v21, v30, v25, v21
	v_lshlrev_b32_e32 v30, 28, v33
	v_and_b32_e32 v20, 0x100000, v20
	s_delay_alu instid0(VALU_DEP_3) | instskip(NEXT) | instid1(VALU_DEP_3)
	v_lshlrev_b16 v27, 8, v21
	v_and_b32_e32 v30, 0x10000000, v30
	s_delay_alu instid0(VALU_DEP_2) | instskip(NEXT) | instid1(VALU_DEP_2)
	v_add_nc_u16 v22, 0xf000, v27
	v_or3_b32 v20, v25, v20, v30
	s_set_vgpr_msb 4                        ;  msbs: dst=0 src0=0 src1=1 src2=0
	v_dual_lshrrev_b32 v25, v247, v16 /*v272*/ :: v_dual_lshrrev_b32 v27, v252, v16 /*v272*/
	s_set_vgpr_msb 0                        ;  msbs: dst=0 src0=0 src1=0 src2=0
	v_ashrrev_i32_e32 v28, v251, v28
	v_lshrrev_b16 v22, 8, v22
	s_delay_alu instid0(VALU_DEP_3) | instskip(SKIP_1) | instid1(VALU_DEP_4)
	v_dual_lshrrev_b32 v20, 16, v20 :: v_dual_lshlrev_b32 v25, 4, v25
	v_lshlrev_b32_e32 v27, 12, v27
	v_and_b32_e32 v28, 0xf0f0f0f, v28
	s_delay_alu instid0(VALU_DEP_4) | instskip(NEXT) | instid1(VALU_DEP_4)
	v_bitop3_b16 v21, v21, v22, 0x1f00 bitop3:0xec
	v_lshlrev_b16 v22, 8, v20
	s_set_vgpr_msb 4                        ;  msbs: dst=0 src0=0 src1=1 src2=0
	v_lshrrev_b32_e32 v30, v254, v16 /*v272*/
	s_set_vgpr_msb 0                        ;  msbs: dst=0 src0=0 src1=0 src2=0
	v_and_b32_e32 v25, 16, v25
	v_and_b32_e32 v27, 0x1000, v27
	;; [unrolled: 1-line block ×3, first 2 shown]
	v_add_nc_u16 v21, 0xf000, v21
	v_add_nc_u16 v22, 0xf000, v22
	s_delay_alu instid0(VALU_DEP_4) | instskip(NEXT) | instid1(VALU_DEP_4)
	v_or3_b32 v25, v25, v28, v27
	v_add_nc_u16 v20, 0xf000, v20
	v_dual_lshlrev_b32 v27, 20, v29 :: v_dual_lshlrev_b32 v29, 28, v30
	s_delay_alu instid0(VALU_DEP_4) | instskip(NEXT) | instid1(VALU_DEP_4)
	v_ashrrev_i16 v22, 8, v22
	v_lshlrev_b16 v32, 8, v25
	s_delay_alu instid0(VALU_DEP_4) | instskip(NEXT) | instid1(VALU_DEP_4)
	v_lshrrev_b32_e32 v20, 8, v20
	v_and_b32_e32 v27, 0x100000, v27
	v_and_b32_e32 v29, 0x10000000, v29
	v_cvt_f16_i16_e32 v22, v22
	v_add_nc_u16 v32, 0xf000, v32
	v_bfe_i32 v20, v20, 0, 8
	s_delay_alu instid0(VALU_DEP_4) | instskip(SKIP_1) | instid1(VALU_DEP_4)
	v_or3_b32 v27, v28, v27, v29
	v_lshrrev_b32_e32 v30, 8, v21
	v_lshrrev_b16 v28, 8, v32
	v_bfe_i32 v21, v21, 0, 8
	v_cvt_f16_i16_e32 v20, v20
	v_lshrrev_b32_e32 v27, 16, v27
	v_bfe_i32 v30, v30, 0, 8
	v_bitop3_b16 v25, v25, v28, 0x1f00 bitop3:0xec
	v_cvt_f16_i16_e32 v21, v21
	v_pack_b32_f16 v20, v22, v20
	v_and_b32_e32 v28, 0x1f00, v27
	v_cvt_f16_i16_e32 v29, v30
	v_add_nc_u16 v25, 0xf000, v25
	v_lshlrev_b16 v27, 8, v27
	v_pk_mul_f16 v20, v20, v26
	v_add_nc_u16 v28, 0xf000, v28
	v_pack_b32_f16 v21, v21, v29
	v_lshrrev_b32_e32 v29, 8, v25
	v_add_nc_u16 v27, 0xf000, v27
	v_bfe_i32 v22, v25, 0, 8
	v_lshrrev_b32_e32 v28, 8, v28
	v_pk_mul_f16 v21, v21, v26
	v_bfe_i32 v25, v29, 0, 8
	v_ashrrev_i16 v27, 8, v27
	v_cvt_f16_i16_e32 v22, v22
	v_bfe_i32 v28, v28, 0, 8
	v_pk_fma_f16 v17, v21, v23, v17
	v_cvt_f16_i16_e32 v25, v25
	v_cvt_f16_i16_e32 v26, v27
	v_pk_fma_f16 v16, v20, v19, v16
	v_cvt_f16_i16_e32 v27, v28
	v_pk_fma_f16 v28, v21, v19, v31
	v_pack_b32_f16 v22, v22, v25
	s_set_vgpr_msb 4                        ;  msbs: dst=0 src0=0 src1=1 src2=0
	v_mul_u32_u24_e32 v19, 0x10001, v4 /*v260*/
	v_mul_u32_u24_e32 v25, 0x10001, v20 /*v276*/
	s_set_vgpr_msb 0                        ;  msbs: dst=0 src0=0 src1=0 src2=0
	v_pack_b32_f16 v21, v26, v27
	v_pk_fma_f16 v18, v20, v23, v18
	v_pk_mul_f16 v22, v22, v24
	s_delay_alu instid0(VALU_DEP_3) | instskip(NEXT) | instid1(VALU_DEP_2)
	v_pk_mul_f16 v24, v21, v24
	v_pk_fma_f16 v20, v22, v19, v28
	v_pk_fma_f16 v22, v22, v25, v17
	s_delay_alu instid0(VALU_DEP_3)
	v_pk_fma_f16 v21, v24, v19, v16
	v_pk_fma_f16 v23, v24, v25, v18
	s_cbranch_scc1 .LBB19_28
; %bb.26:                               ;   in Loop: Header=BB19_17 Depth=1
	v_dual_mov_b32 v29, v228 :: v_dual_mov_b32 v28, v229
	s_branch .LBB19_17
.LBB19_27:
	v_mov_b64_e32 v[228:229], 0xfefffffffeffffff
	v_mov_b32_e32 v70, 0
	s_branch .LBB19_29
.LBB19_28:
	ds_store_b128 v238, v[20:23]
.LBB19_29:
	s_cmp_eq_u64 s[12:13], 0
	s_cselect_b32 s1, -1, 0
	s_cmp_lg_u32 s48, 0
	s_cselect_b32 s4, -1, 0
	s_delay_alu instid0(SALU_CYCLE_1) | instskip(NEXT) | instid1(SALU_CYCLE_1)
	s_or_b32 s1, s4, s1
	s_nor_b32 s0, s1, s0
	s_delay_alu instid0(SALU_CYCLE_1)
	s_and_saveexec_b32 s1, s0
	s_cbranch_execz .LBB19_31
; %bb.30:
	s_ashr_i32 s29, s28, 31
	v_cmp_eq_u32_e32 vcc_lo, 1, v233
	s_lshl_b64 s[4:5], s[28:29], 2
	s_delay_alu instid0(SALU_CYCLE_1) | instskip(SKIP_2) | instid1(VALU_DEP_1)
	s_add_nc_u64 s[4:5], s[12:13], s[4:5]
	s_load_b32 s0, s[4:5], 0x0
	v_cndmask_b32_e32 v0, v228, v229, vcc_lo
	v_max_num_f32_e32 v1, v0, v0
	s_wait_kmcnt 0x0
	v_max_num_f32_e64 v2, s0, s0
	s_delay_alu instid0(VALU_DEP_1) | instskip(NEXT) | instid1(VALU_DEP_1)
	v_max_num_f32_e32 v2, v2, v1
	v_sub_f32_e32 v4, s0, v2
	s_delay_alu instid0(VALU_DEP_1) | instskip(SKIP_1) | instid1(VALU_DEP_2)
	v_mul_f32_e32 v1, 0x3fb8aa3b, v4
	v_dual_sub_f32 v3, v0, v2 :: v_dual_cndmask_b32 v229, v229, v2, vcc_lo
	v_rndne_f32_e32 v8, v1
	s_delay_alu instid0(VALU_DEP_2) | instskip(SKIP_2) | instid1(VALU_DEP_4)
	v_mul_f32_e32 v0, 0x3fb8aa3b, v3
	v_fma_f32 v7, 0x3fb8aa3b, v4, -v1
	v_cmp_ngt_f32_e64 s0, 0xc2ce8ed0, v3
	v_sub_f32_e32 v1, v1, v8
	s_delay_alu instid0(VALU_DEP_4) | instskip(SKIP_1) | instid1(VALU_DEP_1)
	v_fma_f32 v5, 0x3fb8aa3b, v3, -v0
	v_rndne_f32_e32 v6, v0
	v_dual_fmac_f32 v5, 0x32a5705f, v3 :: v_dual_sub_f32 v0, v0, v6
	s_delay_alu instid0(VALU_DEP_1) | instskip(SKIP_2) | instid1(VALU_DEP_3)
	v_dual_fmac_f32 v7, 0x32a5705f, v4 :: v_dual_add_f32 v0, v0, v5
	v_cvt_i32_f32_e32 v5, v6
	v_cvt_i32_f32_e32 v6, v8
	v_exp_f32_e32 v0, v0
	v_nop
	s_delay_alu instid0(TRANS32_DEP_1) | instskip(SKIP_2) | instid1(VALU_DEP_3)
	v_ldexp_f32 v0, v0, v5
	v_add_f32_e32 v1, v1, v7
	v_lshl_add_u32 v5, v233, 3, v238
	v_cndmask_b32_e64 v7, 0, v0, s0
	s_delay_alu instid0(VALU_DEP_3) | instskip(SKIP_1) | instid1(TRANS32_DEP_1)
	v_exp_f32_e32 v1, v1
	v_cmp_ngt_f32_e64 s0, 0xc2ce8ed0, v4
	v_ldexp_f32 v6, v1, v6
	ds_load_b64 v[0:1], v5
	v_cndmask_b32_e64 v6, 0, v6, s0
	v_cmp_nlt_f32_e64 s0, 0x42b17218, v3
	s_delay_alu instid0(VALU_DEP_1) | instskip(SKIP_2) | instid1(VALU_DEP_2)
	v_cndmask_b32_e64 v3, 0x7f800000, v7, s0
	v_cmp_nlt_f32_e64 s0, 0x42b17218, v4
	v_cndmask_b32_e32 v7, v70, v71, vcc_lo
	v_cndmask_b32_e64 v4, 0x7f800000, v6, s0
	s_delay_alu instid0(VALU_DEP_4) | instskip(SKIP_1) | instid1(VALU_DEP_2)
	v_cvt_f16_f32_e32 v6, v3
	v_cmp_eq_u32_e64 s0, 0, v232
	v_and_b32_e32 v6, 0xffff, v6
	s_delay_alu instid0(VALU_DEP_2) | instskip(SKIP_1) | instid1(VALU_DEP_1)
	v_cndmask_b32_e64 v4, 0, v4, s0
	v_cmp_eq_u32_e64 s0, 0, v233
	v_dual_fmac_f32 v4, v7, v3 :: v_dual_cndmask_b32 v228, v228, v2, s0
	s_delay_alu instid0(VALU_DEP_4) | instskip(NEXT) | instid1(VALU_DEP_2)
	v_mul_u32_u24_e32 v3, 0x10001, v6
	v_dual_cndmask_b32 v71, v71, v4, vcc_lo :: v_dual_cndmask_b32 v70, v70, v4, s0
	s_wait_dscnt 0x0
	s_delay_alu instid0(VALU_DEP_2)
	v_pk_mul_f16 v0, v0, v3
	v_pk_mul_f16 v1, v1, v3
	ds_store_b64 v5, v[0:1]
.LBB19_31:
	s_or_b32 exec_lo, exec_lo, s1
	v_add_nc_u32_e32 v4, 0x500, v236
	v_add_nc_u32_e32 v7, 0x400, v236
	s_mov_b32 s0, exec_lo
	v_cmpx_eq_u32_e32 0, v233
	s_cbranch_execz .LBB19_33
; %bb.32:
	v_dual_mov_b32 v0, 0xfeffffff :: v_dual_mov_b32 v1, 0
	ds_store_2addr_b32 v7, v0, v0 offset1:32
	ds_store_2addr_b32 v4, v1, v1 offset1:32
.LBB19_33:
	s_or_b32 exec_lo, exec_lo, s0
	v_cmp_eq_u32_e64 s0, 0, v232
	s_wait_dscnt 0x0
	s_barrier_signal -1
	s_barrier_wait -1
	s_and_saveexec_b32 s1, s0
; %bb.34:
	v_lshlrev_b32_e32 v0, 2, v233
	s_delay_alu instid0(VALU_DEP_1)
	v_add_nc_u32_e32 v0, 0x400, v0
	ds_store_2addr_b32 v0, v228, v229 offset1:32
; %bb.35:
	s_or_b32 exec_lo, exec_lo, s1
	s_cmp_lt_i32 s33, s24
	s_wait_dscnt 0x0
	s_barrier_signal -1
	s_barrier_wait -1
	s_cbranch_scc1 .LBB19_37
; %bb.36:
	s_load_b32 s4, s[2:3], 0xd4
	s_cbranch_execz .LBB19_38
	s_branch .LBB19_46
.LBB19_37:
                                        ; implicit-def: $sgpr4
.LBB19_38:
	v_xor_b32_e32 v2, 8, v240
	v_xor_b32_e32 v1, 16, v240
	ds_load_b32 v0, v7
	ds_load_b64 v[12:13], v238
	s_wait_kmcnt 0x0
	s_load_b32 s4, s[2:3], 0xd4
	v_cmp_gt_i32_e32 vcc_lo, 32, v1
	v_cndmask_b32_e32 v1, v240, v1, vcc_lo
	v_cmp_gt_i32_e32 vcc_lo, 32, v2
	v_cndmask_b32_e32 v2, v240, v2, vcc_lo
	s_delay_alu instid0(VALU_DEP_1)
	v_dual_lshlrev_b32 v8, 2, v2 :: v_dual_lshlrev_b32 v5, 2, v1
	v_xor_b32_e32 v2, 4, v240
	s_wait_dscnt 0x1
	ds_bpermute_b32 v1, v5, v0
	v_max_num_f32_e32 v0, v0, v0
	v_cmp_gt_i32_e32 vcc_lo, 32, v2
	s_wait_dscnt 0x0
	v_max_num_f32_e32 v1, v1, v1
	s_delay_alu instid0(VALU_DEP_1) | instskip(SKIP_3) | instid1(VALU_DEP_1)
	v_max_num_f32_e32 v0, v0, v1
	ds_bpermute_b32 v1, v8, v0
	s_wait_dscnt 0x0
	v_dual_cndmask_b32 v2, v240, v2 :: v_dual_max_num_f32 v1, v1, v1
	v_dual_lshlrev_b32 v6, 2, v2 :: v_dual_max_num_f32 v0, v0, v1
	ds_bpermute_b32 v1, v6, v0
	s_wait_dscnt 0x0
	v_dual_max_num_f32 v1, v1, v1 :: v_dual_bitop2_b32 v2, 2, v240 bitop3:0x14
	s_delay_alu instid0(VALU_DEP_1) | instskip(NEXT) | instid1(VALU_DEP_2)
	v_cmp_gt_i32_e32 vcc_lo, 32, v2
	v_max_num_f32_e32 v0, v0, v1
	v_cndmask_b32_e32 v2, v240, v2, vcc_lo
	s_delay_alu instid0(VALU_DEP_1) | instskip(SKIP_3) | instid1(VALU_DEP_1)
	v_lshlrev_b32_e32 v9, 2, v2
	ds_bpermute_b32 v1, v9, v0
	s_wait_dscnt 0x0
	v_dual_max_num_f32 v1, v1, v1 :: v_dual_bitop2_b32 v2, 1, v240 bitop3:0x14
	v_max_num_f32_e32 v0, v0, v1
	s_delay_alu instid0(VALU_DEP_2) | instskip(SKIP_1) | instid1(VALU_DEP_1)
	v_cmp_gt_i32_e32 vcc_lo, 32, v2
	v_cndmask_b32_e32 v2, v240, v2, vcc_lo
	v_lshlrev_b32_e32 v10, 2, v2
	ds_bpermute_b32 v1, v10, v0
	s_wait_dscnt 0x0
	v_max_num_f32_e32 v1, v1, v1
	s_delay_alu instid0(VALU_DEP_1) | instskip(NEXT) | instid1(VALU_DEP_1)
	v_max_num_f32_e32 v0, v0, v1
	v_sub_f32_e32 v1, v228, v0
	s_delay_alu instid0(VALU_DEP_1) | instskip(NEXT) | instid1(VALU_DEP_1)
	v_mul_f32_e32 v2, 0x3fb8aa3b, v1
	v_fma_f32 v3, 0x3fb8aa3b, v1, -v2
	v_rndne_f32_e32 v11, v2
	s_delay_alu instid0(VALU_DEP_1) | instskip(SKIP_1) | instid1(VALU_DEP_4)
	v_sub_f32_e32 v2, v2, v11
	v_cmp_ngt_f32_e32 vcc_lo, 0xc2ce8ed0, v1
	v_fmamk_f32 v3, v1, 0x32a5705f, v3
	s_delay_alu instid0(VALU_DEP_1) | instskip(SKIP_2) | instid1(VALU_DEP_3)
	v_add_f32_e32 v2, v2, v3
	v_cvt_i32_f32_e32 v3, v11
	v_lshlrev_b32_e32 v11, 3, v232
	v_exp_f32_e32 v2, v2
	v_nop
	s_delay_alu instid0(TRANS32_DEP_1) | instskip(NEXT) | instid1(VALU_DEP_1)
	v_ldexp_f32 v2, v2, v3
	v_cndmask_b32_e32 v2, 0, v2, vcc_lo
	v_cmp_nlt_f32_e32 vcc_lo, 0x42b17218, v1
	s_delay_alu instid0(VALU_DEP_2) | instskip(NEXT) | instid1(VALU_DEP_1)
	v_cndmask_b32_e32 v2, 0x7f800000, v2, vcc_lo
	v_mul_f32_e32 v1, v70, v2
	ds_bpermute_b32 v1, v5, v1
	s_wait_dscnt 0x0
	v_fmac_f32_e32 v1, v70, v2
	ds_bpermute_b32 v3, v8, v1
	s_wait_dscnt 0x0
	v_add_f32_e32 v1, v1, v3
	ds_bpermute_b32 v3, v6, v1
	s_wait_dscnt 0x0
	v_add_f32_e32 v1, v1, v3
	;; [unrolled: 3-line block ×3, first 2 shown]
	v_cvt_f16_f32_e32 v3, v2
	ds_bpermute_b32 v2, v10, v1
	v_and_b32_e32 v3, 0xffff, v3
	s_delay_alu instid0(VALU_DEP_1) | instskip(NEXT) | instid1(VALU_DEP_1)
	v_mul_u32_u24_e32 v3, 0x10001, v3
	v_pk_mul_f16 v14, v12, v3
	v_pk_mul_f16 v15, v13, v3
	v_add_nc_u32_e32 v12, v234, v11
	v_lshl_add_u32 v11, v233, 2, 0x500
	ds_store_b64 v238, v[14:15]
	ds_store_b64 v12, v[14:15]
	s_and_saveexec_b32 s1, s0
	s_cbranch_execz .LBB19_40
; %bb.39:
	s_wait_dscnt 0x2
	v_add_f32_e32 v1, v1, v2
	ds_store_b32 v11, v1
.LBB19_40:
	s_or_b32 exec_lo, exec_lo, s1
	s_wait_dscnt 0x0
	s_barrier_signal -1
	s_barrier_wait -1
	ds_load_b32 v1, v4
	ds_load_u16 v2, v237
	ds_load_u16 v13, v237 offset:256
	ds_load_u16 v16, v237 offset:512
	;; [unrolled: 1-line block ×3, first 2 shown]
	s_wait_kmcnt 0x0
	s_cmp_eq_u32 s4, 1
	s_mul_i32 s2, s26, s24
	s_cselect_b32 s1, -1, 0
	s_add_co_i32 s2, s33, s2
	v_mov_b32_e32 v14, 0
	s_mul_i32 s2, s2, s25
	s_delay_alu instid0(SALU_CYCLE_1) | instskip(NEXT) | instid1(SALU_CYCLE_1)
	s_add_co_i32 s2, s2, s28
	s_mul_i32 s3, s4, s2
	s_delay_alu instid0(SALU_CYCLE_1)
	s_add_co_i32 s3, s3, s48
	s_wait_dscnt 0x4
	ds_bpermute_b32 v3, v5, v1
	s_wait_dscnt 0x4
	v_cvt_f32_f16_e32 v2, v2
	s_wait_dscnt 0x0
	v_add_f32_e32 v3, v1, v3
	ds_bpermute_b32 v15, v8, v3
	s_wait_dscnt 0x0
	v_pk_add_f32 v[2:3], v[2:3], v[14:15]
	v_cvt_f32_f16_e32 v14, v13
	ds_bpermute_b32 v15, v6, v3
	s_wait_dscnt 0x0
	v_pk_add_f32 v[2:3], v[2:3], v[14:15]
	v_cvt_f32_f16_e32 v14, v16
	;; [unrolled: 4-line block ×3, first 2 shown]
	ds_bpermute_b32 v15, v10, v3
	s_wait_dscnt 0x0
	v_pk_add_f32 v[2:3], v[2:3], v[14:15]
	s_delay_alu instid0(VALU_DEP_1) | instskip(SKIP_1) | instid1(VALU_DEP_2)
	v_div_scale_f32 v1, null, v3, v3, v2
	v_div_scale_f32 v15, vcc_lo, v2, v3, v2
	v_rcp_f32_e32 v13, v1
	v_nop
	s_delay_alu instid0(TRANS32_DEP_1) | instskip(NEXT) | instid1(VALU_DEP_1)
	v_fma_f32 v14, -v1, v13, 1.0
	v_fmac_f32_e32 v13, v14, v13
	s_delay_alu instid0(VALU_DEP_1) | instskip(NEXT) | instid1(VALU_DEP_1)
	v_mul_f32_e32 v14, v15, v13
	v_fma_f32 v16, -v1, v14, v15
	s_delay_alu instid0(VALU_DEP_1) | instskip(NEXT) | instid1(VALU_DEP_1)
	v_fmac_f32_e32 v14, v16, v13
	v_fma_f32 v1, -v1, v14, v15
	s_delay_alu instid0(VALU_DEP_1) | instskip(SKIP_2) | instid1(SALU_CYCLE_1)
	v_div_fmas_f32 v1, v1, v13, v14
	v_lshl_or_b32 v13, s3, 7, v235
	s_or_b32 s3, s33, 1
	s_cmp_ge_i32 s3, s24
	s_delay_alu instid0(VALU_DEP_2) | instskip(NEXT) | instid1(VALU_DEP_1)
	v_div_fixup_f32 v1, v1, v3, v2
	v_cndmask_b32_e64 v2, v2, v1, s1
	global_store_b32 v13, v2, s[16:17] scale_offset
	s_wait_storecnt 0x0
	s_barrier_signal -1
	s_barrier_wait -1
	s_cbranch_scc1 .LBB19_44
; %bb.41:
	ds_load_b32 v1, v7 offset:128
	s_wait_dscnt 0x0
	s_wait_xcnt 0x0
	ds_bpermute_b32 v2, v5, v1
	s_wait_dscnt 0x0
	v_dual_max_num_f32 v1, v1, v1 :: v_dual_max_num_f32 v2, v2, v2
	s_delay_alu instid0(VALU_DEP_1) | instskip(SKIP_3) | instid1(VALU_DEP_1)
	v_max_num_f32_e32 v1, v1, v2
	ds_bpermute_b32 v2, v8, v1
	s_wait_dscnt 0x0
	v_max_num_f32_e32 v2, v2, v2
	v_max_num_f32_e32 v1, v1, v2
	ds_bpermute_b32 v2, v6, v1
	s_wait_dscnt 0x0
	v_max_num_f32_e32 v2, v2, v2
	s_delay_alu instid0(VALU_DEP_1) | instskip(SKIP_3) | instid1(VALU_DEP_1)
	v_max_num_f32_e32 v1, v1, v2
	ds_bpermute_b32 v2, v9, v1
	s_wait_dscnt 0x0
	v_max_num_f32_e32 v2, v2, v2
	v_max_num_f32_e32 v1, v1, v2
	ds_bpermute_b32 v2, v10, v1
	s_wait_dscnt 0x0
	v_max_num_f32_e32 v2, v2, v2
	s_delay_alu instid0(VALU_DEP_1) | instskip(NEXT) | instid1(VALU_DEP_1)
	v_max_num_f32_e32 v1, v1, v2
	v_sub_f32_e32 v2, v229, v1
	s_delay_alu instid0(VALU_DEP_1) | instskip(NEXT) | instid1(VALU_DEP_1)
	v_mul_f32_e32 v7, 0x3fb8aa3b, v2
	v_fma_f32 v13, 0x3fb8aa3b, v2, -v7
	v_rndne_f32_e32 v14, v7
	s_delay_alu instid0(VALU_DEP_1) | instskip(NEXT) | instid1(VALU_DEP_3)
	v_sub_f32_e32 v7, v7, v14
	v_fmamk_f32 v13, v2, 0x32a5705f, v13
	v_cmp_ngt_f32_e32 vcc_lo, 0xc2ce8ed0, v2
	s_delay_alu instid0(VALU_DEP_2) | instskip(SKIP_4) | instid1(TRANS32_DEP_1)
	v_add_f32_e32 v7, v7, v13
	v_cvt_i32_f32_e32 v13, v14
	ds_load_b64 v[14:15], v238 offset:8
	v_exp_f32_e32 v7, v7
	v_nop
	v_ldexp_f32 v7, v7, v13
	s_delay_alu instid0(VALU_DEP_1) | instskip(SKIP_1) | instid1(VALU_DEP_2)
	v_cndmask_b32_e32 v7, 0, v7, vcc_lo
	v_cmp_nlt_f32_e32 vcc_lo, 0x42b17218, v2
	v_cndmask_b32_e32 v7, 0x7f800000, v7, vcc_lo
	s_delay_alu instid0(VALU_DEP_1)
	v_mul_f32_e32 v2, v71, v7
	ds_bpermute_b32 v2, v5, v2
	s_wait_dscnt 0x0
	v_fmac_f32_e32 v2, v71, v7
	ds_bpermute_b32 v13, v8, v2
	s_wait_dscnt 0x0
	v_add_f32_e32 v2, v2, v13
	ds_bpermute_b32 v13, v6, v2
	s_wait_dscnt 0x0
	v_add_f32_e32 v2, v2, v13
	;; [unrolled: 3-line block ×3, first 2 shown]
	v_cvt_f16_f32_e32 v13, v7
	ds_bpermute_b32 v7, v10, v2
	v_and_b32_e32 v13, 0xffff, v13
	s_delay_alu instid0(VALU_DEP_1) | instskip(NEXT) | instid1(VALU_DEP_1)
	v_mul_u32_u24_e32 v13, 0x10001, v13
	v_pk_mul_f16 v14, v14, v13
	v_pk_mul_f16 v15, v15, v13
	ds_store_b64 v238, v[14:15] offset:8
	ds_store_b64 v12, v[14:15]
	s_and_saveexec_b32 s3, s0
	s_cbranch_execz .LBB19_43
; %bb.42:
	s_wait_dscnt 0x2
	v_add_f32_e32 v2, v2, v7
	ds_store_b32 v11, v2 offset:128
.LBB19_43:
	s_or_b32 exec_lo, exec_lo, s3
	s_wait_dscnt 0x0
	s_barrier_signal -1
	s_barrier_wait -1
	ds_load_b32 v2, v4 offset:128
	ds_load_u16 v4, v237
	ds_load_u16 v11, v237 offset:256
	ds_load_u16 v14, v237 offset:512
	;; [unrolled: 1-line block ×3, first 2 shown]
	s_add_co_i32 s2, s2, s25
	v_mov_b32_e32 v12, 0
	s_mul_i32 s0, s4, s2
	s_delay_alu instid0(SALU_CYCLE_1)
	s_add_co_i32 s0, s0, s48
	s_wait_dscnt 0x4
	ds_bpermute_b32 v5, v5, v2
	s_wait_dscnt 0x4
	v_cvt_f32_f16_e32 v4, v4
	s_wait_dscnt 0x0
	v_add_f32_e32 v5, v2, v5
	ds_bpermute_b32 v13, v8, v5
	s_wait_dscnt 0x0
	v_pk_add_f32 v[4:5], v[4:5], v[12:13]
	ds_bpermute_b32 v7, v6, v5
	v_cvt_f32_f16_e32 v6, v11
	s_wait_dscnt 0x0
	s_delay_alu instid0(VALU_DEP_1)
	v_pk_add_f32 v[4:5], v[4:5], v[6:7]
	v_cvt_f32_f16_e32 v6, v14
	ds_bpermute_b32 v7, v9, v5
	s_wait_dscnt 0x0
	v_pk_add_f32 v[4:5], v[4:5], v[6:7]
	v_cvt_f32_f16_e32 v6, v15
	ds_bpermute_b32 v7, v10, v5
	s_wait_dscnt 0x0
	v_pk_add_f32 v[70:71], v[4:5], v[6:7]
	s_delay_alu instid0(VALU_DEP_1) | instskip(NEXT) | instid1(VALU_DEP_1)
	v_div_scale_f32 v2, null, v71, v71, v70
	v_rcp_f32_e32 v4, v2
	v_nop
	s_delay_alu instid0(TRANS32_DEP_1) | instskip(NEXT) | instid1(VALU_DEP_1)
	v_fma_f32 v5, -v2, v4, 1.0
	v_fmac_f32_e32 v4, v5, v4
	v_div_scale_f32 v5, vcc_lo, v70, v71, v70
	s_delay_alu instid0(VALU_DEP_1) | instskip(NEXT) | instid1(VALU_DEP_1)
	v_mul_f32_e32 v6, v5, v4
	v_fma_f32 v7, -v2, v6, v5
	s_delay_alu instid0(VALU_DEP_1) | instskip(NEXT) | instid1(VALU_DEP_1)
	v_fmac_f32_e32 v6, v7, v4
	v_fma_f32 v2, -v2, v6, v5
	s_delay_alu instid0(VALU_DEP_1) | instskip(SKIP_1) | instid1(VALU_DEP_2)
	v_div_fmas_f32 v2, v2, v4, v6
	v_lshl_or_b32 v4, s0, 7, v235
	v_div_fixup_f32 v2, v2, v71, v70
	s_delay_alu instid0(VALU_DEP_1)
	v_cndmask_b32_e64 v2, v70, v2, s1
	global_store_b32 v4, v2, s[16:17] scale_offset
	s_branch .LBB19_45
.LBB19_44:
	v_mov_b32_e32 v1, v229
.LBB19_45:
	s_delay_alu instid0(VALU_DEP_1)
	v_mov_b64_e32 v[228:229], v[0:1]
	v_mov_b32_e32 v70, v3
.LBB19_46:
	v_or_b32_e32 v0, s33, v232
	v_cmp_gt_u32_e32 vcc_lo, 2, v235
	s_wait_kmcnt 0x0
	s_cmp_lg_u32 s4, 1
	s_cselect_b32 s1, -1, 0
	v_cmp_gt_i32_e64 s0, s24, v0
	s_and_b32 s1, s1, vcc_lo
	s_delay_alu instid0(SALU_CYCLE_1) | instskip(NEXT) | instid1(SALU_CYCLE_1)
	s_and_b32 s0, s1, s0
	s_and_saveexec_b32 s1, s0
	s_cbranch_execz .LBB19_48
; %bb.47:
	v_mad_u32 v0, s26, s24, v0
	v_cmp_eq_u32_e32 vcc_lo, 1, v235
	v_cndmask_b32_e32 v1, v70, v71, vcc_lo
	s_delay_alu instid0(VALU_DEP_3) | instskip(NEXT) | instid1(VALU_DEP_1)
	v_mad_u32 v0, v0, s25, s28
	v_mad_u32 v2, s4, v0, s48
	v_cndmask_b32_e32 v0, v228, v229, vcc_lo
	global_store_b64 v2, v[0:1], s[18:19] scale_offset
.LBB19_48:
	s_sendmsg sendmsg(MSG_DEALLOC_VGPRS)
	s_endpgm
	.section	.rodata,"a",@progbits
	.p2align	6, 0x0
	.amdhsa_kernel _ZL18flash_attn_ext_vecILi128ELi2EL9ggml_type6ELS0_6ELb0EEvPKcS2_S2_S2_S2_PKiPfP15HIP_vector_typeIfLj2EEffffjfiS6_IjLj3EEiiiiiiiiiiiliiliiiiil
		.amdhsa_group_segment_fixed_size 3584
		.amdhsa_private_segment_fixed_size 0
		.amdhsa_kernarg_size 464
		.amdhsa_user_sgpr_count 4
		.amdhsa_user_sgpr_dispatch_ptr 1
		.amdhsa_user_sgpr_queue_ptr 0
		.amdhsa_user_sgpr_kernarg_segment_ptr 1
		.amdhsa_user_sgpr_dispatch_id 0
		.amdhsa_user_sgpr_kernarg_preload_length 0
		.amdhsa_user_sgpr_kernarg_preload_offset 0
		.amdhsa_user_sgpr_private_segment_size 0
		.amdhsa_wavefront_size32 1
		.amdhsa_uses_dynamic_stack 0
		.amdhsa_enable_private_segment 0
		.amdhsa_system_sgpr_workgroup_id_x 1
		.amdhsa_system_sgpr_workgroup_id_y 1
		.amdhsa_system_sgpr_workgroup_id_z 1
		.amdhsa_system_sgpr_workgroup_info 0
		.amdhsa_system_vgpr_workitem_id 2
		.amdhsa_next_free_vgpr 325
		.amdhsa_next_free_sgpr 58
		.amdhsa_named_barrier_count 0
		.amdhsa_reserve_vcc 1
		.amdhsa_float_round_mode_32 0
		.amdhsa_float_round_mode_16_64 0
		.amdhsa_float_denorm_mode_32 3
		.amdhsa_float_denorm_mode_16_64 3
		.amdhsa_fp16_overflow 0
		.amdhsa_memory_ordered 1
		.amdhsa_forward_progress 1
		.amdhsa_inst_pref_size 255
		.amdhsa_round_robin_scheduling 0
		.amdhsa_exception_fp_ieee_invalid_op 0
		.amdhsa_exception_fp_denorm_src 0
		.amdhsa_exception_fp_ieee_div_zero 0
		.amdhsa_exception_fp_ieee_overflow 0
		.amdhsa_exception_fp_ieee_underflow 0
		.amdhsa_exception_fp_ieee_inexact 0
		.amdhsa_exception_int_div_zero 0
	.end_amdhsa_kernel
	.section	.text._ZL18flash_attn_ext_vecILi128ELi2EL9ggml_type6ELS0_6ELb0EEvPKcS2_S2_S2_S2_PKiPfP15HIP_vector_typeIfLj2EEffffjfiS6_IjLj3EEiiiiiiiiiiiliiliiiiil,"axG",@progbits,_ZL18flash_attn_ext_vecILi128ELi2EL9ggml_type6ELS0_6ELb0EEvPKcS2_S2_S2_S2_PKiPfP15HIP_vector_typeIfLj2EEffffjfiS6_IjLj3EEiiiiiiiiiiiliiliiiiil,comdat
.Lfunc_end19:
	.size	_ZL18flash_attn_ext_vecILi128ELi2EL9ggml_type6ELS0_6ELb0EEvPKcS2_S2_S2_S2_PKiPfP15HIP_vector_typeIfLj2EEffffjfiS6_IjLj3EEiiiiiiiiiiiliiliiiiil, .Lfunc_end19-_ZL18flash_attn_ext_vecILi128ELi2EL9ggml_type6ELS0_6ELb0EEvPKcS2_S2_S2_S2_PKiPfP15HIP_vector_typeIfLj2EEffffjfiS6_IjLj3EEiiiiiiiiiiiliiliiiiil
                                        ; -- End function
	.set _ZL18flash_attn_ext_vecILi128ELi2EL9ggml_type6ELS0_6ELb0EEvPKcS2_S2_S2_S2_PKiPfP15HIP_vector_typeIfLj2EEffffjfiS6_IjLj3EEiiiiiiiiiiiliiliiiiil.num_vgpr, 325
	.set _ZL18flash_attn_ext_vecILi128ELi2EL9ggml_type6ELS0_6ELb0EEvPKcS2_S2_S2_S2_PKiPfP15HIP_vector_typeIfLj2EEffffjfiS6_IjLj3EEiiiiiiiiiiiliiliiiiil.num_agpr, 0
	.set _ZL18flash_attn_ext_vecILi128ELi2EL9ggml_type6ELS0_6ELb0EEvPKcS2_S2_S2_S2_PKiPfP15HIP_vector_typeIfLj2EEffffjfiS6_IjLj3EEiiiiiiiiiiiliiliiiiil.numbered_sgpr, 58
	.set _ZL18flash_attn_ext_vecILi128ELi2EL9ggml_type6ELS0_6ELb0EEvPKcS2_S2_S2_S2_PKiPfP15HIP_vector_typeIfLj2EEffffjfiS6_IjLj3EEiiiiiiiiiiiliiliiiiil.num_named_barrier, 0
	.set _ZL18flash_attn_ext_vecILi128ELi2EL9ggml_type6ELS0_6ELb0EEvPKcS2_S2_S2_S2_PKiPfP15HIP_vector_typeIfLj2EEffffjfiS6_IjLj3EEiiiiiiiiiiiliiliiiiil.private_seg_size, 0
	.set _ZL18flash_attn_ext_vecILi128ELi2EL9ggml_type6ELS0_6ELb0EEvPKcS2_S2_S2_S2_PKiPfP15HIP_vector_typeIfLj2EEffffjfiS6_IjLj3EEiiiiiiiiiiiliiliiiiil.uses_vcc, 1
	.set _ZL18flash_attn_ext_vecILi128ELi2EL9ggml_type6ELS0_6ELb0EEvPKcS2_S2_S2_S2_PKiPfP15HIP_vector_typeIfLj2EEffffjfiS6_IjLj3EEiiiiiiiiiiiliiliiiiil.uses_flat_scratch, 0
	.set _ZL18flash_attn_ext_vecILi128ELi2EL9ggml_type6ELS0_6ELb0EEvPKcS2_S2_S2_S2_PKiPfP15HIP_vector_typeIfLj2EEffffjfiS6_IjLj3EEiiiiiiiiiiiliiliiiiil.has_dyn_sized_stack, 0
	.set _ZL18flash_attn_ext_vecILi128ELi2EL9ggml_type6ELS0_6ELb0EEvPKcS2_S2_S2_S2_PKiPfP15HIP_vector_typeIfLj2EEffffjfiS6_IjLj3EEiiiiiiiiiiiliiliiiiil.has_recursion, 0
	.set _ZL18flash_attn_ext_vecILi128ELi2EL9ggml_type6ELS0_6ELb0EEvPKcS2_S2_S2_S2_PKiPfP15HIP_vector_typeIfLj2EEffffjfiS6_IjLj3EEiiiiiiiiiiiliiliiiiil.has_indirect_call, 0
	.section	.AMDGPU.csdata,"",@progbits
; Kernel info:
; codeLenInByte = 32948
; TotalNumSgprs: 60
; NumVgprs: 325
; ScratchSize: 0
; MemoryBound: 0
; FloatMode: 240
; IeeeMode: 1
; LDSByteSize: 3584 bytes/workgroup (compile time only)
; SGPRBlocks: 0
; VGPRBlocks: 20
; NumSGPRsForWavesPerEU: 60
; NumVGPRsForWavesPerEU: 325
; NamedBarCnt: 0
; Occupancy: 3
; WaveLimiterHint : 0
; COMPUTE_PGM_RSRC2:SCRATCH_EN: 0
; COMPUTE_PGM_RSRC2:USER_SGPR: 4
; COMPUTE_PGM_RSRC2:TRAP_HANDLER: 0
; COMPUTE_PGM_RSRC2:TGID_X_EN: 1
; COMPUTE_PGM_RSRC2:TGID_Y_EN: 1
; COMPUTE_PGM_RSRC2:TGID_Z_EN: 1
; COMPUTE_PGM_RSRC2:TIDIG_COMP_CNT: 2
	.section	.text._ZL33flash_attn_stream_k_fixup_uniformILi128ELi2ELi1EEvPfPK15HIP_vector_typeIfLj2EEiiiiiiS1_IjLj3EES5_S5_,"axG",@progbits,_ZL33flash_attn_stream_k_fixup_uniformILi128ELi2ELi1EEvPfPK15HIP_vector_typeIfLj2EEiiiiiiS1_IjLj3EES5_S5_,comdat
	.globl	_ZL33flash_attn_stream_k_fixup_uniformILi128ELi2ELi1EEvPfPK15HIP_vector_typeIfLj2EEiiiiiiS1_IjLj3EES5_S5_ ; -- Begin function _ZL33flash_attn_stream_k_fixup_uniformILi128ELi2ELi1EEvPfPK15HIP_vector_typeIfLj2EEiiiiiiS1_IjLj3EES5_S5_
	.p2align	8
	.type	_ZL33flash_attn_stream_k_fixup_uniformILi128ELi2ELi1EEvPfPK15HIP_vector_typeIfLj2EEiiiiiiS1_IjLj3EES5_S5_,@function
_ZL33flash_attn_stream_k_fixup_uniformILi128ELi2ELi1EEvPfPK15HIP_vector_typeIfLj2EEiiiiiiS1_IjLj3EES5_S5_: ; @_ZL33flash_attn_stream_k_fixup_uniformILi128ELi2ELi1EEvPfPK15HIP_vector_typeIfLj2EEiiiiiiS1_IjLj3EES5_S5_
; %bb.0:
	s_load_b256 s[4:11], s[0:1], 0x1c
	s_bfe_u32 s2, ttmp6, 0x40014
	s_lshr_b32 s3, ttmp7, 16
	s_add_co_i32 s2, s2, 1
	s_bfe_u32 s13, ttmp6, 0x40010
	s_mul_i32 s2, s3, s2
	s_bfe_u32 s12, ttmp6, 0x40008
	s_and_b32 s14, ttmp7, 0xffff
	s_add_co_i32 s13, s13, 1
	s_bfe_u32 s15, ttmp6, 0x4000c
	s_add_co_i32 s2, s12, s2
	s_mul_i32 s12, s14, s13
	s_bfe_u32 s13, ttmp6, 0x40004
	s_add_co_i32 s15, s15, 1
	s_add_co_i32 s13, s13, s12
	s_and_b32 s12, ttmp6, 15
	s_mul_i32 s15, ttmp9, s15
	s_getreg_b32 s20, hwreg(HW_REG_IB_STS2, 6, 4)
	s_add_co_i32 s12, s12, s15
	s_load_b128 s[16:19], s[0:1], 0x3c
	s_cmp_eq_u32 s20, 0
	s_cselect_b32 s12, ttmp9, s12
	s_cselect_b32 s13, s14, s13
	s_wait_kmcnt 0x0
	s_mul_hi_u32 s7, s7, s12
	s_cselect_b32 s14, s3, s2
	s_add_co_i32 s2, s12, s7
	s_delay_alu instid0(SALU_CYCLE_1) | instskip(NEXT) | instid1(SALU_CYCLE_1)
	s_lshr_b32 s7, s2, s8
	s_mul_i32 s2, s7, s9
	s_delay_alu instid0(SALU_CYCLE_1) | instskip(NEXT) | instid1(SALU_CYCLE_1)
	s_sub_co_i32 s8, s12, s2
	s_mul_hi_u32 s2, s8, s10
	s_delay_alu instid0(SALU_CYCLE_1) | instskip(SKIP_2) | instid1(SALU_CYCLE_1)
	s_add_co_i32 s9, s8, s2
	s_load_b64 s[2:3], s[0:1], 0x10
	s_lshr_b32 s15, s9, s11
	s_mul_i32 s9, s15, s16
	s_delay_alu instid0(SALU_CYCLE_1) | instskip(NEXT) | instid1(SALU_CYCLE_1)
	s_sub_co_i32 s8, s8, s9
	s_mul_hi_u32 s9, s8, s17
	s_delay_alu instid0(SALU_CYCLE_1) | instskip(NEXT) | instid1(SALU_CYCLE_1)
	s_add_co_i32 s9, s8, s9
	s_lshr_b32 s16, s9, s18
	s_delay_alu instid0(SALU_CYCLE_1) | instskip(NEXT) | instid1(SALU_CYCLE_1)
	s_mul_i32 s9, s16, s19
	s_sub_co_i32 s17, s8, s9
	s_delay_alu instid0(SALU_CYCLE_1) | instskip(NEXT) | instid1(SALU_CYCLE_1)
	s_lshl_b32 s8, s17, 1
	s_add_co_i32 s8, s8, s13
	s_wait_kmcnt 0x0
	s_cmp_lt_i32 s8, s2
	s_cselect_b32 s8, -1, 0
	s_add_co_i32 s9, s16, s14
	s_delay_alu instid0(SALU_CYCLE_1) | instskip(SKIP_1) | instid1(SALU_CYCLE_1)
	s_cmp_lt_i32 s9, s5
	s_cselect_b32 s9, -1, 0
	s_and_b32 s8, s8, s9
	s_delay_alu instid0(SALU_CYCLE_1)
	s_and_not1_b32 vcc_lo, exec_lo, s8
	s_cbranch_vccnz .LBB20_6
; %bb.1:
	s_mul_i32 s2, s7, s2
	s_load_b128 s[8:11], s[0:1], 0x0
	s_wait_xcnt 0x0
	s_add_co_i32 s0, s2, s13
	s_mul_i32 s15, s15, s5
	s_mul_i32 s0, s0, s3
	s_mul_i32 s1, s3, s17
	s_add_co_i32 s0, s0, s14
	s_lshl_b32 s1, s1, 8
	s_add_co_i32 s0, s0, s15
	s_mul_i32 s7, s6, s12
	s_add_co_i32 s0, s0, s16
	s_add_co_i32 s5, s7, s6
	s_lshl_b32 s0, s0, 7
	s_add_co_i32 s13, s13, s14
	s_add_co_i32 s1, s1, s0
	s_lshl_b32 s0, s5, 1
	v_or_b32_e32 v4, s1, v0
	s_add_co_i32 s0, s13, s0
	s_add_co_i32 s2, s5, -2
	s_add_co_i32 s0, s0, -2
	s_delay_alu instid0(SALU_CYCLE_1)
	s_ashr_i32 s1, s0, 31
	s_wait_kmcnt 0x0
	global_load_b32 v3, v4, s[8:9] scale_offset
	s_lshl_b64 s[0:1], s[0:1], 3
	v_ashrrev_i32_e32 v5, 31, v4
	s_add_nc_u64 s[0:1], s[10:11], s[0:1]
	s_cmp_lt_i32 s2, s7
	s_load_b32 s14, s[0:1], 0x4
	s_cbranch_scc1 .LBB20_4
; %bb.2:
	s_wait_xcnt 0x0
	s_load_b32 s0, s[0:1], 0x0
	s_add_co_i32 s12, s12, 1
	s_lshl_b32 s3, s13, 7
	s_wait_xcnt 0x0
	s_mul_i32 s1, s6, s12
	s_lshl_b32 s2, s4, 3
	s_lshl_b32 s6, s1, 8
	;; [unrolled: 1-line block ×3, first 2 shown]
	s_add_co_i32 s6, s3, s6
	s_ashr_i32 s3, s2, 31
	s_wait_kmcnt 0x0
	v_dual_mov_b32 v2, s14 :: v_dual_bitop2_b32 v0, s6, v0 bitop3:0x54
	s_add_co_i32 s1, s13, s1
	s_lshl_b32 s4, s4, 1
	s_lshl_b64 s[2:3], s[2:3], 2
	s_delay_alu instid0(VALU_DEP_1)
	v_add_nc_u32_e32 v0, 0xfffffe00, v0
	s_add_co_i32 s4, s1, s4
	s_add_nc_u64 s[2:3], s[10:11], s[2:3]
	s_add_co_i32 s1, s5, -1
	s_add_co_i32 s4, s4, -4
.LBB20_3:                               ; =>This Inner Loop Header: Depth=1
	global_load_b32 v7, v0, s[2:3] scale_offset
	s_ashr_i32 s5, s4, 31
	v_max_num_f32_e64 v1, s0, s0
	s_lshl_b64 s[12:13], s[4:5], 3
	s_delay_alu instid0(SALU_CYCLE_1) | instskip(SKIP_1) | instid1(VALU_DEP_1)
	s_add_nc_u64 s[12:13], s[10:11], s[12:13]
	s_load_b64 s[12:13], s[12:13], 0x0
	v_readfirstlane_b32 s5, v1
	v_add_nc_u32_e32 v0, 0xffffff00, v0
	s_wait_kmcnt 0x0
	v_max_num_f32_e64 v1, s12, s12
	s_delay_alu instid0(VALU_DEP_1) | instskip(SKIP_1) | instid1(SALU_CYCLE_3)
	v_readfirstlane_b32 s6, v1
	s_max_num_f32 s5, s5, s6
	s_sub_f32 s0, s0, s5
	s_sub_f32 s6, s12, s5
	s_delay_alu instid0(SALU_CYCLE_2) | instskip(NEXT) | instid1(SALU_CYCLE_2)
	s_mul_f32 s12, s0, 0x3fb8aa3b
	s_mul_f32 s14, s6, 0x3fb8aa3b
	s_delay_alu instid0(SALU_CYCLE_2)
	s_xor_b32 s15, s12, 0x80000000
	s_rndne_f32 s16, s12
	s_fmamk_f32 s15, s0, 0x3fb8aa3b, s15
	s_cmp_nlt_f32 s0, 0xc2ce8ed0
	s_rndne_f32 s17, s14
	s_sub_f32 s12, s12, s16
	s_fmamk_f32 s15, s0, 0x32a5705f, s15
	s_cselect_b32 vcc_lo, -1, 0
	s_cmp_ngt_f32 s0, 0x42b17218
	s_delay_alu instid0(SALU_CYCLE_1) | instskip(SKIP_2) | instid1(SALU_CYCLE_1)
	s_add_f32 s12, s12, s15
	s_cvt_i32_f32 s15, s16
	s_sub_f32 s16, s14, s17
	v_s_exp_f32 s12, s12
	v_nop
	s_delay_alu instid0(TRANS32_DEP_1) | instskip(SKIP_1) | instid1(VALU_DEP_1)
	v_ldexp_f32 v1, s12, s15
	s_cvt_i32_f32 s12, s17
	v_cndmask_b32_e32 v1, 0, v1, vcc_lo
	s_cselect_b32 vcc_lo, -1, 0
	s_cmp_ge_f32 s0, 0xc1a00000
	s_delay_alu instid0(VALU_DEP_1)
	v_cndmask_b32_e32 v1, 0x7f800000, v1, vcc_lo
	s_cselect_b32 vcc_lo, -1, 0
	s_xor_b32 s0, s14, 0x80000000
	s_cmp_nlt_f32 s6, 0xc2ce8ed0
	s_fmamk_f32 s0, s6, 0x3fb8aa3b, s0
	v_cndmask_b32_e32 v10, 0, v1, vcc_lo
	s_delay_alu instid0(SALU_CYCLE_2) | instskip(NEXT) | instid1(SALU_CYCLE_3)
	s_fmamk_f32 s0, s6, 0x32a5705f, s0
	s_add_f32 s0, s16, s0
	s_delay_alu instid0(SALU_CYCLE_3) | instskip(SKIP_1) | instid1(TRANS32_DEP_1)
	v_s_exp_f32 s0, s0
	v_nop
	v_ldexp_f32 v6, s0, s12
	s_cselect_b32 s0, -1, 0
	s_cmp_ngt_f32 s6, 0x42b17218
	s_delay_alu instid0(VALU_DEP_1) | instskip(SKIP_2) | instid1(VALU_DEP_1)
	v_cndmask_b32_e64 v6, 0, v6, s0
	s_cselect_b32 s0, -1, 0
	s_cmp_ge_f32 s6, 0xc1a00000
	v_cndmask_b32_e64 v8, 0x7f800000, v6, s0
	s_cselect_b32 s0, -1, 0
	v_mov_b32_e32 v6, s13
	s_add_co_i32 s1, s1, -1
	s_add_co_i32 s4, s4, -2
	v_cndmask_b32_e64 v8, 0, v8, s0
	s_cmp_le_i32 s1, s7
	s_mov_b32 s0, s5
	s_wait_loadcnt 0x0
	s_delay_alu instid0(VALU_DEP_1) | instskip(NEXT) | instid1(VALU_DEP_1)
	v_pk_mul_f32 v[6:7], v[6:7], v[8:9] op_sel_hi:[1,0]
	v_pk_fma_f32 v[2:3], v[2:3], v[10:11], v[6:7] op_sel_hi:[1,0,1]
	s_cbranch_scc0 .LBB20_3
	s_branch .LBB20_5
.LBB20_4:
	s_wait_kmcnt 0x0
	v_mov_b32_e32 v2, s14
.LBB20_5:
	v_lshl_add_u64 v[0:1], v[4:5], 2, s[8:9]
	s_wait_loadcnt 0x0
	s_delay_alu instid0(VALU_DEP_2) | instskip(NEXT) | instid1(VALU_DEP_1)
	v_div_scale_f32 v4, null, v2, v2, v3
	v_rcp_f32_e32 v5, v4
	v_nop
	s_delay_alu instid0(TRANS32_DEP_1) | instskip(NEXT) | instid1(VALU_DEP_1)
	v_fma_f32 v6, -v4, v5, 1.0
	v_fmac_f32_e32 v5, v6, v5
	v_div_scale_f32 v6, vcc_lo, v3, v2, v3
	s_delay_alu instid0(VALU_DEP_1) | instskip(NEXT) | instid1(VALU_DEP_1)
	v_mul_f32_e32 v7, v6, v5
	v_fma_f32 v8, -v4, v7, v6
	s_delay_alu instid0(VALU_DEP_1) | instskip(NEXT) | instid1(VALU_DEP_1)
	v_fmac_f32_e32 v7, v8, v5
	v_fma_f32 v4, -v4, v7, v6
	s_delay_alu instid0(VALU_DEP_1) | instskip(NEXT) | instid1(VALU_DEP_1)
	v_div_fmas_f32 v4, v4, v5, v7
	v_div_fixup_f32 v2, v4, v2, v3
	global_store_b32 v[0:1], v2, off
.LBB20_6:
	s_endpgm
	.section	.rodata,"a",@progbits
	.p2align	6, 0x0
	.amdhsa_kernel _ZL33flash_attn_stream_k_fixup_uniformILi128ELi2ELi1EEvPfPK15HIP_vector_typeIfLj2EEiiiiiiS1_IjLj3EES5_S5_
		.amdhsa_group_segment_fixed_size 0
		.amdhsa_private_segment_fixed_size 0
		.amdhsa_kernarg_size 76
		.amdhsa_user_sgpr_count 2
		.amdhsa_user_sgpr_dispatch_ptr 0
		.amdhsa_user_sgpr_queue_ptr 0
		.amdhsa_user_sgpr_kernarg_segment_ptr 1
		.amdhsa_user_sgpr_dispatch_id 0
		.amdhsa_user_sgpr_kernarg_preload_length 0
		.amdhsa_user_sgpr_kernarg_preload_offset 0
		.amdhsa_user_sgpr_private_segment_size 0
		.amdhsa_wavefront_size32 1
		.amdhsa_uses_dynamic_stack 0
		.amdhsa_enable_private_segment 0
		.amdhsa_system_sgpr_workgroup_id_x 1
		.amdhsa_system_sgpr_workgroup_id_y 1
		.amdhsa_system_sgpr_workgroup_id_z 1
		.amdhsa_system_sgpr_workgroup_info 0
		.amdhsa_system_vgpr_workitem_id 0
		.amdhsa_next_free_vgpr 12
		.amdhsa_next_free_sgpr 21
		.amdhsa_named_barrier_count 0
		.amdhsa_reserve_vcc 1
		.amdhsa_float_round_mode_32 0
		.amdhsa_float_round_mode_16_64 0
		.amdhsa_float_denorm_mode_32 3
		.amdhsa_float_denorm_mode_16_64 3
		.amdhsa_fp16_overflow 0
		.amdhsa_memory_ordered 1
		.amdhsa_forward_progress 1
		.amdhsa_inst_pref_size 9
		.amdhsa_round_robin_scheduling 0
		.amdhsa_exception_fp_ieee_invalid_op 0
		.amdhsa_exception_fp_denorm_src 0
		.amdhsa_exception_fp_ieee_div_zero 0
		.amdhsa_exception_fp_ieee_overflow 0
		.amdhsa_exception_fp_ieee_underflow 0
		.amdhsa_exception_fp_ieee_inexact 0
		.amdhsa_exception_int_div_zero 0
	.end_amdhsa_kernel
	.section	.text._ZL33flash_attn_stream_k_fixup_uniformILi128ELi2ELi1EEvPfPK15HIP_vector_typeIfLj2EEiiiiiiS1_IjLj3EES5_S5_,"axG",@progbits,_ZL33flash_attn_stream_k_fixup_uniformILi128ELi2ELi1EEvPfPK15HIP_vector_typeIfLj2EEiiiiiiS1_IjLj3EES5_S5_,comdat
.Lfunc_end20:
	.size	_ZL33flash_attn_stream_k_fixup_uniformILi128ELi2ELi1EEvPfPK15HIP_vector_typeIfLj2EEiiiiiiS1_IjLj3EES5_S5_, .Lfunc_end20-_ZL33flash_attn_stream_k_fixup_uniformILi128ELi2ELi1EEvPfPK15HIP_vector_typeIfLj2EEiiiiiiS1_IjLj3EES5_S5_
                                        ; -- End function
	.set _ZL33flash_attn_stream_k_fixup_uniformILi128ELi2ELi1EEvPfPK15HIP_vector_typeIfLj2EEiiiiiiS1_IjLj3EES5_S5_.num_vgpr, 12
	.set _ZL33flash_attn_stream_k_fixup_uniformILi128ELi2ELi1EEvPfPK15HIP_vector_typeIfLj2EEiiiiiiS1_IjLj3EES5_S5_.num_agpr, 0
	.set _ZL33flash_attn_stream_k_fixup_uniformILi128ELi2ELi1EEvPfPK15HIP_vector_typeIfLj2EEiiiiiiS1_IjLj3EES5_S5_.numbered_sgpr, 21
	.set _ZL33flash_attn_stream_k_fixup_uniformILi128ELi2ELi1EEvPfPK15HIP_vector_typeIfLj2EEiiiiiiS1_IjLj3EES5_S5_.num_named_barrier, 0
	.set _ZL33flash_attn_stream_k_fixup_uniformILi128ELi2ELi1EEvPfPK15HIP_vector_typeIfLj2EEiiiiiiS1_IjLj3EES5_S5_.private_seg_size, 0
	.set _ZL33flash_attn_stream_k_fixup_uniformILi128ELi2ELi1EEvPfPK15HIP_vector_typeIfLj2EEiiiiiiS1_IjLj3EES5_S5_.uses_vcc, 1
	.set _ZL33flash_attn_stream_k_fixup_uniformILi128ELi2ELi1EEvPfPK15HIP_vector_typeIfLj2EEiiiiiiS1_IjLj3EES5_S5_.uses_flat_scratch, 0
	.set _ZL33flash_attn_stream_k_fixup_uniformILi128ELi2ELi1EEvPfPK15HIP_vector_typeIfLj2EEiiiiiiS1_IjLj3EES5_S5_.has_dyn_sized_stack, 0
	.set _ZL33flash_attn_stream_k_fixup_uniformILi128ELi2ELi1EEvPfPK15HIP_vector_typeIfLj2EEiiiiiiS1_IjLj3EES5_S5_.has_recursion, 0
	.set _ZL33flash_attn_stream_k_fixup_uniformILi128ELi2ELi1EEvPfPK15HIP_vector_typeIfLj2EEiiiiiiS1_IjLj3EES5_S5_.has_indirect_call, 0
	.section	.AMDGPU.csdata,"",@progbits
; Kernel info:
; codeLenInByte = 1080
; TotalNumSgprs: 23
; NumVgprs: 12
; ScratchSize: 0
; MemoryBound: 0
; FloatMode: 240
; IeeeMode: 1
; LDSByteSize: 0 bytes/workgroup (compile time only)
; SGPRBlocks: 0
; VGPRBlocks: 0
; NumSGPRsForWavesPerEU: 23
; NumVGPRsForWavesPerEU: 12
; NamedBarCnt: 0
; Occupancy: 16
; WaveLimiterHint : 0
; COMPUTE_PGM_RSRC2:SCRATCH_EN: 0
; COMPUTE_PGM_RSRC2:USER_SGPR: 2
; COMPUTE_PGM_RSRC2:TRAP_HANDLER: 0
; COMPUTE_PGM_RSRC2:TGID_X_EN: 1
; COMPUTE_PGM_RSRC2:TGID_Y_EN: 1
; COMPUTE_PGM_RSRC2:TGID_Z_EN: 1
; COMPUTE_PGM_RSRC2:TIDIG_COMP_CNT: 0
	.section	.text._ZL33flash_attn_stream_k_fixup_generalILi128ELi2ELi1EEvPfPK15HIP_vector_typeIfLj2EEiiiiS1_IjLj3EES5_S5_S5_,"axG",@progbits,_ZL33flash_attn_stream_k_fixup_generalILi128ELi2ELi1EEvPfPK15HIP_vector_typeIfLj2EEiiiiS1_IjLj3EES5_S5_S5_,comdat
	.globl	_ZL33flash_attn_stream_k_fixup_generalILi128ELi2ELi1EEvPfPK15HIP_vector_typeIfLj2EEiiiiS1_IjLj3EES5_S5_S5_ ; -- Begin function _ZL33flash_attn_stream_k_fixup_generalILi128ELi2ELi1EEvPfPK15HIP_vector_typeIfLj2EEiiiiS1_IjLj3EES5_S5_S5_
	.p2align	8
	.type	_ZL33flash_attn_stream_k_fixup_generalILi128ELi2ELi1EEvPfPK15HIP_vector_typeIfLj2EEiiiiS1_IjLj3EES5_S5_S5_,@function
_ZL33flash_attn_stream_k_fixup_generalILi128ELi2ELi1EEvPfPK15HIP_vector_typeIfLj2EEiiiiS1_IjLj3EES5_S5_S5_: ; @_ZL33flash_attn_stream_k_fixup_generalILi128ELi2ELi1EEvPfPK15HIP_vector_typeIfLj2EEiiiiS1_IjLj3EES5_S5_S5_
; %bb.0:
	s_clause 0x1
	s_load_b128 s[4:7], s[0:1], 0x10
	s_load_b32 s16, s[0:1], 0x50
	s_bfe_u32 s2, ttmp6, 0x4000c
	s_and_b32 s3, ttmp6, 15
	s_add_co_i32 s2, s2, 1
	s_getreg_b32 s15, hwreg(HW_REG_IB_STS2, 6, 4)
	s_mul_i32 s2, ttmp9, s2
	s_mov_b32 s17, 0
	s_add_co_i32 s3, s3, s2
	s_cmp_eq_u32 s15, 0
	s_cselect_b32 s2, ttmp9, s3
	s_delay_alu instid0(SALU_CYCLE_1) | instskip(SKIP_3) | instid1(SALU_CYCLE_1)
	s_ashr_i32 s3, s2, 31
	s_wait_kmcnt 0x0
	s_ashr_i32 s19, s7, 31
	s_mov_b32 s18, s7
	s_mul_u64 s[8:9], s[18:19], s[2:3]
	s_delay_alu instid0(SALU_CYCLE_1) | instskip(NEXT) | instid1(SALU_CYCLE_1)
	s_and_b64 s[10:11], s[8:9], 0xffffffff00000000
	s_cmp_lg_u64 s[10:11], 0
	s_cbranch_scc0 .LBB21_21
; %bb.1:
	s_add_nc_u64 s[10:11], s[16:17], 0
	s_mov_b32 s23, s17
	s_xor_b64 s[10:11], s[10:11], 0
	s_mov_b32 s27, s17
	s_cvt_f32_u32 s3, s10
	s_cvt_f32_u32 s7, s11
	s_sub_nc_u64 s[20:21], 0, s[10:11]
	s_delay_alu instid0(SALU_CYCLE_2) | instskip(NEXT) | instid1(SALU_CYCLE_3)
	s_fmamk_f32 s3, s7, 0x4f800000, s3
	v_s_rcp_f32 s3, s3
	s_delay_alu instid0(TRANS32_DEP_1) | instskip(NEXT) | instid1(SALU_CYCLE_3)
	s_mul_f32 s3, s3, 0x5f7ffffc
	s_mul_f32 s7, s3, 0x2f800000
	s_delay_alu instid0(SALU_CYCLE_3) | instskip(NEXT) | instid1(SALU_CYCLE_3)
	s_trunc_f32 s7, s7
	s_fmamk_f32 s3, s7, 0xcf800000, s3
	s_cvt_u32_f32 s13, s7
	s_delay_alu instid0(SALU_CYCLE_2) | instskip(NEXT) | instid1(SALU_CYCLE_3)
	s_cvt_u32_f32 s12, s3
	s_mul_u64 s[24:25], s[20:21], s[12:13]
	s_delay_alu instid0(SALU_CYCLE_1)
	s_mul_hi_u32 s29, s12, s25
	s_mul_i32 s28, s12, s25
	s_mul_hi_u32 s22, s12, s24
	s_mul_i32 s7, s13, s24
	s_add_nc_u64 s[22:23], s[22:23], s[28:29]
	s_mul_hi_u32 s3, s13, s24
	s_mul_hi_u32 s14, s13, s25
	s_add_co_u32 s7, s22, s7
	s_add_co_ci_u32 s26, s23, s3
	s_mul_i32 s24, s13, s25
	s_add_co_ci_u32 s25, s14, 0
	s_delay_alu instid0(SALU_CYCLE_1) | instskip(SKIP_3) | instid1(SALU_CYCLE_1)
	s_add_nc_u64 s[22:23], s[26:27], s[24:25]
	s_mov_b32 s25, s17
	s_add_co_u32 s12, s12, s22
	s_cselect_b32 s3, -1, 0
	s_cmp_lg_u32 s3, 0
	s_add_co_ci_u32 s13, s13, s23
	s_mov_b32 s23, s17
	s_mul_u64 s[20:21], s[20:21], s[12:13]
	s_delay_alu instid0(SALU_CYCLE_1)
	s_mul_hi_u32 s27, s12, s21
	s_mul_i32 s26, s12, s21
	s_mul_hi_u32 s22, s12, s20
	s_mul_i32 s7, s13, s20
	s_add_nc_u64 s[22:23], s[22:23], s[26:27]
	s_mul_hi_u32 s3, s13, s20
	s_mul_hi_u32 s14, s13, s21
	s_add_co_u32 s7, s22, s7
	s_add_co_ci_u32 s24, s23, s3
	s_mul_i32 s20, s13, s21
	s_add_co_ci_u32 s21, s14, 0
	s_mov_b32 s23, s17
	s_add_nc_u64 s[20:21], s[24:25], s[20:21]
	s_delay_alu instid0(SALU_CYCLE_1) | instskip(SKIP_1) | instid1(SALU_CYCLE_1)
	s_add_co_u32 s3, s12, s20
	s_cselect_b32 s7, -1, 0
	s_cmp_lg_u32 s7, 0
	s_add_co_ci_u32 s7, s13, s21
	s_ashr_i32 s12, s9, 31
	s_delay_alu instid0(SALU_CYCLE_1) | instskip(NEXT) | instid1(SALU_CYCLE_1)
	s_mov_b32 s13, s12
	s_add_nc_u64 s[20:21], s[8:9], s[12:13]
	s_delay_alu instid0(SALU_CYCLE_1) | instskip(NEXT) | instid1(SALU_CYCLE_1)
	s_xor_b64 s[20:21], s[20:21], s[12:13]
	s_mul_hi_u32 s27, s20, s7
	s_mul_i32 s26, s20, s7
	s_mul_hi_u32 s22, s20, s3
	s_mul_hi_u32 s14, s21, s3
	s_mul_i32 s3, s21, s3
	s_add_nc_u64 s[22:23], s[22:23], s[26:27]
	s_mul_hi_u32 s9, s21, s7
	s_add_co_u32 s3, s22, s3
	s_add_co_ci_u32 s24, s23, s14
	s_mul_i32 s26, s21, s7
	s_add_co_ci_u32 s27, s9, 0
	s_delay_alu instid0(SALU_CYCLE_1) | instskip(NEXT) | instid1(SALU_CYCLE_1)
	s_add_nc_u64 s[22:23], s[24:25], s[26:27]
	s_and_b64 s[24:25], s[22:23], 0xffffffff00000000
	s_delay_alu instid0(SALU_CYCLE_1) | instskip(NEXT) | instid1(SALU_CYCLE_1)
	s_or_b32 s24, s24, s22
	s_mul_u64 s[22:23], s[10:11], s[24:25]
	s_add_nc_u64 s[26:27], s[24:25], 1
	s_sub_co_u32 s3, s20, s22
	s_cselect_b32 s7, -1, 0
	s_sub_co_i32 s9, s21, s23
	s_cmp_lg_u32 s7, 0
	s_add_nc_u64 s[28:29], s[24:25], 2
	s_sub_co_ci_u32 s9, s9, s11
	s_sub_co_u32 s14, s3, s10
	s_cselect_b32 s20, -1, 0
	s_delay_alu instid0(SALU_CYCLE_1) | instskip(SKIP_1) | instid1(SALU_CYCLE_1)
	s_cmp_lg_u32 s20, 0
	s_sub_co_ci_u32 s9, s9, 0
	s_cmp_ge_u32 s9, s11
	s_cselect_b32 s20, -1, 0
	s_cmp_ge_u32 s14, s10
	s_cselect_b32 s14, -1, 0
	s_cmp_eq_u32 s9, s11
	s_cselect_b32 s9, s14, s20
	s_delay_alu instid0(SALU_CYCLE_1) | instskip(SKIP_4) | instid1(SALU_CYCLE_1)
	s_cmp_lg_u32 s9, 0
	s_cselect_b32 s9, s28, s26
	s_cselect_b32 s14, s29, s27
	s_cmp_lg_u32 s7, 0
	s_sub_co_ci_u32 s7, s21, s23
	s_cmp_ge_u32 s7, s11
	s_cselect_b32 s20, -1, 0
	s_cmp_ge_u32 s3, s10
	s_cselect_b32 s3, -1, 0
	s_cmp_eq_u32 s7, s11
	s_cselect_b32 s3, s3, s20
	s_delay_alu instid0(SALU_CYCLE_1) | instskip(SKIP_4) | instid1(SALU_CYCLE_1)
	s_cmp_lg_u32 s3, 0
	s_mov_b32 s3, s17
	s_cselect_b32 s11, s14, s25
	s_cselect_b32 s10, s9, s24
	s_xor_b64 s[12:13], s[12:13], 0
	s_xor_b64 s[10:11], s[10:11], s[12:13]
	s_delay_alu instid0(SALU_CYCLE_1)
	s_sub_nc_u64 s[20:21], s[10:11], s[12:13]
	s_and_not1_b32 vcc_lo, exec_lo, s3
	s_cbranch_vccnz .LBB21_3
.LBB21_2:
	v_cvt_f32_u32_e32 v1, s16
	s_sub_co_i32 s7, 0, s16
	s_mov_b32 s21, 0
	s_delay_alu instid0(VALU_DEP_1) | instskip(SKIP_1) | instid1(TRANS32_DEP_1)
	v_rcp_iflag_f32_e32 v1, v1
	v_nop
	v_mul_f32_e32 v1, 0x4f7ffffe, v1
	s_delay_alu instid0(VALU_DEP_1) | instskip(NEXT) | instid1(VALU_DEP_1)
	v_cvt_u32_f32_e32 v1, v1
	v_readfirstlane_b32 s3, v1
	s_mul_i32 s7, s7, s3
	s_delay_alu instid0(SALU_CYCLE_1) | instskip(NEXT) | instid1(SALU_CYCLE_1)
	s_mul_hi_u32 s7, s3, s7
	s_add_co_i32 s3, s3, s7
	s_delay_alu instid0(SALU_CYCLE_1) | instskip(NEXT) | instid1(SALU_CYCLE_1)
	s_mul_hi_u32 s3, s8, s3
	s_mul_i32 s7, s3, s16
	s_delay_alu instid0(SALU_CYCLE_1)
	s_sub_co_i32 s7, s8, s7
	s_add_co_i32 s8, s3, 1
	s_sub_co_i32 s9, s7, s16
	s_cmp_ge_u32 s7, s16
	s_cselect_b32 s3, s8, s3
	s_cselect_b32 s7, s9, s7
	s_add_co_i32 s8, s3, 1
	s_cmp_ge_u32 s7, s16
	s_cselect_b32 s20, s8, s3
.LBB21_3:
	s_add_co_i32 s8, s2, 1
	s_delay_alu instid0(SALU_CYCLE_1) | instskip(NEXT) | instid1(SALU_CYCLE_1)
	s_ashr_i32 s9, s8, 31
	s_mul_u64 s[8:9], s[18:19], s[8:9]
	s_delay_alu instid0(SALU_CYCLE_1) | instskip(NEXT) | instid1(SALU_CYCLE_1)
	s_and_b64 s[10:11], s[8:9], 0xffffffff00000000
	s_cmp_lg_u64 s[10:11], 0
	s_cbranch_scc0 .LBB21_22
; %bb.4:
	s_add_nc_u64 s[10:11], s[16:17], 0
	s_delay_alu instid0(SALU_CYCLE_1) | instskip(SKIP_4) | instid1(SALU_CYCLE_2)
	s_xor_b64 s[12:13], s[10:11], 0
	s_mov_b32 s11, 0
	s_cvt_f32_u32 s3, s12
	s_cvt_f32_u32 s7, s13
	s_sub_nc_u64 s[24:25], 0, s[12:13]
	s_fmamk_f32 s3, s7, 0x4f800000, s3
	s_delay_alu instid0(SALU_CYCLE_3) | instskip(NEXT) | instid1(TRANS32_DEP_1)
	v_s_rcp_f32 s3, s3
	s_mul_f32 s3, s3, 0x5f7ffffc
	s_delay_alu instid0(SALU_CYCLE_3) | instskip(NEXT) | instid1(SALU_CYCLE_3)
	s_mul_f32 s7, s3, 0x2f800000
	s_trunc_f32 s7, s7
	s_delay_alu instid0(SALU_CYCLE_3) | instskip(SKIP_1) | instid1(SALU_CYCLE_2)
	s_fmamk_f32 s3, s7, 0xcf800000, s3
	s_cvt_u32_f32 s23, s7
	s_cvt_u32_f32 s22, s3
	s_delay_alu instid0(SALU_CYCLE_3) | instskip(NEXT) | instid1(SALU_CYCLE_1)
	s_mul_u64 s[26:27], s[24:25], s[22:23]
	s_mul_hi_u32 s29, s22, s27
	s_mul_i32 s28, s22, s27
	s_mul_hi_u32 s10, s22, s26
	s_mul_i32 s7, s23, s26
	s_add_nc_u64 s[28:29], s[10:11], s[28:29]
	s_mul_hi_u32 s3, s23, s26
	s_mul_hi_u32 s14, s23, s27
	s_add_co_u32 s7, s28, s7
	s_add_co_ci_u32 s10, s29, s3
	s_mul_i32 s26, s23, s27
	s_add_co_ci_u32 s27, s14, 0
	s_delay_alu instid0(SALU_CYCLE_1) | instskip(NEXT) | instid1(SALU_CYCLE_1)
	s_add_nc_u64 s[26:27], s[10:11], s[26:27]
	s_add_co_u32 s22, s22, s26
	s_cselect_b32 s3, -1, 0
	s_delay_alu instid0(SALU_CYCLE_1) | instskip(SKIP_1) | instid1(SALU_CYCLE_1)
	s_cmp_lg_u32 s3, 0
	s_add_co_ci_u32 s23, s23, s27
	s_mul_u64 s[24:25], s[24:25], s[22:23]
	s_delay_alu instid0(SALU_CYCLE_1)
	s_mul_hi_u32 s27, s22, s25
	s_mul_i32 s26, s22, s25
	s_mul_hi_u32 s10, s22, s24
	s_mul_i32 s7, s23, s24
	s_add_nc_u64 s[26:27], s[10:11], s[26:27]
	s_mul_hi_u32 s3, s23, s24
	s_mul_hi_u32 s14, s23, s25
	s_add_co_u32 s7, s26, s7
	s_add_co_ci_u32 s10, s27, s3
	s_mul_i32 s24, s23, s25
	s_add_co_ci_u32 s25, s14, 0
	s_delay_alu instid0(SALU_CYCLE_1) | instskip(NEXT) | instid1(SALU_CYCLE_1)
	s_add_nc_u64 s[24:25], s[10:11], s[24:25]
	s_add_co_u32 s3, s22, s24
	s_cselect_b32 s7, -1, 0
	s_delay_alu instid0(SALU_CYCLE_1) | instskip(SKIP_2) | instid1(SALU_CYCLE_1)
	s_cmp_lg_u32 s7, 0
	s_add_co_ci_u32 s7, s23, s25
	s_ashr_i32 s22, s9, 31
	s_mov_b32 s23, s22
	s_delay_alu instid0(SALU_CYCLE_1) | instskip(NEXT) | instid1(SALU_CYCLE_1)
	s_add_nc_u64 s[24:25], s[8:9], s[22:23]
	s_xor_b64 s[24:25], s[24:25], s[22:23]
	s_delay_alu instid0(SALU_CYCLE_1)
	s_mul_hi_u32 s27, s24, s7
	s_mul_i32 s26, s24, s7
	s_mul_hi_u32 s10, s24, s3
	s_mul_hi_u32 s14, s25, s3
	s_mul_i32 s3, s25, s3
	s_add_nc_u64 s[26:27], s[10:11], s[26:27]
	s_mul_hi_u32 s9, s25, s7
	s_add_co_u32 s3, s26, s3
	s_add_co_ci_u32 s10, s27, s14
	s_mul_i32 s28, s25, s7
	s_add_co_ci_u32 s29, s9, 0
	s_delay_alu instid0(SALU_CYCLE_1) | instskip(NEXT) | instid1(SALU_CYCLE_1)
	s_add_nc_u64 s[26:27], s[10:11], s[28:29]
	s_and_b64 s[28:29], s[26:27], 0xffffffff00000000
	s_delay_alu instid0(SALU_CYCLE_1) | instskip(NEXT) | instid1(SALU_CYCLE_1)
	s_or_b32 s28, s28, s26
	s_mul_u64 s[26:27], s[12:13], s[28:29]
	s_add_nc_u64 s[30:31], s[28:29], 1
	s_sub_co_u32 s3, s24, s26
	s_cselect_b32 s7, -1, 0
	s_sub_co_i32 s9, s25, s27
	s_cmp_lg_u32 s7, 0
	s_add_nc_u64 s[34:35], s[28:29], 2
	s_sub_co_ci_u32 s9, s9, s13
	s_sub_co_u32 s10, s3, s12
	s_cselect_b32 s14, -1, 0
	s_delay_alu instid0(SALU_CYCLE_1) | instskip(SKIP_1) | instid1(SALU_CYCLE_1)
	s_cmp_lg_u32 s14, 0
	s_sub_co_ci_u32 s9, s9, 0
	s_cmp_ge_u32 s9, s13
	s_cselect_b32 s14, -1, 0
	s_cmp_ge_u32 s10, s12
	s_cselect_b32 s10, -1, 0
	s_cmp_eq_u32 s9, s13
	s_cselect_b32 s9, s10, s14
	s_delay_alu instid0(SALU_CYCLE_1) | instskip(SKIP_4) | instid1(SALU_CYCLE_1)
	s_cmp_lg_u32 s9, 0
	s_cselect_b32 s9, s34, s30
	s_cselect_b32 s10, s35, s31
	s_cmp_lg_u32 s7, 0
	s_sub_co_ci_u32 s7, s25, s27
	s_cmp_ge_u32 s7, s13
	s_cselect_b32 s14, -1, 0
	s_cmp_ge_u32 s3, s12
	s_cselect_b32 s3, -1, 0
	s_cmp_eq_u32 s7, s13
	s_cselect_b32 s3, s3, s14
	s_delay_alu instid0(SALU_CYCLE_1) | instskip(SKIP_3) | instid1(SALU_CYCLE_1)
	s_cmp_lg_u32 s3, 0
	s_cselect_b32 s13, s10, s29
	s_cselect_b32 s12, s9, s28
	s_xor_b64 s[22:23], s[22:23], 0
	s_xor_b64 s[12:13], s[12:13], s[22:23]
	s_delay_alu instid0(SALU_CYCLE_1)
	s_sub_nc_u64 s[24:25], s[12:13], s[22:23]
	s_load_b96 s[12:14], s[0:1], 0x44
	s_cbranch_execnz .LBB21_6
.LBB21_5:
	v_cvt_f32_u32_e32 v1, s16
	s_sub_co_i32 s7, 0, s16
	s_delay_alu instid0(VALU_DEP_1) | instskip(SKIP_1) | instid1(TRANS32_DEP_1)
	v_rcp_iflag_f32_e32 v1, v1
	v_nop
	v_mul_f32_e32 v1, 0x4f7ffffe, v1
	s_delay_alu instid0(VALU_DEP_1) | instskip(NEXT) | instid1(VALU_DEP_1)
	v_cvt_u32_f32_e32 v1, v1
	v_readfirstlane_b32 s3, v1
	s_mul_i32 s7, s7, s3
	s_delay_alu instid0(SALU_CYCLE_1) | instskip(NEXT) | instid1(SALU_CYCLE_1)
	s_mul_hi_u32 s7, s3, s7
	s_add_co_i32 s3, s3, s7
	s_delay_alu instid0(SALU_CYCLE_1) | instskip(NEXT) | instid1(SALU_CYCLE_1)
	s_mul_hi_u32 s3, s8, s3
	s_mul_i32 s7, s3, s16
	s_delay_alu instid0(SALU_CYCLE_1)
	s_sub_co_i32 s7, s8, s7
	s_add_co_i32 s8, s3, 1
	s_sub_co_i32 s9, s7, s16
	s_cmp_ge_u32 s7, s16
	s_cselect_b32 s3, s8, s3
	s_cselect_b32 s7, s9, s7
	s_add_co_i32 s8, s3, 1
	s_cmp_ge_u32 s7, s16
	s_cselect_b32 s24, s8, s3
.LBB21_6:
	s_delay_alu instid0(SALU_CYCLE_1)
	s_cmp_eq_u32 s20, s24
	s_mov_b64 s[8:9], 0xffffffff
	s_cselect_b32 s3, -1, 0
	s_and_b64 s[8:9], s[20:21], s[8:9]
	s_mov_b32 s23, 0
	s_wait_kmcnt 0x0
	s_mov_b32 s22, s12
	s_mov_b32 s25, s23
	s_mul_u64 s[10:11], s[8:9], s[22:23]
	s_delay_alu instid0(SALU_CYCLE_1) | instskip(SKIP_2) | instid1(SALU_CYCLE_1)
	s_add_co_i32 s7, s11, s20
	s_mul_u64 s[10:11], s[24:25], s[22:23]
	s_lshr_b32 s12, s7, s13
	s_mul_i32 s7, s12, s14
	s_delay_alu instid0(SALU_CYCLE_1) | instskip(SKIP_2) | instid1(SALU_CYCLE_1)
	s_cmp_eq_u32 s7, s20
	s_cselect_b32 s7, -1, 0
	s_add_co_i32 s10, s11, s24
	s_lshr_b32 s10, s10, s13
	s_delay_alu instid0(SALU_CYCLE_1)
	s_cmp_eq_u32 s12, s10
	s_mul_i32 s10, s10, s14
	s_cselect_b32 s11, -1, 0
	s_cmp_lg_u32 s10, s24
	s_cselect_b32 s10, -1, 0
	s_or_b32 s3, s3, s7
	s_and_b32 s10, s11, s10
	s_delay_alu instid0(SALU_CYCLE_1) | instskip(NEXT) | instid1(SALU_CYCLE_1)
	s_or_b32 s3, s3, s10
	s_and_b32 vcc_lo, exec_lo, s3
	s_cbranch_vccnz .LBB21_24
; %bb.7:
	s_load_b256 s[24:31], s[0:1], 0x20
	s_bfe_u32 s7, ttmp6, 0x40014
	s_bfe_u32 s33, ttmp6, 0x40010
	s_lshr_b32 s3, ttmp7, 16
	s_add_co_i32 s7, s7, 1
	s_and_b32 s21, ttmp7, 0xffff
	s_add_co_i32 s33, s33, 1
	s_bfe_u32 s10, ttmp6, 0x40008
	s_mul_i32 s7, s3, s7
	s_bfe_u32 s34, ttmp6, 0x40004
	s_mul_i32 s33, s21, s33
	s_mov_b32 s11, s23
	s_add_co_i32 s7, s10, s7
	s_add_co_i32 s34, s34, s33
	s_cmp_eq_u32 s15, 0
	s_cselect_b32 s15, s21, s34
	s_cselect_b32 s3, s3, s7
	s_wait_kmcnt 0x0
	s_mov_b32 s10, s24
	s_delay_alu instid0(SALU_CYCLE_1) | instskip(SKIP_2) | instid1(SALU_CYCLE_1)
	s_mul_u64 s[8:9], s[8:9], s[10:11]
	s_load_b32 s8, s[0:1], 0x40
	s_add_co_i32 s7, s9, s20
	s_lshr_b32 s7, s7, s25
	s_delay_alu instid0(SALU_CYCLE_1) | instskip(NEXT) | instid1(SALU_CYCLE_1)
	s_mul_i32 s9, s7, s26
	s_sub_co_i32 s9, s20, s9
	s_delay_alu instid0(SALU_CYCLE_1) | instskip(NEXT) | instid1(SALU_CYCLE_1)
	s_mul_hi_u32 s10, s9, s27
	s_add_co_i32 s10, s9, s10
	s_delay_alu instid0(SALU_CYCLE_1) | instskip(NEXT) | instid1(SALU_CYCLE_1)
	s_lshr_b32 s21, s10, s28
	s_mul_i32 s10, s21, s29
	s_delay_alu instid0(SALU_CYCLE_1) | instskip(NEXT) | instid1(SALU_CYCLE_1)
	s_sub_co_i32 s10, s9, s10
	s_mul_hi_u32 s9, s10, s30
	s_delay_alu instid0(SALU_CYCLE_1) | instskip(NEXT) | instid1(SALU_CYCLE_1)
	s_add_co_i32 s9, s10, s9
	s_lshr_b32 s24, s9, s31
	s_mov_b32 s9, s23
	s_wait_kmcnt 0x0
	s_mul_i32 s8, s24, s8
	s_delay_alu instid0(SALU_CYCLE_1) | instskip(NEXT) | instid1(SALU_CYCLE_1)
	s_sub_co_i32 s8, s10, s8
	s_mul_u64 s[10:11], s[8:9], s[22:23]
	s_delay_alu instid0(SALU_CYCLE_1) | instskip(NEXT) | instid1(SALU_CYCLE_1)
	s_add_co_i32 s8, s8, s11
	s_lshr_b32 s25, s8, s13
	s_delay_alu instid0(SALU_CYCLE_1) | instskip(NEXT) | instid1(SALU_CYCLE_1)
	s_lshl_b32 s8, s25, 1
	s_add_co_i32 s8, s8, s15
	s_delay_alu instid0(SALU_CYCLE_1) | instskip(SKIP_2) | instid1(SALU_CYCLE_1)
	s_cmp_lt_i32 s8, s4
	s_cselect_b32 s8, -1, 0
	s_add_co_i32 s9, s24, s3
	s_cmp_lt_i32 s9, s6
	s_cselect_b32 s9, -1, 0
	s_delay_alu instid0(SALU_CYCLE_1) | instskip(NEXT) | instid1(SALU_CYCLE_1)
	s_and_b32 s8, s8, s9
	s_and_not1_b32 vcc_lo, exec_lo, s8
	s_cbranch_vccnz .LBB21_24
; %bb.8:
	s_mul_i32 s4, s7, s4
	s_load_b128 s[8:11], s[0:1], 0x0
	s_wait_xcnt 0x0
	s_add_co_i32 s0, s4, s15
	s_mul_i32 s21, s21, s6
	s_mul_i32 s0, s0, s5
	;; [unrolled: 1-line block ×3, first 2 shown]
	s_add_co_i32 s0, s0, s3
	s_lshl_b32 s1, s1, 8
	s_add_co_i32 s0, s0, s21
	s_add_co_i32 s15, s15, s3
	;; [unrolled: 1-line block ×3, first 2 shown]
	v_lshl_or_b32 v6, s15, 7, v0
	s_lshl_b32 s0, s0, 7
	v_cvt_f32_u32_e32 v4, s16
	s_add_co_i32 s1, s1, s0
	s_lshl_b32 s24, s16, 3
	v_or_b32_e32 v2, s1, v0
	s_add_nc_u64 s[0:1], s[16:17], 0
	v_rcp_iflag_f32_e32 v4, v4
	s_xor_b64 s[6:7], s[0:1], 0
	s_lshl_b32 s0, s2, 1
	s_cvt_f32_u32 s3, s6
	s_add_co_i32 s0, s0, s15
	s_cvt_f32_u32 s4, s7
	s_ashr_i32 s1, s0, 31
	s_mov_b32 s25, 0
	s_lshl_b64 s[0:1], s[0:1], 3
	s_fmamk_f32 s3, s4, 0x4f800000, s3
	s_wait_kmcnt 0x0
	s_add_nc_u64 s[0:1], s[10:11], s[0:1]
	s_add_co_i32 s36, s2, -1
	s_load_b64 s[28:29], s[0:1], 0x0
	v_s_rcp_f32 s3, s3
	s_wait_xcnt 0x0
	s_lshl_b64 s[0:1], s[24:25], 2
	s_sub_nc_u64 s[34:35], 0, s[6:7]
	s_add_nc_u64 s[26:27], s[10:11], s[0:1]
	v_mul_f32_e32 v4, 0x4f7ffffe, v4
	s_delay_alu instid0(TRANS32_DEP_1) | instskip(NEXT) | instid1(VALU_DEP_1)
	s_mul_f32 s3, s3, 0x5f7ffffc
	v_cvt_u32_f32_e32 v7, v4
	s_delay_alu instid0(SALU_CYCLE_2) | instskip(NEXT) | instid1(SALU_CYCLE_3)
	s_mul_f32 s4, s3, 0x2f800000
	s_trunc_f32 s4, s4
	s_wait_kmcnt 0x0
	v_mov_b32_e32 v0, s29
	global_load_b32 v1, v2, s[8:9] scale_offset
	v_ashrrev_i32_e32 v3, 31, v2
	s_fmamk_f32 s0, s4, 0xcf800000, s3
	s_cvt_u32_f32 s31, s4
	s_wait_xcnt 0x0
	s_delay_alu instid0(VALU_DEP_1)
	v_lshl_add_u64 v[2:3], v[2:3], 2, s[8:9]
	s_cvt_u32_f32 s30, s0
	s_mov_b64 s[8:9], 0xffffffff
.LBB21_9:                               ; =>This Inner Loop Header: Depth=1
	s_ashr_i32 s37, s36, 31
                                        ; implicit-def: $sgpr40_sgpr41
	s_delay_alu instid0(SALU_CYCLE_1) | instskip(NEXT) | instid1(SALU_CYCLE_1)
	s_mul_u64 s[0:1], s[36:37], s[18:19]
	s_and_b64 s[2:3], s[0:1], 0xffffffff00000000
	s_delay_alu instid0(SALU_CYCLE_1)
	s_cmp_lg_u64 s[2:3], 0
	s_mov_b32 s2, -1
	s_cbranch_scc0 .LBB21_11
; %bb.10:                               ;   in Loop: Header=BB21_9 Depth=1
	s_mul_u64 s[2:3], s[34:35], s[30:31]
	s_delay_alu instid0(SALU_CYCLE_1)
	s_mul_hi_u32 s5, s30, s3
	s_mul_i32 s4, s30, s3
	s_mul_hi_u32 s24, s30, s2
	s_mul_hi_u32 s17, s31, s2
	s_add_nc_u64 s[4:5], s[24:25], s[4:5]
	s_mul_i32 s2, s31, s2
	s_mul_hi_u32 s21, s31, s3
	s_add_co_u32 s2, s4, s2
	s_add_co_ci_u32 s24, s5, s17
	s_add_co_ci_u32 s5, s21, 0
	s_mul_i32 s4, s31, s3
	s_delay_alu instid0(SALU_CYCLE_1) | instskip(NEXT) | instid1(SALU_CYCLE_1)
	s_add_nc_u64 s[2:3], s[24:25], s[4:5]
	s_add_co_u32 s2, s30, s2
	s_cselect_b32 s4, -1, 0
	s_delay_alu instid0(SALU_CYCLE_1) | instskip(SKIP_1) | instid1(SALU_CYCLE_1)
	s_cmp_lg_u32 s4, 0
	s_add_co_ci_u32 s3, s31, s3
	s_mul_u64 s[4:5], s[34:35], s[2:3]
	s_delay_alu instid0(SALU_CYCLE_1)
	s_mul_hi_u32 s39, s2, s5
	s_mul_i32 s38, s2, s5
	s_mul_hi_u32 s24, s2, s4
	s_mul_hi_u32 s17, s3, s4
	s_mul_i32 s4, s3, s4
	s_add_nc_u64 s[38:39], s[24:25], s[38:39]
	s_mul_hi_u32 s21, s3, s5
	s_add_co_u32 s4, s38, s4
	s_add_co_ci_u32 s24, s39, s17
	s_mul_i32 s4, s3, s5
	s_add_co_ci_u32 s5, s21, 0
	s_delay_alu instid0(SALU_CYCLE_1) | instskip(NEXT) | instid1(SALU_CYCLE_1)
	s_add_nc_u64 s[4:5], s[24:25], s[4:5]
	s_add_co_u32 s17, s2, s4
	s_cselect_b32 s2, -1, 0
	s_delay_alu instid0(SALU_CYCLE_1) | instskip(SKIP_2) | instid1(SALU_CYCLE_1)
	s_cmp_lg_u32 s2, 0
	s_add_co_ci_u32 s21, s3, s5
	s_ashr_i32 s2, s1, 31
	s_mov_b32 s3, s2
	s_delay_alu instid0(SALU_CYCLE_1) | instskip(NEXT) | instid1(SALU_CYCLE_1)
	s_add_nc_u64 s[4:5], s[0:1], s[2:3]
	s_xor_b64 s[4:5], s[4:5], s[2:3]
	s_delay_alu instid0(SALU_CYCLE_1)
	s_mul_hi_u32 s39, s4, s21
	s_mul_i32 s38, s4, s21
	s_mul_hi_u32 s24, s4, s17
	s_mul_hi_u32 s29, s5, s17
	s_mul_i32 s17, s5, s17
	s_add_nc_u64 s[38:39], s[24:25], s[38:39]
	s_mul_hi_u32 s1, s5, s21
	s_add_co_u32 s17, s38, s17
	s_add_co_ci_u32 s24, s39, s29
	s_mul_i32 s40, s5, s21
	s_add_co_ci_u32 s41, s1, 0
	s_delay_alu instid0(SALU_CYCLE_1) | instskip(NEXT) | instid1(SALU_CYCLE_1)
	s_add_nc_u64 s[38:39], s[24:25], s[40:41]
	s_and_b64 s[40:41], s[38:39], 0xffffffff00000000
	s_delay_alu instid0(SALU_CYCLE_1) | instskip(NEXT) | instid1(SALU_CYCLE_1)
	s_or_b32 s40, s40, s38
	s_mul_u64 s[38:39], s[6:7], s[40:41]
	s_add_nc_u64 s[42:43], s[40:41], 1
	s_sub_co_u32 s1, s4, s38
	s_cselect_b32 s4, -1, 0
	s_sub_co_i32 s17, s5, s39
	s_cmp_lg_u32 s4, 0
	s_add_nc_u64 s[44:45], s[40:41], 2
	s_sub_co_ci_u32 s17, s17, s7
	s_sub_co_u32 s21, s1, s6
	s_cselect_b32 s24, -1, 0
	s_delay_alu instid0(SALU_CYCLE_1) | instskip(SKIP_1) | instid1(SALU_CYCLE_1)
	s_cmp_lg_u32 s24, 0
	s_sub_co_ci_u32 s17, s17, 0
	s_cmp_ge_u32 s17, s7
	s_cselect_b32 s24, -1, 0
	s_cmp_ge_u32 s21, s6
	s_cselect_b32 s21, -1, 0
	s_cmp_eq_u32 s17, s7
	s_cselect_b32 s17, s21, s24
	s_delay_alu instid0(SALU_CYCLE_1) | instskip(SKIP_4) | instid1(SALU_CYCLE_1)
	s_cmp_lg_u32 s17, 0
	s_cselect_b32 s17, s44, s42
	s_cselect_b32 s21, s45, s43
	s_cmp_lg_u32 s4, 0
	s_sub_co_ci_u32 s4, s5, s39
	s_cmp_ge_u32 s4, s7
	s_cselect_b32 s5, -1, 0
	s_cmp_ge_u32 s1, s6
	s_cselect_b32 s1, -1, 0
	s_cmp_eq_u32 s4, s7
	s_cselect_b32 s1, s1, s5
	s_delay_alu instid0(SALU_CYCLE_1) | instskip(SKIP_3) | instid1(SALU_CYCLE_1)
	s_cmp_lg_u32 s1, 0
	s_cselect_b32 s5, s21, s41
	s_cselect_b32 s4, s17, s40
	s_xor_b64 s[2:3], s[2:3], 0
	s_xor_b64 s[4:5], s[4:5], s[2:3]
	s_delay_alu instid0(SALU_CYCLE_1)
	s_sub_nc_u64 s[40:41], s[4:5], s[2:3]
	s_mov_b32 s2, 0
.LBB21_11:                              ;   in Loop: Header=BB21_9 Depth=1
	s_delay_alu instid0(SALU_CYCLE_1)
	s_and_not1_b32 vcc_lo, exec_lo, s2
	s_cbranch_vccnz .LBB21_13
; %bb.12:                               ;   in Loop: Header=BB21_9 Depth=1
	v_readfirstlane_b32 s1, v7
	s_sub_co_i32 s2, 0, s16
	s_delay_alu instid0(SALU_CYCLE_1) | instskip(NEXT) | instid1(SALU_CYCLE_1)
	s_mul_i32 s2, s2, s1
	s_mul_hi_u32 s2, s1, s2
	s_delay_alu instid0(SALU_CYCLE_1) | instskip(NEXT) | instid1(SALU_CYCLE_1)
	s_add_co_i32 s1, s1, s2
	s_mul_hi_u32 s1, s0, s1
	s_delay_alu instid0(SALU_CYCLE_1) | instskip(NEXT) | instid1(SALU_CYCLE_1)
	s_mul_i32 s2, s1, s16
	s_sub_co_i32 s0, s0, s2
	s_add_co_i32 s2, s1, 1
	s_sub_co_i32 s3, s0, s16
	s_cmp_ge_u32 s0, s16
	s_cselect_b32 s1, s2, s1
	s_cselect_b32 s0, s3, s0
	s_add_co_i32 s2, s1, 1
	s_cmp_ge_u32 s0, s16
	s_cselect_b32 s24, s2, s1
	s_delay_alu instid0(SALU_CYCLE_1)
	s_mov_b64 s[40:41], s[24:25]
.LBB21_13:                              ;   in Loop: Header=BB21_9 Depth=1
	s_delay_alu instid0(SALU_CYCLE_1)
	s_cmp_lg_u32 s20, s40
	s_mov_b32 s0, -1
                                        ; implicit-def: $vgpr4_vgpr5
                                        ; implicit-def: $sgpr24
                                        ; implicit-def: $sgpr17
                                        ; implicit-def: $sgpr21
                                        ; implicit-def: $sgpr29
	s_cbranch_scc0 .LBB21_18
; %bb.14:                               ;   in Loop: Header=BB21_9 Depth=1
	s_add_co_i32 s0, s36, s16
	v_max_num_f32_e64 v4, s28, s28
	s_lshl_b32 s0, s0, 1
	s_mov_b32 s29, s20
	s_add_co_i32 s0, s0, s15
	s_load_b64 s[38:39], s[10:11], s0 offset:0x0 scale_offset
	s_wait_xcnt 0x0
	v_readfirstlane_b32 s0, v4
	s_wait_kmcnt 0x0
	v_max_num_f32_e64 v5, s38, s38
	s_delay_alu instid0(VALU_DEP_1) | instskip(SKIP_1) | instid1(SALU_CYCLE_3)
	v_readfirstlane_b32 s1, v5
	s_max_num_f32 s17, s0, s1
	s_sub_f32 s33, s28, s17
	s_sub_f32 s37, s38, s17
	s_delay_alu instid0(SALU_CYCLE_2)
	s_cmp_nlt_f32 s33, 0xc2ce8ed0
	s_cselect_b32 s1, -1, 0
	s_cmp_ngt_f32 s33, 0x42b17218
	s_cselect_b32 s2, -1, 0
	s_cmp_ge_f32 s33, 0xc1a00000
	s_cselect_b32 s0, -1, 0
	s_cmp_nlt_f32 s37, 0xc2ce8ed0
	s_cselect_b32 s3, -1, 0
	s_cmp_ngt_f32 s37, 0x42b17218
	s_cselect_b32 s4, -1, 0
	s_cmp_ge_f32 s37, 0xc1a00000
	s_cselect_b32 s5, -1, 0
	s_and_b64 s[42:43], s[40:41], s[8:9]
	s_delay_alu instid0(SALU_CYCLE_1) | instskip(NEXT) | instid1(SALU_CYCLE_1)
	s_mul_u64 s[42:43], s[42:43], s[22:23]
	s_add_co_i32 s21, s43, s40
	s_delay_alu instid0(SALU_CYCLE_1) | instskip(NEXT) | instid1(SALU_CYCLE_1)
	s_lshr_b32 s21, s21, s13
	s_mul_i32 s24, s21, s14
	s_delay_alu instid0(SALU_CYCLE_1) | instskip(SKIP_3) | instid1(SALU_CYCLE_1)
	s_cmp_eq_u32 s24, s40
	s_cselect_b32 s24, -1, 0
	s_cmp_lt_u32 s21, s12
	s_cselect_b32 s21, -1, 0
	s_or_b32 s21, s21, s24
	s_mov_b32 s24, -1
	s_and_b32 vcc_lo, exec_lo, s21
	s_mov_b32 s21, s36
	s_cbranch_vccnz .LBB21_16
; %bb.15:                               ;   in Loop: Header=BB21_9 Depth=1
	s_add_co_i32 s21, s36, -1
	s_mov_b32 s24, 0
	s_mov_b32 s29, s40
.LBB21_16:                              ;   in Loop: Header=BB21_9 Depth=1
	v_lshl_add_u32 v4, s36, 8, v6
	s_mul_f32 s40, s33, 0x3fb8aa3b
	s_mul_f32 s38, s37, 0x3fb8aa3b
	s_delay_alu instid0(SALU_CYCLE_2)
	s_xor_b32 s42, s40, 0x80000000
	global_load_b32 v5, v4, s[26:27] scale_offset
	s_fmamk_f32 s42, s33, 0x3fb8aa3b, s42
	s_rndne_f32 s44, s40
	s_xor_b32 s41, s38, 0x80000000
	s_rndne_f32 s43, s38
	s_fmamk_f32 s33, s33, 0x32a5705f, s42
	s_sub_f32 s40, s40, s44
	s_fmamk_f32 s41, s37, 0x3fb8aa3b, s41
	s_sub_f32 s38, s38, s43
	s_delay_alu instid0(SALU_CYCLE_1) | instskip(NEXT) | instid1(SALU_CYCLE_1)
	s_add_f32 s33, s40, s33
	s_fmamk_f32 s37, s37, 0x32a5705f, s41
	s_cvt_i32_f32 s40, s44
	s_delay_alu instid0(SALU_CYCLE_1) | instskip(NEXT) | instid1(SALU_CYCLE_1)
	v_s_exp_f32 s33, s33
	s_add_f32 s37, s38, s37
	s_cvt_i32_f32 s38, s43
	s_delay_alu instid0(SALU_CYCLE_2) | instskip(NEXT) | instid1(TRANS32_DEP_2)
	v_s_exp_f32 s37, s37
	v_ldexp_f32 v8, s33, s40
	s_wait_xcnt 0x0
	s_delay_alu instid0(TRANS32_DEP_1) | instskip(NEXT) | instid1(VALU_DEP_2)
	v_ldexp_f32 v4, s37, s38
	v_cndmask_b32_e64 v8, 0, v8, s1
	s_delay_alu instid0(VALU_DEP_1) | instskip(NEXT) | instid1(VALU_DEP_1)
	v_cndmask_b32_e64 v9, 0x7f800000, v8, s2
	v_dual_cndmask_b32 v4, 0, v4, s3 :: v_dual_cndmask_b32 v10, 0, v9, s0
	s_delay_alu instid0(VALU_DEP_1) | instskip(NEXT) | instid1(VALU_DEP_1)
	v_cndmask_b32_e64 v4, 0x7f800000, v4, s4
	v_dual_cndmask_b32 v8, 0, v4, s5 :: v_dual_mov_b32 v4, s39
	s_wait_loadcnt 0x0
	s_delay_alu instid0(VALU_DEP_1) | instskip(NEXT) | instid1(VALU_DEP_1)
	v_pk_mul_f32 v[4:5], v[4:5], v[8:9] op_sel_hi:[1,0]
	v_pk_fma_f32 v[4:5], v[0:1], v[10:11], v[4:5] op_sel_hi:[1,0,1]
	s_cbranch_execz .LBB21_19
.LBB21_17:                              ;   in Loop: Header=BB21_9 Depth=1
	s_and_not1_b32 vcc_lo, exec_lo, s24
	s_cbranch_vccnz .LBB21_20
	s_branch .LBB21_23
.LBB21_18:                              ;   in Loop: Header=BB21_9 Depth=1
	s_and_not1_b32 vcc_lo, exec_lo, s0
	s_cbranch_vccnz .LBB21_17
.LBB21_19:                              ;   in Loop: Header=BB21_9 Depth=1
	s_wait_loadcnt 0x0
	v_mov_b64_e32 v[4:5], v[0:1]
	s_add_co_i32 s21, s36, -1
	s_mov_b32 s29, s20
	s_mov_b32 s17, s28
	s_cbranch_execz .LBB21_23
.LBB21_20:                              ;   in Loop: Header=BB21_9 Depth=1
	s_wait_loadcnt 0x0
	s_delay_alu instid0(VALU_DEP_1)
	v_mov_b64_e32 v[0:1], v[4:5]
	s_mov_b32 s20, s29
	s_mov_b32 s36, s21
	;; [unrolled: 1-line block ×3, first 2 shown]
	s_branch .LBB21_9
.LBB21_21:
                                        ; implicit-def: $sgpr20_sgpr21
	s_branch .LBB21_2
.LBB21_22:
                                        ; implicit-def: $sgpr24_sgpr25
	s_load_b96 s[12:14], s[0:1], 0x44
	s_branch .LBB21_5
.LBB21_23:
	s_delay_alu instid0(VALU_DEP_1) | instskip(SKIP_1) | instid1(VALU_DEP_1)
	v_div_scale_f32 v0, null, v4, v4, v5
	s_wait_loadcnt 0x0
	v_rcp_f32_e32 v1, v0
	v_nop
	s_delay_alu instid0(TRANS32_DEP_1) | instskip(NEXT) | instid1(VALU_DEP_1)
	v_fma_f32 v6, -v0, v1, 1.0
	v_fmac_f32_e32 v1, v6, v1
	v_div_scale_f32 v6, vcc_lo, v5, v4, v5
	s_delay_alu instid0(VALU_DEP_1) | instskip(NEXT) | instid1(VALU_DEP_1)
	v_mul_f32_e32 v7, v6, v1
	v_fma_f32 v8, -v0, v7, v6
	s_delay_alu instid0(VALU_DEP_1) | instskip(NEXT) | instid1(VALU_DEP_1)
	v_fmac_f32_e32 v7, v8, v1
	v_fma_f32 v0, -v0, v7, v6
	s_delay_alu instid0(VALU_DEP_1) | instskip(NEXT) | instid1(VALU_DEP_1)
	v_div_fmas_f32 v0, v0, v1, v7
	v_div_fixup_f32 v0, v0, v4, v5
	global_store_b32 v[2:3], v0, off
.LBB21_24:
	s_endpgm
	.section	.rodata,"a",@progbits
	.p2align	6, 0x0
	.amdhsa_kernel _ZL33flash_attn_stream_k_fixup_generalILi128ELi2ELi1EEvPfPK15HIP_vector_typeIfLj2EEiiiiS1_IjLj3EES5_S5_S5_
		.amdhsa_group_segment_fixed_size 0
		.amdhsa_private_segment_fixed_size 0
		.amdhsa_kernarg_size 336
		.amdhsa_user_sgpr_count 2
		.amdhsa_user_sgpr_dispatch_ptr 0
		.amdhsa_user_sgpr_queue_ptr 0
		.amdhsa_user_sgpr_kernarg_segment_ptr 1
		.amdhsa_user_sgpr_dispatch_id 0
		.amdhsa_user_sgpr_kernarg_preload_length 0
		.amdhsa_user_sgpr_kernarg_preload_offset 0
		.amdhsa_user_sgpr_private_segment_size 0
		.amdhsa_wavefront_size32 1
		.amdhsa_uses_dynamic_stack 0
		.amdhsa_enable_private_segment 0
		.amdhsa_system_sgpr_workgroup_id_x 1
		.amdhsa_system_sgpr_workgroup_id_y 1
		.amdhsa_system_sgpr_workgroup_id_z 1
		.amdhsa_system_sgpr_workgroup_info 0
		.amdhsa_system_vgpr_workitem_id 0
		.amdhsa_next_free_vgpr 12
		.amdhsa_next_free_sgpr 46
		.amdhsa_named_barrier_count 0
		.amdhsa_reserve_vcc 1
		.amdhsa_float_round_mode_32 0
		.amdhsa_float_round_mode_16_64 0
		.amdhsa_float_denorm_mode_32 3
		.amdhsa_float_denorm_mode_16_64 3
		.amdhsa_fp16_overflow 0
		.amdhsa_memory_ordered 1
		.amdhsa_forward_progress 1
		.amdhsa_inst_pref_size 27
		.amdhsa_round_robin_scheduling 0
		.amdhsa_exception_fp_ieee_invalid_op 0
		.amdhsa_exception_fp_denorm_src 0
		.amdhsa_exception_fp_ieee_div_zero 0
		.amdhsa_exception_fp_ieee_overflow 0
		.amdhsa_exception_fp_ieee_underflow 0
		.amdhsa_exception_fp_ieee_inexact 0
		.amdhsa_exception_int_div_zero 0
	.end_amdhsa_kernel
	.section	.text._ZL33flash_attn_stream_k_fixup_generalILi128ELi2ELi1EEvPfPK15HIP_vector_typeIfLj2EEiiiiS1_IjLj3EES5_S5_S5_,"axG",@progbits,_ZL33flash_attn_stream_k_fixup_generalILi128ELi2ELi1EEvPfPK15HIP_vector_typeIfLj2EEiiiiS1_IjLj3EES5_S5_S5_,comdat
.Lfunc_end21:
	.size	_ZL33flash_attn_stream_k_fixup_generalILi128ELi2ELi1EEvPfPK15HIP_vector_typeIfLj2EEiiiiS1_IjLj3EES5_S5_S5_, .Lfunc_end21-_ZL33flash_attn_stream_k_fixup_generalILi128ELi2ELi1EEvPfPK15HIP_vector_typeIfLj2EEiiiiS1_IjLj3EES5_S5_S5_
                                        ; -- End function
	.set _ZL33flash_attn_stream_k_fixup_generalILi128ELi2ELi1EEvPfPK15HIP_vector_typeIfLj2EEiiiiS1_IjLj3EES5_S5_S5_.num_vgpr, 12
	.set _ZL33flash_attn_stream_k_fixup_generalILi128ELi2ELi1EEvPfPK15HIP_vector_typeIfLj2EEiiiiS1_IjLj3EES5_S5_S5_.num_agpr, 0
	.set _ZL33flash_attn_stream_k_fixup_generalILi128ELi2ELi1EEvPfPK15HIP_vector_typeIfLj2EEiiiiS1_IjLj3EES5_S5_S5_.numbered_sgpr, 46
	.set _ZL33flash_attn_stream_k_fixup_generalILi128ELi2ELi1EEvPfPK15HIP_vector_typeIfLj2EEiiiiS1_IjLj3EES5_S5_S5_.num_named_barrier, 0
	.set _ZL33flash_attn_stream_k_fixup_generalILi128ELi2ELi1EEvPfPK15HIP_vector_typeIfLj2EEiiiiS1_IjLj3EES5_S5_S5_.private_seg_size, 0
	.set _ZL33flash_attn_stream_k_fixup_generalILi128ELi2ELi1EEvPfPK15HIP_vector_typeIfLj2EEiiiiS1_IjLj3EES5_S5_S5_.uses_vcc, 1
	.set _ZL33flash_attn_stream_k_fixup_generalILi128ELi2ELi1EEvPfPK15HIP_vector_typeIfLj2EEiiiiS1_IjLj3EES5_S5_S5_.uses_flat_scratch, 0
	.set _ZL33flash_attn_stream_k_fixup_generalILi128ELi2ELi1EEvPfPK15HIP_vector_typeIfLj2EEiiiiS1_IjLj3EES5_S5_S5_.has_dyn_sized_stack, 0
	.set _ZL33flash_attn_stream_k_fixup_generalILi128ELi2ELi1EEvPfPK15HIP_vector_typeIfLj2EEiiiiS1_IjLj3EES5_S5_S5_.has_recursion, 0
	.set _ZL33flash_attn_stream_k_fixup_generalILi128ELi2ELi1EEvPfPK15HIP_vector_typeIfLj2EEiiiiS1_IjLj3EES5_S5_S5_.has_indirect_call, 0
	.section	.AMDGPU.csdata,"",@progbits
; Kernel info:
; codeLenInByte = 3352
; TotalNumSgprs: 48
; NumVgprs: 12
; ScratchSize: 0
; MemoryBound: 0
; FloatMode: 240
; IeeeMode: 1
; LDSByteSize: 0 bytes/workgroup (compile time only)
; SGPRBlocks: 0
; VGPRBlocks: 0
; NumSGPRsForWavesPerEU: 48
; NumVGPRsForWavesPerEU: 12
; NamedBarCnt: 0
; Occupancy: 16
; WaveLimiterHint : 0
; COMPUTE_PGM_RSRC2:SCRATCH_EN: 0
; COMPUTE_PGM_RSRC2:USER_SGPR: 2
; COMPUTE_PGM_RSRC2:TRAP_HANDLER: 0
; COMPUTE_PGM_RSRC2:TGID_X_EN: 1
; COMPUTE_PGM_RSRC2:TGID_Y_EN: 1
; COMPUTE_PGM_RSRC2:TGID_Z_EN: 1
; COMPUTE_PGM_RSRC2:TIDIG_COMP_CNT: 0
	.section	.text._ZL18flash_attn_ext_vecILi128ELi2EL9ggml_type6ELS0_6ELb1EEvPKcS2_S2_S2_S2_PKiPfP15HIP_vector_typeIfLj2EEffffjfiS6_IjLj3EEiiiiiiiiiiiliiliiiiil,"axG",@progbits,_ZL18flash_attn_ext_vecILi128ELi2EL9ggml_type6ELS0_6ELb1EEvPKcS2_S2_S2_S2_PKiPfP15HIP_vector_typeIfLj2EEffffjfiS6_IjLj3EEiiiiiiiiiiiliiliiiiil,comdat
	.globl	_ZL18flash_attn_ext_vecILi128ELi2EL9ggml_type6ELS0_6ELb1EEvPKcS2_S2_S2_S2_PKiPfP15HIP_vector_typeIfLj2EEffffjfiS6_IjLj3EEiiiiiiiiiiiliiliiiiil ; -- Begin function _ZL18flash_attn_ext_vecILi128ELi2EL9ggml_type6ELS0_6ELb1EEvPKcS2_S2_S2_S2_PKiPfP15HIP_vector_typeIfLj2EEffffjfiS6_IjLj3EEiiiiiiiiiiiliiliiiiil
	.p2align	8
	.type	_ZL18flash_attn_ext_vecILi128ELi2EL9ggml_type6ELS0_6ELb1EEvPKcS2_S2_S2_S2_PKiPfP15HIP_vector_typeIfLj2EEffffjfiS6_IjLj3EEiiiiiiiiiiiliiliiiiil,@function
_ZL18flash_attn_ext_vecILi128ELi2EL9ggml_type6ELS0_6ELb1EEvPKcS2_S2_S2_S2_PKiPfP15HIP_vector_typeIfLj2EEffffjfiS6_IjLj3EEiiiiiiiiiiiliiliiiiil: ; @_ZL18flash_attn_ext_vecILi128ELi2EL9ggml_type6ELS0_6ELb1EEvPKcS2_S2_S2_S2_PKiPfP15HIP_vector_typeIfLj2EEffffjfiS6_IjLj3EEiiiiiiiiiiiliiliiiiil
; %bb.0:
	s_clause 0x2
	s_load_b64 s[24:25], s[2:3], 0x64
	s_load_b64 s[38:39], s[2:3], 0x80
	;; [unrolled: 1-line block ×3, first 2 shown]
	s_bfe_u32 s6, ttmp6, 0x40014
	s_lshr_b32 s5, ttmp7, 16
	s_add_co_i32 s6, s6, 1
	s_bfe_u32 s7, ttmp6, 0x40008
	s_mul_i32 s6, s5, s6
	s_getreg_b32 s33, hwreg(HW_REG_IB_STS2, 6, 4)
	s_add_co_i32 s7, s7, s6
	s_clause 0x1
	s_load_b128 s[20:23], s[2:3], 0x40
	s_load_b64 s[30:31], s[2:3], 0x50
	v_mov_b32_e32 v239, 1.0
	s_mov_b32 s37, 0
	s_wait_kmcnt 0x0
	s_cvt_f32_u32 s4, s25
	s_sub_co_i32 s8, 0, s25
	s_delay_alu instid0(SALU_CYCLE_2) | instskip(SKIP_1) | instid1(TRANS32_DEP_1)
	v_rcp_iflag_f32_e32 v1, s4
	v_nop
	v_readfirstlane_b32 s4, v1
	s_mul_f32 s4, s4, 0x4f7ffffe
	s_delay_alu instid0(SALU_CYCLE_3) | instskip(NEXT) | instid1(SALU_CYCLE_3)
	s_cvt_u32_f32 s4, s4
	s_mul_i32 s8, s8, s4
	s_delay_alu instid0(SALU_CYCLE_1) | instskip(NEXT) | instid1(SALU_CYCLE_1)
	s_mul_hi_u32 s8, s4, s8
	s_add_co_i32 s4, s4, s8
	s_cmp_eq_u32 s33, 0
	s_cselect_b32 s5, s5, s7
	s_delay_alu instid0(SALU_CYCLE_1) | instskip(NEXT) | instid1(SALU_CYCLE_1)
	s_mul_hi_u32 s4, s5, s4
	s_mul_i32 s6, s4, s25
	s_add_co_i32 s7, s4, 1
	s_sub_co_i32 s6, s5, s6
	s_delay_alu instid0(SALU_CYCLE_1)
	s_sub_co_i32 s8, s6, s25
	s_cmp_ge_u32 s6, s25
	s_cselect_b32 s4, s7, s4
	s_cselect_b32 s6, s8, s6
	s_add_co_i32 s7, s4, 1
	s_cmp_ge_u32 s6, s25
	s_cselect_b32 s26, s7, s4
	s_abs_i32 s4, s39
	s_abs_i32 s9, s25
	s_cvt_f32_u32 s6, s4
	s_sub_co_i32 s7, 0, s4
	s_xor_b32 s8, s25, s39
	s_delay_alu instid0(SALU_CYCLE_1) | instskip(SKIP_2) | instid1(TRANS32_DEP_1)
	v_rcp_iflag_f32_e32 v1, s6
	s_ashr_i32 s8, s8, 31
	v_nop
	v_readfirstlane_b32 s6, v1
	s_mul_f32 s6, s6, 0x4f7ffffe
	s_delay_alu instid0(SALU_CYCLE_3) | instskip(NEXT) | instid1(SALU_CYCLE_3)
	s_cvt_u32_f32 s6, s6
	s_mul_i32 s7, s7, s6
	s_delay_alu instid0(SALU_CYCLE_1) | instskip(NEXT) | instid1(SALU_CYCLE_1)
	s_mul_hi_u32 s7, s6, s7
	s_add_co_i32 s6, s6, s7
	s_mul_i32 s7, s26, s25
	s_mul_hi_u32 s6, s9, s6
	s_sub_co_i32 s28, s5, s7
	s_mul_i32 s10, s6, s4
	s_add_co_i32 s7, s6, 1
	s_sub_co_i32 s5, s9, s10
	s_delay_alu instid0(SALU_CYCLE_1)
	s_sub_co_i32 s9, s5, s4
	s_cmp_ge_u32 s5, s4
	s_cselect_b32 s6, s7, s6
	s_cselect_b32 s5, s9, s5
	s_add_co_i32 s7, s6, 1
	s_cmp_ge_u32 s5, s4
	s_cselect_b32 s4, s7, s6
	s_abs_i32 s34, s34
	s_xor_b32 s4, s4, s8
	s_delay_alu instid0(SALU_CYCLE_1)
	s_sub_co_i32 s27, s4, s8
	s_cvt_f32_u32 s4, s34
	s_abs_i32 s39, s27
	s_cmp_le_f32 s21, 0
	s_cvt_f32_u32 s5, s39
	v_rcp_iflag_f32_e32 v1, s4
	s_delay_alu instid0(SALU_CYCLE_2) | instskip(NEXT) | instid1(TRANS32_DEP_2)
	v_rcp_iflag_f32_e32 v2, s5
	v_readfirstlane_b32 s36, v1
	s_delay_alu instid0(TRANS32_DEP_1)
	v_readfirstlane_b32 s40, v2
	s_cbranch_scc1 .LBB22_2
; %bb.1:
	v_sub_co_u32 v1, s4, s28, s30
	s_and_b32 s6, s4, exec_lo
	s_cselect_b32 s6, s22, s23
	s_add_co_i32 s7, s28, 1
	v_readfirstlane_b32 s5, v1
	s_lshl_b32 s5, s5, 1
	s_delay_alu instid0(SALU_CYCLE_1) | instskip(SKIP_4) | instid1(SALU_CYCLE_3)
	s_or_b32 s5, s5, 1
	s_and_b32 s4, s4, exec_lo
	s_cselect_b32 s4, s7, s5
	s_cmp_neq_f32 s6, 1.0
	s_cvt_f32_i32 s4, s4
	s_cselect_b32 s5, s4, 1.0
	s_delay_alu instid0(SALU_CYCLE_1) | instskip(SKIP_1) | instid1(SALU_CYCLE_1)
	s_cmp_neq_f32 s5, 0
	s_cselect_b32 s4, s6, 1.0
	v_cvt_f64_f32_e64 v[2:3], |s4|
	s_delay_alu instid0(VALU_DEP_1) | instskip(SKIP_1) | instid1(VALU_DEP_1)
	v_frexp_exp_i32_f64_e32 v1, v[2:3]
	v_frexp_mant_f32_e64 v2, |s4|
	v_readfirstlane_b32 s6, v2
	s_cmp_lt_f32 s6, 0x3f2aaaab
	s_cselect_b32 vcc_lo, -1, 0
	s_delay_alu instid0(SALU_CYCLE_1) | instskip(SKIP_1) | instid1(SALU_CYCLE_1)
	s_and_b32 s7, vcc_lo, exec_lo
	s_cselect_b32 s7, 2.0, 1.0
	s_mul_f32 s6, s6, s7
	s_delay_alu instid0(SALU_CYCLE_3) | instskip(SKIP_1) | instid1(SALU_CYCLE_2)
	s_add_f32 s7, s6, 1.0
	s_add_f32 s9, s6, -1.0
	v_s_rcp_f32 s8, s7
	s_add_f32 s12, s7, -1.0
	v_subrev_co_ci_u32_e64 v1, null, 0, v1, vcc_lo
	s_delay_alu instid0(SALU_CYCLE_2) | instskip(NEXT) | instid1(TRANS32_DEP_1)
	s_sub_f32 s6, s6, s12
	s_mul_f32 s10, s9, s8
	v_cvt_f32_i32_e32 v1, v1
	s_delay_alu instid0(SALU_CYCLE_2) | instskip(NEXT) | instid1(SALU_CYCLE_3)
	s_mul_f32 s11, s7, s10
	v_dual_mov_b32 v3, s9 :: v_dual_mov_b32 v4, s11
	s_xor_b32 s13, s11, 0x80000000
	s_delay_alu instid0(SALU_CYCLE_1) | instskip(NEXT) | instid1(SALU_CYCLE_3)
	s_fmac_f32 s13, s10, s7
	s_fmac_f32 s13, s10, s6
	s_delay_alu instid0(SALU_CYCLE_3) | instskip(SKIP_2) | instid1(SALU_CYCLE_1)
	s_add_f32 s6, s11, s13
	v_mov_b32_e32 v6, s13
	s_mov_b32 s11, 0x3e76c4e1
	s_sub_f32 s7, s9, s6
	v_dual_mov_b32 v2, s6 :: v_dual_mov_b32 v7, s6
	s_delay_alu instid0(SALU_CYCLE_2) | instskip(NEXT) | instid1(VALU_DEP_1)
	v_mov_b32_e32 v5, s7
	v_pk_add_f32 v[2:3], v[2:3], v[4:5] neg_lo:[0,1] neg_hi:[0,1]
	s_delay_alu instid0(VALU_DEP_1) | instskip(NEXT) | instid1(VALU_DEP_1)
	v_pk_add_f32 v[2:3], v[2:3], v[6:7] neg_lo:[0,1] neg_hi:[0,1]
	v_readfirstlane_b32 s6, v3
	s_delay_alu instid0(VALU_DEP_2) | instskip(SKIP_1) | instid1(SALU_CYCLE_3)
	v_readfirstlane_b32 s9, v2
	s_add_f32 s6, s9, s6
	s_add_f32 s6, s7, s6
	s_delay_alu instid0(SALU_CYCLE_3) | instskip(NEXT) | instid1(SALU_CYCLE_3)
	s_mul_f32 s7, s8, s6
	s_add_f32 s6, s10, s7
	s_delay_alu instid0(SALU_CYCLE_3) | instskip(SKIP_1) | instid1(SALU_CYCLE_2)
	s_sub_f32 s8, s6, s10
	s_mul_f32 s9, s6, s6
	s_sub_f32 s10, s7, s8
	s_delay_alu instid0(SALU_CYCLE_2) | instskip(NEXT) | instid1(SALU_CYCLE_1)
	s_xor_b32 s7, s9, 0x80000000
	s_fmac_f32 s7, s6, s6
	s_delay_alu instid0(SALU_CYCLE_1) | instskip(NEXT) | instid1(SALU_CYCLE_3)
	s_add_f32 s8, s10, s10
	s_fmac_f32 s7, s6, s8
	s_delay_alu instid0(SALU_CYCLE_3) | instskip(NEXT) | instid1(SALU_CYCLE_3)
	s_add_f32 s8, s9, s7
	s_fmaak_f32 s11, s8, s11, 0x3e91f4c4
	s_sub_f32 s9, s8, s9
	s_delay_alu instid0(SALU_CYCLE_2) | instskip(NEXT) | instid1(SALU_CYCLE_2)
	s_fmaak_f32 s11, s8, s11, 0x3ecccdef
	s_sub_f32 s14, s7, s9
	s_delay_alu instid0(SALU_CYCLE_2) | instskip(NEXT) | instid1(SALU_CYCLE_3)
	s_mul_f32 s12, s8, s11
	s_xor_b32 s13, s12, 0x80000000
	s_delay_alu instid0(SALU_CYCLE_1) | instskip(NEXT) | instid1(SALU_CYCLE_3)
	s_fmac_f32 s13, s8, s11
	s_fmac_f32 s13, s14, s11
	s_delay_alu instid0(SALU_CYCLE_3) | instskip(NEXT) | instid1(SALU_CYCLE_3)
	s_add_f32 s9, s12, s13
	s_sub_f32 s7, s9, s12
	s_add_f32 s11, s9, 0x3f2aaaaa
	s_delay_alu instid0(SALU_CYCLE_2) | instskip(NEXT) | instid1(SALU_CYCLE_2)
	s_sub_f32 s7, s13, s7
	s_add_f32 s12, s11, 0xbf2aaaaa
	s_delay_alu instid0(SALU_CYCLE_2) | instskip(NEXT) | instid1(SALU_CYCLE_2)
	s_add_f32 s7, s7, 0x31739010
	s_sub_f32 s9, s9, s12
	s_delay_alu instid0(SALU_CYCLE_2) | instskip(NEXT) | instid1(SALU_CYCLE_2)
	v_mov_b64_e32 v[2:3], s[6:7]
	v_mov_b64_e32 v[4:5], s[8:9]
	s_delay_alu instid0(VALU_DEP_1) | instskip(SKIP_2) | instid1(VALU_DEP_3)
	v_pk_mul_f32 v[6:7], v[2:3], v[4:5]
	v_pk_add_f32 v[2:3], v[2:3], v[4:5]
	v_mov_b32_e32 v9, s11
	v_xor_b32_e32 v8, 0x80000000, v6
	s_delay_alu instid0(VALU_DEP_3) | instskip(NEXT) | instid1(VALU_DEP_2)
	v_mov_b32_e32 v7, v3
	v_fmac_f32_e64 v8, s8, s6
	s_delay_alu instid0(VALU_DEP_1) | instskip(NEXT) | instid1(VALU_DEP_1)
	v_fmac_f32_e64 v8, s8, s10
	v_fmac_f32_e64 v8, s14, s6
	s_delay_alu instid0(VALU_DEP_1) | instskip(NEXT) | instid1(VALU_DEP_1)
	v_pk_add_f32 v[4:5], v[6:7], v[8:9]
	v_dual_mov_b32 v2, v5 :: v_dual_sub_f32 v7, s11, v5
	v_mul_f32_e32 v12, 0x3f317218, v1
	s_delay_alu instid0(VALU_DEP_2) | instskip(NEXT) | instid1(VALU_DEP_3)
	v_pk_mul_f32 v[10:11], v[4:5], v[2:3]
	v_add_f32_e32 v3, v3, v7
	s_delay_alu instid0(VALU_DEP_3) | instskip(NEXT) | instid1(VALU_DEP_3)
	v_xor_b32_e32 v7, 0x80000000, v12
	v_xor_b32_e32 v2, 0x80000000, v10
	s_delay_alu instid0(VALU_DEP_2) | instskip(NEXT) | instid1(VALU_DEP_2)
	v_dual_sub_f32 v6, v4, v6 :: v_dual_fmac_f32 v7, 0x3f317218, v1
	v_fmac_f32_e32 v2, v4, v5
	s_delay_alu instid0(VALU_DEP_2) | instskip(NEXT) | instid1(VALU_DEP_2)
	v_sub_f32_e32 v6, v8, v6
	v_fmac_f32_e32 v2, v4, v3
	s_delay_alu instid0(VALU_DEP_1) | instskip(SKIP_3) | instid1(VALU_DEP_2)
	v_fmac_f32_e32 v2, v6, v5
	v_fmamk_f32 v4, v1, 0xb102e308, v7
	v_ldexp_f32 v5, s6, 1
	v_ldexp_f32 v1, s10, 1
	v_dual_add_f32 v13, v10, v2 :: v_dual_mov_b32 v11, v5
	s_delay_alu instid0(VALU_DEP_1) | instskip(SKIP_1) | instid1(VALU_DEP_2)
	v_pk_add_f32 v[6:7], v[12:13], v[4:5]
	v_dual_mov_b32 v8, v13 :: v_dual_mov_b32 v3, v13
	v_dual_mov_b32 v9, v7 :: v_dual_mov_b32 v5, v6
	v_mov_b32_e32 v14, v7
	s_delay_alu instid0(VALU_DEP_2) | instskip(NEXT) | instid1(VALU_DEP_1)
	v_pk_add_f32 v[8:9], v[8:9], v[10:11] neg_lo:[0,1] neg_hi:[0,1]
	v_pk_add_f32 v[2:3], v[2:3], v[8:9] neg_lo:[0,1] neg_hi:[0,1]
	s_delay_alu instid0(VALU_DEP_1) | instskip(NEXT) | instid1(VALU_DEP_1)
	v_add_f32_e32 v1, v1, v2
	v_add_f32_e32 v13, v1, v3
	s_delay_alu instid0(VALU_DEP_1) | instskip(SKIP_1) | instid1(VALU_DEP_2)
	v_pk_add_f32 v[2:3], v[6:7], v[12:13]
	v_pk_add_f32 v[8:9], v[6:7], v[12:13] neg_lo:[0,1] neg_hi:[0,1]
	v_mov_b32_e32 v9, v3
	s_delay_alu instid0(VALU_DEP_1) | instskip(SKIP_2) | instid1(VALU_DEP_3)
	v_pk_add_f32 v[10:11], v[4:5], v[8:9]
	v_pk_add_f32 v[4:5], v[4:5], v[8:9] neg_lo:[0,1] neg_hi:[0,1]
	v_dual_mov_b32 v16, v3 :: v_dual_mov_b32 v5, v6
	v_dual_mov_b32 v12, v11 :: v_dual_mov_b32 v17, v11
	s_delay_alu instid0(VALU_DEP_3) | instskip(NEXT) | instid1(VALU_DEP_2)
	v_readfirstlane_b32 s6, v4
	v_pk_add_f32 v[8:9], v[12:13], v[6:7] neg_lo:[0,1] neg_hi:[0,1]
	s_delay_alu instid0(VALU_DEP_2) | instskip(NEXT) | instid1(VALU_DEP_2)
	v_dual_mov_b32 v4, v13 :: v_dual_mov_b32 v10, s6
	v_dual_mov_b32 v15, v8 :: v_dual_mov_b32 v1, v8
	s_delay_alu instid0(VALU_DEP_1) | instskip(NEXT) | instid1(VALU_DEP_2)
	v_pk_add_f32 v[6:7], v[16:17], v[14:15] neg_lo:[0,1] neg_hi:[0,1]
	v_pk_add_f32 v[2:3], v[2:3], v[0:1] neg_lo:[0,1] neg_hi:[0,1]
	v_mov_b32_e32 v2, s6
	s_delay_alu instid0(VALU_DEP_3) | instskip(NEXT) | instid1(VALU_DEP_1)
	v_pk_add_f32 v[4:5], v[4:5], v[6:7] neg_lo:[0,1] neg_hi:[0,1]
	v_pk_add_f32 v[2:3], v[2:3], v[4:5]
	s_delay_alu instid0(VALU_DEP_1) | instskip(NEXT) | instid1(VALU_DEP_2)
	v_readfirstlane_b32 s7, v2
	v_mov_b32_e32 v6, v3
	s_delay_alu instid0(VALU_DEP_1) | instskip(NEXT) | instid1(VALU_DEP_3)
	v_pk_add_f32 v[6:7], v[2:3], v[6:7]
	v_mov_b32_e32 v2, s7
	s_delay_alu instid0(VALU_DEP_2) | instskip(SKIP_1) | instid1(VALU_DEP_2)
	v_pk_add_f32 v[8:9], v[12:13], v[6:7]
	v_mov_b32_e32 v5, v6
	v_readfirstlane_b32 s8, v8
	s_delay_alu instid0(VALU_DEP_1) | instskip(NEXT) | instid1(VALU_DEP_1)
	v_mov_b32_e32 v3, s8
	v_pk_add_f32 v[2:3], v[2:3], v[10:11] neg_lo:[0,1] neg_hi:[0,1]
	s_delay_alu instid0(VALU_DEP_1) | instskip(NEXT) | instid1(VALU_DEP_2)
	v_readfirstlane_b32 s9, v2
	v_pk_add_f32 v[2:3], v[4:5], v[2:3] neg_lo:[0,1] neg_hi:[0,1]
	s_sub_f32 s7, s7, s9
	s_delay_alu instid0(VALU_DEP_1) | instskip(NEXT) | instid1(SALU_CYCLE_2)
	v_readfirstlane_b32 s9, v2
	s_sub_f32 s6, s6, s7
	v_readfirstlane_b32 s7, v3
	s_delay_alu instid0(SALU_CYCLE_2) | instskip(NEXT) | instid1(SALU_CYCLE_3)
	s_add_f32 s6, s9, s6
	s_add_f32 s6, s6, s7
	s_delay_alu instid0(SALU_CYCLE_3) | instskip(NEXT) | instid1(SALU_CYCLE_3)
	s_add_f32 s7, s8, s6
	s_mul_f32 s9, s5, s7
	s_sub_f32 s8, s7, s8
	s_delay_alu instid0(SALU_CYCLE_2) | instskip(NEXT) | instid1(SALU_CYCLE_2)
	s_xor_b32 s10, s9, 0x80000000
	s_sub_f32 s6, s6, s8
	s_fmac_f32 s10, s5, s7
	s_delay_alu instid0(SALU_CYCLE_3) | instskip(SKIP_1) | instid1(SALU_CYCLE_2)
	s_fmac_f32 s10, s5, s6
	v_cmp_class_f32_e64 s6, s9, 0x204
	s_add_f32 s7, s9, s10
	s_and_b32 s6, s6, exec_lo
	s_delay_alu instid0(SALU_CYCLE_2) | instskip(SKIP_1) | instid1(SALU_CYCLE_1)
	s_sub_f32 s6, s7, s9
	s_cselect_b32 s7, s9, s7
	s_and_b32 s8, s7, 0x7fffffff
	s_delay_alu instid0(SALU_CYCLE_1) | instskip(SKIP_1) | instid1(SALU_CYCLE_2)
	s_sub_f32 s6, s10, s6
	s_cmp_neq_f32 s8, 0x7f800000
	s_cselect_b32 s6, s6, 0
	s_cmp_eq_f32 s7, 0x42b17218
	s_cselect_b32 s8, 0x37000000, 0
	s_delay_alu instid0(SALU_CYCLE_1) | instskip(SKIP_1) | instid1(SALU_CYCLE_2)
	s_sub_f32 s7, s7, s8
	s_add_f32 s6, s8, s6
	s_mul_f32 s9, s7, 0x3fb8aa3b
	s_delay_alu instid0(SALU_CYCLE_3) | instskip(SKIP_3) | instid1(SALU_CYCLE_1)
	s_xor_b32 s10, s9, 0x80000000
	s_rndne_f32 s11, s9
	s_fmamk_f32 s10, s7, 0x3fb8aa3b, s10
	s_cmp_nlt_f32 s7, 0xc2ce8ed0
	s_sub_f32 s9, s9, s11
	s_delay_alu instid0(SALU_CYCLE_1)
	s_fmamk_f32 s10, s7, 0x32a5705f, s10
	s_cselect_b32 vcc_lo, -1, 0
	s_cmp_ngt_f32 s7, 0x42b17218
	s_trunc_f32 s7, s5
	s_add_f32 s9, s9, s10
	s_cvt_i32_f32 s10, s11
	s_delay_alu instid0(SALU_CYCLE_2)
	v_s_exp_f32 s9, s9
	v_nop
	s_delay_alu instid0(TRANS32_DEP_1) | instid1(SALU_CYCLE_1)
	v_ldexp_f32 v1, s9, s10
	s_mul_f32 s9, s5, 0.5
	s_delay_alu instid0(VALU_DEP_1) | instskip(SKIP_3) | instid1(VALU_DEP_1)
	v_cndmask_b32_e32 v1, 0, v1, vcc_lo
	s_cselect_b32 vcc_lo, -1, 0
	s_cmp_eq_f32 s7, s5
	s_trunc_f32 s10, s9
	v_cndmask_b32_e32 v1, 0x7f800000, v1, vcc_lo
	s_cselect_b32 s11, -1, 0
	s_delay_alu instid0(SALU_CYCLE_1) | instskip(NEXT) | instid1(VALU_DEP_1)
	s_cmp_neq_f32 s10, s9
	v_fma_f32 v2, s6, v1, v1
	v_cmp_class_f32_e64 vcc_lo, v1, 0x204
	s_cselect_b32 s8, -1, 0
	s_delay_alu instid0(SALU_CYCLE_1)
	s_and_b32 s6, s11, s8
	v_cndmask_b32_e32 v1, v2, v1, vcc_lo
	s_and_b32 s8, s6, exec_lo
	s_cselect_b32 s8, s4, 1.0
	s_cmp_eq_f32 s7, s5
	v_cmp_class_f32_e64 s7, s4, 0x204
	v_bfi_b32 v1, 0x7fffffff, v1, s8
	s_cselect_b32 vcc_lo, -1, 0
	s_cmp_lt_f32 s4, 0
	s_delay_alu instid0(VALU_DEP_1) | instskip(SKIP_2) | instid1(VALU_DEP_1)
	v_cndmask_b32_e32 v2, 0x7fc00000, v1, vcc_lo
	s_cselect_b32 vcc_lo, -1, 0
	s_cmp_eq_f32 s4, 0
	v_cndmask_b32_e32 v1, v1, v2, vcc_lo
	s_cselect_b32 s8, -1, 0
	s_delay_alu instid0(SALU_CYCLE_1) | instskip(SKIP_2) | instid1(SALU_CYCLE_1)
	s_or_b32 vcc_lo, s8, s7
	s_cmp_lt_f32 s5, 0
	s_cselect_b32 s5, -1, 0
	s_xor_b32 s5, s5, s8
	s_delay_alu instid0(SALU_CYCLE_1)
	s_and_b32 s5, s5, exec_lo
	s_cselect_b32 s5, 0, 0x7f800000
	s_and_b32 s6, s6, exec_lo
	s_cselect_b32 s6, s4, 0
	s_cmp_o_f32 s4, s4
	v_mov_b32_e32 v2, s6
	s_delay_alu instid0(VALU_DEP_1) | instskip(NEXT) | instid1(VALU_DEP_1)
	v_bfi_b32 v2, 0x7fffffff, s5, v2
	v_cndmask_b32_e32 v1, v1, v2, vcc_lo
	s_cselect_b32 vcc_lo, -1, 0
	s_delay_alu instid0(VALU_DEP_1)
	v_cndmask_b32_e32 v239, 0x7fc00000, v1, vcc_lo
.LBB22_2:
	s_load_b64 s[22:23], s[0:1], 0x4
	v_bfe_u32 v233, v0, 10, 10
	s_load_b512 s[4:19], s[2:3], 0x0
	v_and_b32_e32 v232, 0x3ff, v0
	v_bfe_u32 v0, v0, 20, 10
	s_wait_xcnt 0x0
	s_and_b32 s1, ttmp6, 15
	v_dual_mov_b32 v71, 0 :: v_dual_lshlrev_b32 v234, 8, v233
	v_lshlrev_b32_e32 v236, 2, v232
	s_wait_kmcnt 0x0
	v_mul_u32_u24_e32 v1, s23, v233
	s_lshr_b32 s0, s22, 16
	s_bfe_u32 s22, ttmp6, 0x4000c
	s_mul_i32 s0, s0, s23
	s_add_co_i32 s22, s22, 1
	v_mad_u32_u24 v1, s0, v232, v1
	s_mul_i32 s22, ttmp9, s22
	v_cmp_lt_u32_e64 s0, 1, v233
	s_add_co_i32 s1, s1, s22
	s_cmp_eq_u32 s33, 0
	v_add_lshl_u32 v18, v1, v0, 4
	s_cselect_b32 s22, ttmp9, s1
	s_mov_b32 s23, exec_lo
	s_lshl_b32 s30, s22, 1
	s_delay_alu instid0(VALU_DEP_1)
	v_add_nc_u32_e32 v0, 0x604, v18
	v_add_nc_u32_e32 v1, 0x400, v18
	ds_store_2addr_b32 v0, v71, v71 offset1:1
	ds_store_2addr_b32 v1, v71, v71 offset0:128 offset1:131
	v_cmpx_gt_u32_e32 2, v233
	s_cbranch_execz .LBB22_13
; %bb.3:
	v_dual_add_nc_u32 v4, v234, v236 :: v_dual_bitop2_b32 v0, s30, v233 bitop3:0x54
	s_mov_b32 s1, exec_lo
	s_delay_alu instid0(VALU_DEP_1)
	v_cmpx_le_i32_e64 s24, v0
	s_xor_b32 s1, exec_lo, s1
	s_cbranch_execz .LBB22_7
; %bb.4:
	v_mov_b32_e32 v0, 0
	s_mov_b32 s29, exec_lo
	ds_store_b32 v4, v0
	v_cmpx_gt_u32_e32 4, v232
; %bb.5:
	v_mov_b64_e32 v[0:1], 0
	v_add_nc_u32_e32 v2, v4, v236
	ds_store_b64 v2, v[0:1] offset:128
; %bb.6:
	s_or_b32 exec_lo, exec_lo, s29
                                        ; implicit-def: $vgpr4
.LBB22_7:
	s_and_not1_saveexec_b32 s1, s1
	s_cbranch_execz .LBB22_13
; %bb.8:
	s_load_b96 s[44:46], s[2:3], 0x70
	s_wait_kmcnt 0x0
	v_mul_lo_u32 v0, s44, v233
	s_mul_i32 s1, s26, s46
	s_mul_i32 s29, s44, s30
	;; [unrolled: 1-line block ×3, first 2 shown]
	s_add_co_i32 s1, s1, s29
	s_delay_alu instid0(SALU_CYCLE_1) | instskip(NEXT) | instid1(SALU_CYCLE_1)
	s_add_co_i32 s42, s1, s41
	s_ashr_i32 s43, s42, 31
	s_delay_alu instid0(SALU_CYCLE_1) | instskip(NEXT) | instid1(VALU_DEP_1)
	s_add_nc_u64 s[4:5], s[4:5], s[42:43]
	v_ashrrev_i32_e32 v1, 31, v0
	s_delay_alu instid0(VALU_DEP_1) | instskip(SKIP_1) | instid1(VALU_DEP_1)
	v_add_nc_u64_e32 v[2:3], s[4:5], v[0:1]
	v_dual_mov_b32 v1, 0 :: v_dual_lshlrev_b32 v0, 2, v236
	v_add_nc_u64_e32 v[2:3], v[2:3], v[0:1]
	v_mbcnt_lo_u32_b32 v0, -1, 0
	s_delay_alu instid0(VALU_DEP_1) | instskip(SKIP_4) | instid1(VALU_DEP_1)
	v_xor_b32_e32 v5, 4, v0
	global_load_b128 v[10:13], v[2:3], off
	v_cmp_gt_i32_e32 vcc_lo, 32, v5
	v_cndmask_b32_e32 v5, v0, v5, vcc_lo
	s_wait_loadcnt 0x0
	v_dual_mul_f32 v8, s20, v12 :: v_dual_lshlrev_b32 v5, 2, v5
	v_dual_mov_b32 v2, v13 :: v_dual_mov_b32 v3, v11
	v_dual_mul_f32 v6, s20, v10 :: v_dual_bitop2_b32 v13, 1, v0 bitop3:0x14
	s_delay_alu instid0(VALU_DEP_2) | instskip(NEXT) | instid1(VALU_DEP_1)
	v_pk_mul_f32 v[2:3], s[20:21], v[2:3] op_sel_hi:[0,1]
	v_max_num_f32_e64 v7, |v6|, |v3|
	v_fma_f32 v10, s20, v10, v3
	s_delay_alu instid0(VALU_DEP_2) | instskip(NEXT) | instid1(VALU_DEP_2)
	v_max3_num_f32 v7, v7, |v8|, |v2|
	v_fmac_f32_e32 v10, s20, v12
	s_mov_b32 s20, exec_lo
	ds_bpermute_b32 v9, v5, v7
	s_wait_dscnt 0x0
	v_dual_max_num_f32 v9, v9, v9 :: v_dual_bitop2_b32 v11, 2, v0 bitop3:0x14
	s_delay_alu instid0(VALU_DEP_1) | instskip(NEXT) | instid1(VALU_DEP_2)
	v_cmp_gt_i32_e32 vcc_lo, 32, v11
	v_dual_max_num_f32 v7, v7, v9 :: v_dual_cndmask_b32 v11, v0, v11, vcc_lo
	v_cmp_gt_i32_e32 vcc_lo, 32, v13
	s_delay_alu instid0(VALU_DEP_2) | instskip(SKIP_3) | instid1(VALU_DEP_1)
	v_dual_cndmask_b32 v0, v0, v13 :: v_dual_lshlrev_b32 v11, 2, v11
	ds_bpermute_b32 v9, v11, v7
	s_wait_dscnt 0x0
	v_dual_max_num_f32 v9, v9, v9 :: v_dual_lshlrev_b32 v0, 2, v0
	v_max_num_f32_e32 v7, v7, v9
	ds_bpermute_b32 v9, v0, v7
	s_wait_dscnt 0x0
	v_dual_add_f32 v10, v10, v2 :: v_dual_max_num_f32 v9, v9, v9
	ds_bpermute_b32 v5, v5, v10
	v_max_num_f32_e32 v9, v7, v9
	s_delay_alu instid0(VALU_DEP_1) | instskip(NEXT) | instid1(VALU_DEP_1)
	v_div_scale_f32 v12, null, 0x42fe0000, 0x42fe0000, v9
	v_rcp_f32_e32 v13, v12
	s_wait_dscnt 0x0
	v_add_f32_e32 v5, v10, v5
	s_delay_alu instid0(TRANS32_DEP_1) | instskip(SKIP_4) | instid1(VALU_DEP_1)
	v_fma_f32 v7, -v12, v13, 1.0
	ds_bpermute_b32 v10, v11, v5
	v_fmac_f32_e32 v13, v7, v13
	v_div_scale_f32 v11, vcc_lo, v9, 0x42fe0000, v9
	s_wait_dscnt 0x0
	v_dual_add_f32 v5, v5, v10 :: v_dual_mul_f32 v14, v11, v13
	s_delay_alu instid0(VALU_DEP_1) | instskip(NEXT) | instid1(VALU_DEP_1)
	v_fma_f32 v7, -v12, v14, v11
	v_fmac_f32_e32 v14, v7, v13
	ds_bpermute_b32 v7, v0, v5
	v_fma_f32 v0, -v12, v14, v11
	s_delay_alu instid0(VALU_DEP_1) | instskip(NEXT) | instid1(VALU_DEP_1)
	v_div_fmas_f32 v0, v0, v13, v14
	v_div_fixup_f32 v0, v0, 0x42fe0000, v9
	s_delay_alu instid0(VALU_DEP_1)
	v_cmpx_neq_f32_e32 0, v0
	s_cbranch_execz .LBB22_10
; %bb.9:
	v_div_scale_f32 v1, null, v0, v0, v6
	v_div_scale_f32 v9, null, v0, v0, v2
	;; [unrolled: 1-line block ×3, first 2 shown]
	s_delay_alu instid0(VALU_DEP_3) | instskip(NEXT) | instid1(VALU_DEP_2)
	v_rcp_f32_e32 v10, v1
	v_rcp_f32_e32 v12, v9
	v_div_scale_f32 v13, null, v0, v0, v8
	s_delay_alu instid0(VALU_DEP_2) | instskip(SKIP_1) | instid1(TRANS32_DEP_3)
	v_rcp_f32_e32 v16, v11
	v_div_scale_f32 v15, vcc_lo, v6, v0, v6
	v_fma_f32 v14, -v1, v10, 1.0
	s_delay_alu instid0(TRANS32_DEP_2) | instskip(SKIP_2) | instid1(VALU_DEP_2)
	v_fma_f32 v17, -v9, v12, 1.0
	v_rcp_f32_e32 v19, v13
	v_div_scale_f32 v23, s4, v3, v0, v3
	v_dual_fmac_f32 v10, v14, v10 :: v_dual_fmac_f32 v12, v17, v12
	v_div_scale_f32 v14, s1, v2, v0, v2
	v_fma_f32 v17, -v11, v16, 1.0
	s_delay_alu instid0(TRANS32_DEP_1) | instskip(NEXT) | instid1(VALU_DEP_3)
	v_fma_f32 v20, -v13, v19, 1.0
	v_dual_mul_f32 v21, v15, v10 :: v_dual_mul_f32 v22, v14, v12
	s_delay_alu instid0(VALU_DEP_2) | instskip(NEXT) | instid1(VALU_DEP_2)
	v_dual_fmac_f32 v16, v17, v16 :: v_dual_fmac_f32 v19, v20, v19
	v_fma_f32 v17, -v1, v21, v15
	v_div_scale_f32 v20, s5, v8, v0, v8
	s_delay_alu instid0(VALU_DEP_3) | instskip(NEXT) | instid1(VALU_DEP_2)
	v_dual_fma_f32 v24, -v9, v22, v14 :: v_dual_mul_f32 v25, v23, v16
	v_dual_fmac_f32 v21, v17, v10 :: v_dual_mul_f32 v17, v20, v19
	s_delay_alu instid0(VALU_DEP_2) | instskip(NEXT) | instid1(VALU_DEP_1)
	v_dual_fmac_f32 v22, v24, v12 :: v_dual_fma_f32 v24, -v11, v25, v23
	v_fma_f32 v9, -v9, v22, v14
	s_delay_alu instid0(VALU_DEP_3) | instskip(NEXT) | instid1(VALU_DEP_3)
	v_fma_f32 v14, -v13, v17, v20
	v_dual_fma_f32 v1, -v1, v21, v15 :: v_dual_fmac_f32 v25, v24, v16
	s_delay_alu instid0(VALU_DEP_2) | instskip(NEXT) | instid1(VALU_DEP_2)
	v_fmac_f32_e32 v17, v14, v19
	v_div_fmas_f32 v1, v1, v10, v21
	s_delay_alu instid0(VALU_DEP_3) | instskip(SKIP_1) | instid1(VALU_DEP_3)
	v_fma_f32 v10, -v11, v25, v23
	s_mov_b32 vcc_lo, s1
	v_fma_f32 v11, -v13, v17, v20
	v_div_fmas_f32 v9, v9, v12, v22
	s_mov_b32 vcc_lo, s4
	v_div_fixup_f32 v1, v1, v0, v6
	v_div_fmas_f32 v10, v10, v16, v25
	s_mov_b32 vcc_lo, s5
	v_div_fixup_f32 v2, v9, v0, v2
	v_div_fmas_f32 v11, v11, v19, v17
	v_trunc_f32_e32 v13, v1
	v_div_fixup_f32 v3, v10, v0, v3
	s_delay_alu instid0(VALU_DEP_4) | instskip(NEXT) | instid1(VALU_DEP_4)
	v_trunc_f32_e32 v6, v2
	v_div_fixup_f32 v8, v11, v0, v8
	s_delay_alu instid0(VALU_DEP_3) | instskip(NEXT) | instid1(VALU_DEP_3)
	v_trunc_f32_e32 v9, v3
	v_sub_f32_e32 v14, v2, v6
	s_delay_alu instid0(VALU_DEP_3) | instskip(NEXT) | instid1(VALU_DEP_1)
	v_trunc_f32_e32 v10, v8
	v_dual_sub_f32 v12, v3, v9 :: v_dual_sub_f32 v11, v8, v10
	s_delay_alu instid0(VALU_DEP_1) | instskip(NEXT) | instid1(VALU_DEP_1)
	v_cmp_ge_f32_e64 s1, |v11|, 0.5
	v_cndmask_b32_e64 v11, 0, 1.0, s1
	s_delay_alu instid0(VALU_DEP_3) | instskip(NEXT) | instid1(VALU_DEP_2)
	v_cmp_ge_f32_e64 s1, |v12|, 0.5
	v_bfi_b32 v8, 0x7fffffff, v11, v8
	s_delay_alu instid0(VALU_DEP_2) | instskip(SKIP_2) | instid1(VALU_DEP_3)
	v_cndmask_b32_e64 v12, 0, 1.0, s1
	v_sub_f32_e32 v11, v1, v13
	v_cmp_ge_f32_e64 s1, |v14|, 0.5
	v_bfi_b32 v3, 0x7fffffff, v12, v3
	v_add_f32_e32 v8, v10, v8
	s_delay_alu instid0(VALU_DEP_3) | instskip(SKIP_1) | instid1(VALU_DEP_4)
	v_cndmask_b32_e64 v14, 0, 1.0, s1
	v_cmp_ge_f32_e64 s1, |v11|, 0.5
	v_add_f32_e32 v3, v9, v3
	s_delay_alu instid0(VALU_DEP_4) | instskip(NEXT) | instid1(VALU_DEP_4)
	v_cvt_i32_f32_e32 v8, v8
	v_bfi_b32 v2, 0x7fffffff, v14, v2
	s_delay_alu instid0(VALU_DEP_4) | instskip(NEXT) | instid1(VALU_DEP_4)
	v_cndmask_b32_e64 v10, 0, 1.0, s1
	v_cvt_i32_f32_e32 v3, v3
	s_delay_alu instid0(VALU_DEP_2) | instskip(NEXT) | instid1(VALU_DEP_4)
	v_bfi_b32 v1, 0x7fffffff, v10, v1
	v_add_f32_e32 v2, v6, v2
	v_and_b32_e32 v6, 0xff, v8
	s_delay_alu instid0(VALU_DEP_4) | instskip(NEXT) | instid1(VALU_DEP_4)
	v_and_b32_e32 v3, 0xff, v3
	v_add_f32_e32 v1, v13, v1
	s_delay_alu instid0(VALU_DEP_4) | instskip(NEXT) | instid1(VALU_DEP_3)
	v_cvt_i32_f32_e32 v2, v2
	v_dual_lshlrev_b32 v6, 16, v6 :: v_dual_lshlrev_b32 v3, 8, v3
	s_delay_alu instid0(VALU_DEP_3) | instskip(NEXT) | instid1(VALU_DEP_2)
	v_cvt_i32_f32_e32 v1, v1
	v_lshl_or_b32 v2, v2, 24, v6
	s_delay_alu instid0(VALU_DEP_2) | instskip(NEXT) | instid1(VALU_DEP_1)
	v_and_b32_e32 v1, 0xff, v1
	v_or3_b32 v1, v2, v3, v1
.LBB22_10:
	s_or_b32 exec_lo, exec_lo, s20
	v_and_b32_e32 v2, 7, v232
	s_mov_b32 s1, exec_lo
	ds_store_b32 v4, v1
	v_cmpx_eq_u32_e32 0, v2
	s_cbranch_execz .LBB22_12
; %bb.11:
	s_wait_dscnt 0x1
	v_dual_add_f32 v1, v5, v7 :: v_dual_add_nc_u32 v2, v234, v232
	ds_store_b64 v2, v[0:1] offset:128
.LBB22_12:
	s_or_b32 exec_lo, exec_lo, s1
.LBB22_13:
	s_delay_alu instid0(SALU_CYCLE_1) | instskip(SKIP_4) | instid1(VALU_DEP_1)
	s_or_b32 exec_lo, exec_lo, s23
	v_and_b32_e32 v17, 1, v232
	s_wait_dscnt 0x0
	s_barrier_signal -1
	s_barrier_wait -1
	v_lshlrev_b32_e32 v36, 2, v17
	s_cmp_eq_u64 s[14:15], 0
	s_mov_b32 s29, s38
	ds_load_2addr_b32 v[38:39], v36 offset1:2
	ds_load_2addr_b32 v[40:41], v36 offset0:4 offset1:6
	ds_load_2addr_b32 v[42:43], v36 offset0:8 offset1:10
	;; [unrolled: 1-line block ×3, first 2 shown]
	ds_load_b128 v[0:3], v71 offset:128
	ds_load_b128 v[4:7], v71 offset:144
	ds_load_2addr_b32 v[46:47], v36 offset0:16 offset1:18
	ds_load_2addr_b32 v[48:49], v36 offset0:20 offset1:22
	;; [unrolled: 1-line block ×9, first 2 shown]
	ds_load_b128 v[8:11], v71 offset:384
	ds_load_b128 v[12:15], v71 offset:400
	ds_load_2addr_b32 v[64:65], v36 offset0:84 offset1:86
	ds_load_2addr_b32 v[66:67], v36 offset0:88 offset1:90
	;; [unrolled: 1-line block ×3, first 2 shown]
	s_wait_dscnt 0x0
	s_barrier_signal -1
	s_barrier_wait -1
	s_cbranch_scc1 .LBB22_15
; %bb.14:
	s_load_b32 s1, s[2:3], 0xd0
	s_wait_kmcnt 0x0
	s_mul_i32 s1, s1, s26
	s_delay_alu instid0(SALU_CYCLE_1)
	s_add_co_i32 s1, s1, s22
	s_load_b32 s29, s[14:15], s1 offset:0x0 scale_offset
.LBB22_15:
	v_lshlrev_b32_e32 v16, 5, v233
	s_wait_xcnt 0x0
	s_bfe_u32 s1, ttmp6, 0x40010
	s_and_b32 s4, ttmp7, 0xffff
	s_add_co_i32 s1, s1, 1
	s_bfe_u32 s5, ttmp6, 0x40004
	s_mul_i32 s1, s4, s1
	v_add_nc_u32_e32 v235, v16, v232
	s_add_co_i32 s5, s5, s1
	s_cmp_eq_u32 s33, 0
	v_add_nc_u32_e32 v238, 0x600, v18
	s_cselect_b32 s33, s4, s5
	v_mbcnt_lo_u32_b32 v240, -1, 0
	v_lshlrev_b32_e32 v237, 1, v235
	s_lshl_b32 s50, s33, 7
	s_mov_b32 s5, 0
	s_wait_kmcnt 0x0
	s_cmp_ge_i32 s50, s29
	s_cbranch_scc1 .LBB22_43
; %bb.16:
	s_clause 0x1
	s_load_b128 s[20:23], s[2:3], 0x98
	s_load_b64 s[46:47], s[2:3], 0x8c
	v_dual_mov_b32 v37, 0 :: v_dual_bitop2_b32 v18, 12, v236 bitop3:0x40
	v_bfe_u32 v21, v232, 3, 27
	v_dual_add_nc_u32 v25, 31, v16 :: v_dual_add_nc_u32 v27, 30, v16
	s_mul_f32 s15, s40, 0x4f7ffffe
	s_clause 0x2
	s_load_b64 s[44:45], s[2:3], 0xa8
	s_load_b64 s[40:41], s[2:3], 0xc8
	s_load_b32 s51, s[2:3], 0xd4
	v_mul_hi_u32_u24_e32 v23, 22, v21
	v_mul_u32_u24_e32 v22, 22, v21
	s_mul_f32 s42, s36, 0x4f7ffffe
	s_cvt_u32_f32 s15, s15
	s_sub_co_i32 s4, 0, s39
	s_ashr_i32 s48, s28, 31
	s_ashr_i32 s49, s27, 31
	s_mul_i32 s4, s4, s15
	s_xor_b32 s49, s48, s49
	s_cvt_u32_f32 s48, s42
	s_sub_co_i32 s1, 0, s34
	s_wait_kmcnt 0x0
	v_mul_lo_u32 v20, v16, s22
	v_mov_b32_e32 v19, v37
	v_mul_lo_u32 v32, s22, v25
	s_mul_hi_u32 s4, s15, s4
	v_mul_lo_u32 v70, s22, v27
	s_abs_i32 s36, s28
	s_mov_b32 s43, s37
	s_mul_i32 s1, s1, s48
	s_add_co_i32 s42, s15, s4
	s_mul_hi_u32 s1, s48, s1
	s_mul_u64 s[42:43], s[36:37], s[42:43]
	v_add_nc_u32_e32 v24, s22, v20
	v_mad_nc_u64_u32 v[22:23], s44, s26, v[22:23]
	s_add_co_i32 s48, s48, s1
	s_mul_i32 s1, s43, s39
	v_dual_add_nc_u32 v71, 29, v16 :: v_dual_add_nc_u32 v87, 28, v16
	v_add_nc_u32_e32 v26, s22, v24
	s_sub_co_i32 s1, s36, s1
	s_abs_i32 s14, s26
	s_ashr_i32 s27, s26, 31
	s_delay_alu instid0(VALU_DEP_1)
	v_dual_ashrrev_i32 v21, 31, v20 :: v_dual_add_nc_u32 v28, s22, v26
	s_add_co_i32 s4, s43, 1
	s_sub_co_i32 s15, s1, s39
	s_cmp_ge_u32 s1, s39
	v_mul_lo_u32 v90, s22, v71
	v_add_nc_u32_e32 v30, s22, v28
	s_cselect_b32 s4, s4, s43
	s_mul_i32 s36, s45, s26
	s_mul_i32 s42, s44, s27
	s_cselect_b32 s1, s15, s1
	v_add_nc_u32_e32 v34, s22, v30
	s_add_co_i32 s15, s4, 1
	s_cmp_ge_u32 s1, s39
	v_add3_u32 v23, s42, s36, v23
	s_cselect_b32 s1, s15, s4
	v_add_nc_u32_e32 v72, s22, v34
	s_xor_b32 s1, s1, s49
	v_mul_lo_u32 v92, s22, v87
	v_add_nc_u64_e32 v[18:19], v[22:23], v[18:19]
	s_delay_alu instid0(VALU_DEP_3) | instskip(SKIP_3) | instid1(VALU_DEP_3)
	v_dual_ashrrev_i32 v27, 31, v26 :: v_dual_add_nc_u32 v74, s22, v72
	v_ashrrev_i32_e32 v33, 31, v32
	s_sub_co_i32 s1, s1, s49
	v_dual_ashrrev_i32 v91, 31, v90 :: v_dual_add_nc_u32 v98, 27, v16
	v_add_nc_u32_e32 v76, s22, v74
	s_mul_i32 s42, s1, s23
	v_add_nc_u32_e32 v99, 25, v16
	s_ashr_i32 s43, s42, 31
	s_delay_alu instid0(VALU_DEP_2)
	v_dual_ashrrev_i32 v31, 31, v30 :: v_dual_add_nc_u32 v82, s22, v76
	v_ashrrev_i32_e32 v25, 31, v24
	v_add_nc_u64_e32 v[78:79], s[42:43], v[22:23]
	v_add_nc_u64_e32 v[80:81], s[42:43], v[18:19]
	v_mul_lo_u32 v98, s22, v98
	v_dual_add_nc_u32 v84, s22, v82 :: v_dual_ashrrev_i32 v73, 31, v72
	v_ashrrev_i32_e32 v75, 31, v74
	s_mov_b32 s15, s37
	s_delay_alu instid0(VALU_DEP_2) | instskip(SKIP_3) | instid1(VALU_DEP_4)
	v_dual_ashrrev_i32 v83, 31, v82 :: v_dual_add_nc_u32 v86, s22, v84
	v_ashrrev_i32_e32 v77, 31, v76
	v_add_nc_u64_e32 v[106:107], v[80:81], v[90:91]
	v_add_nc_u64_e32 v[116:117], v[78:79], v[90:91]
	v_dual_add_nc_u32 v91, 26, v16 :: v_dual_add_nc_u32 v88, s22, v86
	s_mov_b32 s49, s37
	v_add_nc_u32_e32 v127, 21, v16
	v_add_nc_u64_e32 v[208:209], v[80:81], v[72:73]
	s_delay_alu instid0(VALU_DEP_3) | instskip(SKIP_3) | instid1(VALU_DEP_4)
	v_dual_ashrrev_i32 v87, 31, v86 :: v_dual_add_nc_u32 v94, s22, v88
	v_ashrrev_i32_e32 v89, 31, v88
	v_mul_lo_u32 v108, s22, v91
	v_add_nc_u64_e32 v[210:211], v[78:79], v[72:73]
	v_dual_ashrrev_i32 v93, 31, v92 :: v_dual_ashrrev_i32 v95, 31, v94
	v_add_nc_u32_e32 v96, s22, v94
	s_mul_u64 s[36:37], s[14:15], s[48:49]
	v_and_b32_e32 v72, 30, v240
	s_delay_alu instid0(VALU_DEP_3)
	v_add_nc_u64_e32 v[110:111], v[80:81], v[92:93]
	v_add_nc_u64_e32 v[120:121], v[78:79], v[92:93]
	v_dual_ashrrev_i32 v97, 31, v96 :: v_dual_add_nc_u32 v104, s22, v96
	v_mul_lo_u32 v92, s22, v99
	v_ashrrev_i32_e32 v99, 31, v98
	s_mul_i32 s4, s37, s34
	s_mul_i32 s44, s1, s47
	v_add_nc_u32_e32 v90, s22, v104
	v_add_nc_u32_e32 v105, 24, v16
	v_add_nc_u64_e32 v[118:119], v[80:81], v[98:99]
	v_add_nc_u64_e32 v[124:125], v[78:79], v[98:99]
	v_dual_add_nc_u32 v98, 23, v16 :: v_dual_add_nc_u32 v99, 22, v16
	v_dual_add_nc_u32 v114, s22, v90 :: v_dual_ashrrev_i32 v109, 31, v108
	s_sub_co_i32 s1, s14, s4
	s_delay_alu instid0(VALU_DEP_2) | instskip(NEXT) | instid1(VALU_DEP_2)
	v_mul_lo_u32 v98, s22, v98
	v_dual_ashrrev_i32 v93, 31, v92 :: v_dual_ashrrev_i32 v115, 31, v114
	v_mul_lo_u32 v126, s22, v99
	v_add_nc_u32_e32 v99, 20, v16
	v_add_nc_u64_e32 v[122:123], v[80:81], v[108:109]
	v_add_nc_u64_e32 v[128:129], v[78:79], v[108:109]
	;; [unrolled: 1-line block ×3, first 2 shown]
	v_add_nc_u32_e32 v109, 19, v16
	v_add_nc_u64_e32 v[132:133], v[78:79], v[92:93]
	v_mul_lo_u32 v92, s22, v99
	v_ashrrev_i32_e32 v99, 31, v98
	v_add_nc_u64_e32 v[204:205], v[80:81], v[74:75]
	v_add_nc_u64_e32 v[206:207], v[78:79], v[74:75]
	v_add_nc_u32_e32 v72, 2, v72
	v_xor_b32_e32 v74, 16, v240
	v_xor_b32_e32 v73, 1, v240
	s_ashr_i32 s45, s44, 31
	s_sub_co_i32 s4, s1, s34
	s_cmp_ge_u32 s1, s34
	v_add_nc_u64_e32 v[140:141], v[80:81], v[98:99]
	s_cselect_b32 s1, s4, s1
	v_add_nc_u64_e32 v[142:143], v[78:79], v[98:99]
	v_add_nc_u32_e32 v98, s22, v114
	v_mul_lo_u32 v136, s22, v109
	v_cmp_lt_i32_e32 vcc_lo, v73, v72
	v_and_b32_e32 v72, 0x7e, v232
	s_sub_co_i32 s4, s1, s34
	s_cmp_ge_u32 s1, s34
	v_mul_lo_u32 v112, s22, v105
	s_cselect_b32 s1, s4, s1
	v_dual_ashrrev_i32 v105, 31, v104 :: v_dual_ashrrev_i32 v91, 31, v90
	v_add_nc_u64_e32 v[188:189], v[80:81], v[86:87]
	v_add_nc_u64_e32 v[190:191], v[78:79], v[86:87]
	v_add_nc_u32_e32 v86, v16, v72
	v_ashrrev_i32_e32 v93, 31, v92
	s_xor_b32 s4, s1, s27
	v_cmp_eq_u32_e64 s1, 0, v17
	v_cndmask_b32_e32 v17, v240, v73, vcc_lo
	v_add_nc_u64_e32 v[172:173], v[80:81], v[104:105]
	v_add_nc_u64_e32 v[174:175], v[78:79], v[104:105]
	v_mul_lo_u32 v104, v86, s46
	s_delay_alu instid0(VALU_DEP_4)
	v_dual_ashrrev_i32 v137, 31, v136 :: v_dual_lshlrev_b32 v241, 2, v17
	v_xor_b32_e32 v73, 8, v240
	v_xor_b32_e32 v17, 2, v240
	;; [unrolled: 1-line block ×3, first 2 shown]
	v_add_nc_u64_e32 v[168:169], v[80:81], v[90:91]
	v_add_nc_u64_e32 v[170:171], v[78:79], v[90:91]
	s_sub_co_i32 s36, s4, s27
	v_cmp_gt_i32_e32 vcc_lo, 32, v17
	s_mul_i32 s14, s35, s30
	v_dual_ashrrev_i32 v105, 31, v104 :: v_dual_add_nc_u32 v90, s46, v104
	s_ashr_i32 s37, s36, 31
	v_cndmask_b32_e32 v17, v240, v17, vcc_lo
	v_cmp_gt_i32_e32 vcc_lo, 32, v72
	s_ashr_i32 s15, s14, 31
	v_add_nc_u64_e32 v[184:185], v[80:81], v[88:89]
	v_add_nc_u64_e32 v[186:187], v[78:79], v[88:89]
	s_cmp_lg_u64 s[10:11], 0
	v_dual_cndmask_b32 v72, v240, v72 :: v_dual_ashrrev_i32 v91, 31, v90
	v_add_nc_u32_e32 v88, s38, v86
	s_cselect_b32 s47, -1, 0
	s_lshl_b32 s34, s51, 7
	s_mul_u64 s[48:49], s[20:21], s[26:27]
	s_cmp_lt_i32 s30, s24
	v_dual_ashrrev_i32 v89, 31, v88 :: v_dual_lshlrev_b32 v242, 2, v17
	s_cselect_b32 s27, -1, 0
	v_dual_add_f32 v72, v15, v15 :: v_dual_lshlrev_b32 v243, 2, v72
	v_lshlrev_b32_e32 v246, 1, v16
	v_add_nc_u64_e32 v[16:17], s[48:49], v[36:37]
	s_or_b32 s35, s30, 1
	v_dual_ashrrev_i32 v85, 31, v84 :: v_dual_ashrrev_i32 v71, 31, v70
	s_and_b32 s27, s47, s27
	v_mov_b32_e32 v87, v37
	s_cmp_lt_i32 s35, s24
	v_mul_lo_u32 v108, s22, v127
	s_cselect_b32 s51, -1, 0
	s_ashr_i32 s39, s38, 31
	s_mul_u64 s[40:41], s[40:41], s[36:37]
	s_lshl_b32 s54, s50, 1
	s_mov_b32 s55, s5
	v_add_nc_u64_e32 v[18:19], v[18:19], v[20:21]
	v_add_nc_u64_e32 v[152:153], v[80:81], v[92:93]
	;; [unrolled: 1-line block ×7, first 2 shown]
	v_lshlrev_b32_e32 v86, 1, v86
	v_add_nc_u64_e32 v[16:17], s[44:45], v[16:17]
	s_add_nc_u64 s[56:57], s[40:41], s[54:55]
	s_add_nc_u64 s[38:39], s[10:11], s[54:55]
	;; [unrolled: 1-line block ×3, first 2 shown]
	v_add_nc_u64_e32 v[180:181], v[80:81], v[94:95]
	v_add_nc_u64_e32 v[182:183], v[78:79], v[94:95]
	;; [unrolled: 1-line block ×3, first 2 shown]
	s_add_nc_u64 s[10:11], s[8:9], s[42:43]
	v_add_nc_u64_e32 v[22:23], v[22:23], v[20:21]
	v_add_nc_u64_e32 v[20:21], v[78:79], v[24:25]
	;; [unrolled: 1-line block ×6, first 2 shown]
	v_dual_ashrrev_i32 v109, 31, v108 :: v_dual_ashrrev_i32 v99, 31, v98
	s_add_nc_u64 s[52:53], s[6:7], s[44:45]
	v_add_nc_u64_e32 v[102:103], v[80:81], v[70:71]
	v_add_nc_u64_e32 v[176:177], v[80:81], v[96:97]
	;; [unrolled: 1-line block ×10, first 2 shown]
	s_add_nc_u64 s[52:53], s[52:53], s[48:49]
	v_add_nc_u64_e32 v[100:101], s[8:9], v[20:21]
	v_add_nc_u64_e32 v[86:87], s[52:53], v[90:91]
	;; [unrolled: 1-line block ×4, first 2 shown]
	s_add_nc_u64 s[10:11], s[48:49], s[44:45]
	v_add_nc_u64_e32 v[20:21], s[8:9], v[102:103]
	s_add_nc_u64 s[6:7], s[6:7], s[10:11]
	v_dual_ashrrev_i32 v113, 31, v112 :: v_dual_ashrrev_i32 v127, 31, v126
	v_add_nc_u64_e32 v[102:103], s[6:7], v[104:105]
	v_add_nc_u64_e32 v[104:105], 6, v[16:17]
	;; [unrolled: 1-line block ×60, first 2 shown]
	v_dual_ashrrev_i32 v29, 31, v28 :: v_dual_ashrrev_i32 v35, 31, v34
	v_add_nc_u64_e32 v[196:197], v[80:81], v[82:83]
	v_add_nc_u64_e32 v[168:169], s[8:9], v[170:171]
	;; [unrolled: 1-line block ×14, first 2 shown]
	v_cmp_gt_i32_e32 vcc_lo, 32, v73
	v_add_nc_u64_e32 v[180:181], s[8:9], v[182:183]
	v_add_nc_u64_e32 v[182:183], 6, v[20:21]
	;; [unrolled: 1-line block ×9, first 2 shown]
	v_dual_cndmask_b32 v73, v240, v73, vcc_lo :: v_dual_mov_b32 v15, v14
	v_cmp_gt_i32_e32 vcc_lo, 32, v74
	v_add_nc_u64_e32 v[216:217], v[80:81], v[28:29]
	v_add_nc_u64_e32 v[218:219], v[80:81], v[26:27]
	;; [unrolled: 1-line block ×5, first 2 shown]
	v_cndmask_b32_e32 v74, v240, v74, vcc_lo
	v_add_nc_u64_e32 v[208:209], s[8:9], v[210:211]
	v_add_nc_u64_e32 v[210:211], 6, v[16:17]
	;; [unrolled: 1-line block ×3, first 2 shown]
	ds_load_b128 v[16:19], v238
	v_add_nc_u64_e32 v[32:33], v[78:79], v[32:33]
	v_add_nc_u64_e32 v[70:71], v[78:79], v[70:71]
	;; [unrolled: 1-line block ×6, first 2 shown]
	v_dual_add_f32 v74, v13, v13 :: v_dual_lshlrev_b32 v245, 2, v74
	v_dual_mov_b32 v13, v12 :: v_dual_add_f32 v76, v11, v11
	v_add_f32_e32 v78, v7, v7
	s_add_nc_u64 s[38:39], s[38:39], s[40:41]
	v_add_nc_u64_e32 v[204:205], s[8:9], v[206:207]
	v_add_nc_u64_e32 v[206:207], 6, v[20:21]
	;; [unrolled: 1-line block ×4, first 2 shown]
	v_lshl_add_u64 v[92:93], v[92:93], 1, s[38:39]
	v_dual_mov_b32 v77, v76 :: v_dual_mov_b32 v7, v6
	v_dual_add_f32 v80, v5, v5 :: v_dual_mov_b32 v79, v78
	v_dual_add_f32 v82, v3, v3 :: v_dual_bitop2_b32 v247, 28, v236 bitop3:0x40
	v_add_f32_e32 v1, v1, v1
	v_add_nc_u64_e32 v[92:93], 2, v[92:93]
	v_add_nc_u64_e32 v[108:109], s[8:9], v[32:33]
	;; [unrolled: 1-line block ×14, first 2 shown]
	v_dual_mov_b32 v73, v72 :: v_dual_lshlrev_b32 v244, 2, v73
	v_dual_mov_b32 v75, v74 :: v_dual_mov_b32 v11, v10
	v_dual_mov_b32 v5, v4 :: v_dual_mov_b32 v81, v80
	;; [unrolled: 1-line block ×3, first 2 shown]
	v_lshl_add_u64 v[88:89], v[88:89], 1, s[38:39]
	v_dual_mov_b32 v70, v37 :: v_dual_mov_b32 v71, v37
	v_dual_add_f32 v9, v9, v9 :: v_dual_bitop2_b32 v248, 8, v36 bitop3:0x54
	v_dual_mov_b32 v226, v37 :: v_dual_bitop2_b32 v249, 16, v36 bitop3:0x54
	v_or_b32_e32 v250, 24, v36
	v_and_b32_e32 v251, 4, v232
	v_or_b32_e32 v252, 1, v247
	v_or_b32_e32 v253, 2, v247
	;; [unrolled: 1-line block ×3, first 2 shown]
	v_dual_mov_b32 v29, 0xfeffffff :: v_dual_mov_b32 v28, 0xfeffffff
	s_mov_b32 s35, s5
	s_mul_i32 s4, s22, s50
	s_mul_i32 s20, s46, s50
	s_mov_b32 s21, s5
	s_mul_i32 s36, s34, s46
	s_mov_b32 s37, s5
	;; [unrolled: 2-line block ×3, first 2 shown]
	s_and_b32 s8, s47, s51
	s_lshl_b64 s[6:7], s[34:35], 1
	s_mov_b32 s9, 0xbbbac73d
.LBB22_17:                              ; =>This Inner Loop Header: Depth=1
	v_add_nc_u64_e32 v[20:21], s[20:21], v[102:103]
	v_add_nc_u64_e32 v[22:23], s[20:21], v[96:97]
	global_load_b32 v24, v[20:21], off offset:2
	s_clause 0x2
	global_load_b32 v25, v[22:23], off offset:6
	global_load_b32 v26, v[22:23], off offset:14
	;; [unrolled: 1-line block ×3, first 2 shown]
	s_clause 0x5
	global_load_b32 v30, v[20:21], off offset:24
	s_set_vgpr_msb 64                       ;  msbs: dst=1 src0=0 src1=0 src2=0
	global_load_u16 v6 /*v262*/, v[20:21], off offset:66
	s_set_vgpr_msb 0                        ;  msbs: dst=0 src0=0 src1=0 src2=0
	global_load_u16 v31, v[20:21], off offset:44
	global_load_u16 v228, v[20:21], off offset:22
	global_load_b32 v32, v[22:23], off offset:36
	global_load_b32 v33, v[20:21], off offset:46
	s_clause 0x1
	global_load_b32 v34, v[22:23], off offset:50
	global_load_b32 v35, v[22:23], off offset:58
	;; [unrolled: 1-line block ×3, first 2 shown]
	s_clause 0x1
	global_load_b32 v227, v[22:23], off offset:72
	global_load_b32 v229, v[22:23], off offset:80
                                        ; kill: killed $vgpr22_vgpr23
	global_load_u16 v23, v[20:21], off
	s_wait_loadcnt 0xf
	s_wait_xcnt 0x0
	v_ashrrev_i32_e32 v20, v36, v24
	s_wait_loadcnt 0xe
	v_and_b32_e32 v21, 0xf0f0f0f, v25
	v_dual_ashrrev_i32 v230, v248, v24 :: v_dual_ashrrev_i32 v255, v249, v24
	v_lshrrev_b32_e32 v25, 4, v25
	s_wait_loadcnt 0xb
	s_set_vgpr_msb 64                       ;  msbs: dst=1 src0=0 src1=0 src2=0
	v_dual_ashrrev_i32 v0 /*v256*/, v250, v24 :: v_dual_ashrrev_i32 v1 /*v257*/, v36, v30
	v_dual_lshlrev_b32 v17 /*v273*/, 11, v20 :: v_dual_lshlrev_b32 v18 /*v274*/, 18, v20
	v_dual_lshlrev_b32 v19 /*v275*/, 4, v230 :: v_dual_lshlrev_b32 v20 /*v276*/, 11, v230
	v_dual_lshlrev_b32 v21 /*v277*/, 18, v230 :: v_dual_lshlrev_b32 v22 /*v278*/, 4, v255
	s_wait_loadcnt 0x3
	v_dual_ashrrev_i32 v11 /*v267*/, v36, v37 :: v_dual_ashrrev_i32 v15 /*v271*/, v249, v37
	v_dual_ashrrev_i32 v13 /*v269*/, v248, v37 :: v_dual_lshlrev_b32 v16 /*v272*/, 4, v20
	s_set_vgpr_msb 0                        ;  msbs: dst=0 src0=0 src1=0 src2=0
	v_dual_ashrrev_i32 v37, v250, v37 :: v_dual_lshlrev_b32 v20, 25, v20
	s_wait_loadcnt 0x2
	s_set_vgpr_msb 64                       ;  msbs: dst=1 src0=0 src1=0 src2=0
	v_and_b32_e32 v12 /*v268*/, 0xf0f0f0f, v227
	s_wait_loadcnt 0x1
	v_and_b32_e32 v14 /*v270*/, 0xf0f0f0f, v229
	s_set_vgpr_msb 0                        ;  msbs: dst=0 src0=0 src1=0 src2=0
	v_dual_lshrrev_b32 v227, 4, v227 :: v_dual_lshrrev_b32 v229, 4, v229
	v_lshlrev_b32_e32 v230, 25, v230
	s_set_vgpr_msb 0x44                     ;  msbs: dst=1 src0=0 src1=1 src2=0
	v_dual_lshlrev_b32 v25 /*v281*/, 4, v0 /*v256*/ :: v_dual_lshlrev_b32 v26 /*v282*/, 11, v0 /*v256*/
	v_dual_lshlrev_b32 v27 /*v283*/, 18, v0 /*v256*/ :: v_dual_lshlrev_b32 v0 /*v256*/, 25, v0 /*v256*/
	v_and_b32_e32 v18 /*v274*/, 0x100000, v18 /*v274*/
	s_set_vgpr_msb 0                        ;  msbs: dst=0 src0=0 src1=0 src2=0
	v_and_b32_e32 v20, 0x10000000, v20
	s_set_vgpr_msb 64                       ;  msbs: dst=1 src0=0 src1=0 src2=0
	v_dual_lshlrev_b32 v23 /*v279*/, 11, v255 :: v_dual_lshlrev_b32 v24 /*v280*/, 18, v255
	s_set_vgpr_msb 0                        ;  msbs: dst=0 src0=0 src1=0 src2=0
	v_lshlrev_b32_e32 v255, 25, v255
	s_set_vgpr_msb 64                       ;  msbs: dst=1 src0=0 src1=0 src2=0
	v_dual_lshlrev_b32 v61 /*v317*/, 4, v37 :: v_dual_lshlrev_b32 v63 /*v319*/, 18, v37
	v_and_b32_e32 v62 /*v318*/, 0xf0f0f0f, v229
	s_set_vgpr_msb 0                        ;  msbs: dst=0 src0=0 src1=0 src2=0
	v_dual_lshlrev_b32 v229, 11, v37 :: v_dual_lshlrev_b32 v37, 25, v37
	s_set_vgpr_msb 0x44                     ;  msbs: dst=1 src0=0 src1=1 src2=0
	v_and_b32_e32 v16 /*v272*/, 16, v16 /*v272*/
	v_and_b32_e32 v17 /*v273*/, 0x1000, v17 /*v273*/
	;; [unrolled: 1-line block ×4, first 2 shown]
	s_set_vgpr_msb 0                        ;  msbs: dst=0 src0=0 src1=0 src2=0
	v_and_b32_e32 v230, 0x10000000, v230
	s_set_vgpr_msb 0x44                     ;  msbs: dst=1 src0=0 src1=1 src2=0
	v_and_b32_e32 v25 /*v281*/, 16, v25 /*v281*/
	v_and_b32_e32 v27 /*v283*/, 0x100000, v27 /*v283*/
	;; [unrolled: 1-line block ×3, first 2 shown]
	s_set_vgpr_msb 16                       ;  msbs: dst=0 src0=0 src1=0 src2=1
	v_or3_b32 v20, v20, v21, v18 /*v274*/
	v_and_b32_e32 v231, 0xf0f0f0f, v26
	s_set_vgpr_msb 64                       ;  msbs: dst=1 src0=0 src1=0 src2=0
	v_dual_ashrrev_i32 v3 /*v259*/, v248, v30 :: v_dual_ashrrev_i32 v5 /*v261*/, v249, v30
	v_and_b32_e32 v4 /*v260*/, 0xf0f0f0f, v32
	s_set_vgpr_msb 0                        ;  msbs: dst=0 src0=0 src1=0 src2=0
	v_dual_lshrrev_b32 v32, 4, v32 :: v_dual_ashrrev_i32 v30, v250, v30
	s_set_vgpr_msb 64                       ;  msbs: dst=1 src0=0 src1=0 src2=0
	v_dual_ashrrev_i32 v7 /*v263*/, v36, v33 :: v_dual_ashrrev_i32 v10 /*v266*/, v249, v33
	s_set_vgpr_msb 0                        ;  msbs: dst=0 src0=0 src1=0 src2=0
	v_cvt_f32_f16_e32 v22, v31
	v_ashrrev_i32_e32 v31, v248, v33
	s_set_vgpr_msb 64                       ;  msbs: dst=1 src0=0 src1=0 src2=0
	v_and_b32_e32 v9 /*v265*/, 0xf0f0f0f, v35
	s_set_vgpr_msb 0                        ;  msbs: dst=0 src0=0 src1=0 src2=0
	v_dual_lshrrev_b32 v35, 4, v35 :: v_dual_ashrrev_i32 v33, v250, v33
	v_and_b32_e32 v25, 0xf0f0f0f, v25
	s_set_vgpr_msb 0x44                     ;  msbs: dst=1 src0=0 src1=1 src2=0
	v_dual_lshlrev_b32 v28 /*v284*/, 4, v1 /*v257*/ :: v_dual_lshlrev_b32 v29 /*v285*/, 11, v1 /*v257*/
	v_dual_lshlrev_b32 v30 /*v286*/, 18, v1 /*v257*/ :: v_dual_lshlrev_b32 v1 /*v257*/, 25, v1 /*v257*/
	v_and_b32_e32 v20 /*v276*/, 0x1000, v20 /*v276*/
	v_and_b32_e32 v24 /*v280*/, 0x100000, v24 /*v280*/
	s_set_vgpr_msb 0                        ;  msbs: dst=0 src0=0 src1=0 src2=0
	v_and_b32_e32 v255, 0x10000000, v255
	s_set_vgpr_msb 64                       ;  msbs: dst=1 src0=0 src1=0 src2=0
	v_and_b32_e32 v65 /*v321*/, 0x10000000, v37
	s_set_vgpr_msb 17                       ;  msbs: dst=0 src0=1 src1=0 src2=1
	v_or3_b32 v21, v21 /*v277*/, v230, v19 /*v275*/
	s_set_vgpr_msb 21                       ;  msbs: dst=0 src0=1 src1=1 src2=1
	v_or3_b32 v37, v27 /*v283*/, v0 /*v256*/, v25 /*v281*/
	s_set_vgpr_msb 0x54                     ;  msbs: dst=1 src0=0 src1=1 src2=1
	v_or3_b32 v0 /*v256*/, v20, v16 /*v272*/, v17 /*v273*/
	s_set_vgpr_msb 0                        ;  msbs: dst=0 src0=0 src1=0 src2=0
	v_lshrrev_b32_e32 v26, 4, v26
	s_set_vgpr_msb 64                       ;  msbs: dst=1 src0=0 src1=0 src2=0
	v_and_b32_e32 v2 /*v258*/, 0xf0f0f0f, v27
	v_and_b32_e32 v8 /*v264*/, 0xf0f0f0f, v34
	s_set_vgpr_msb 0                        ;  msbs: dst=0 src0=0 src1=0 src2=0
	v_lshrrev_b32_e32 v34, 4, v34
	s_set_vgpr_msb 0x44                     ;  msbs: dst=1 src0=0 src1=1 src2=0
	v_dual_lshlrev_b32 v31 /*v287*/, 4, v3 /*v259*/ :: v_dual_lshlrev_b32 v32 /*v288*/, 11, v3 /*v259*/
	v_dual_lshlrev_b32 v33 /*v289*/, 18, v3 /*v259*/ :: v_dual_lshlrev_b32 v3 /*v259*/, 25, v3 /*v259*/
	s_set_vgpr_msb 64                       ;  msbs: dst=1 src0=0 src1=0 src2=0
	v_dual_lshlrev_b32 v37 /*v293*/, 4, v30 :: v_dual_lshlrev_b32 v38 /*v294*/, 11, v30
	v_dual_lshlrev_b32 v39 /*v295*/, 18, v30 :: v_dual_lshlrev_b32 v43 /*v299*/, 4, v31
	s_set_vgpr_msb 0                        ;  msbs: dst=0 src0=0 src1=0 src2=0
	v_lshlrev_b32_e32 v30, 25, v30
	s_set_vgpr_msb 0x44                     ;  msbs: dst=1 src0=0 src1=1 src2=0
	v_dual_lshlrev_b32 v46 /*v302*/, 4, v10 /*v266*/ :: v_dual_lshlrev_b32 v47 /*v303*/, 11, v10 /*v266*/
	v_dual_lshlrev_b32 v48 /*v304*/, 18, v10 /*v266*/ :: v_dual_lshlrev_b32 v10 /*v266*/, 25, v10 /*v266*/
	s_set_vgpr_msb 64                       ;  msbs: dst=1 src0=0 src1=0 src2=0
	v_dual_lshlrev_b32 v49 /*v305*/, 4, v33 :: v_dual_lshlrev_b32 v51 /*v307*/, 18, v33
	v_and_b32_e32 v50 /*v306*/, 0xf0f0f0f, v35
	s_set_vgpr_msb 0                        ;  msbs: dst=0 src0=0 src1=0 src2=0
	v_dual_lshlrev_b32 v35, 11, v33 :: v_dual_lshlrev_b32 v33, 25, v33
	s_set_vgpr_msb 0x44                     ;  msbs: dst=1 src0=0 src1=1 src2=0
	v_dual_lshlrev_b32 v52 /*v308*/, 4, v11 /*v267*/ :: v_dual_lshlrev_b32 v53 /*v309*/, 11, v11 /*v267*/
	v_dual_lshlrev_b32 v54 /*v310*/, 18, v11 /*v267*/ :: v_dual_lshlrev_b32 v11 /*v267*/, 25, v11 /*v267*/
	;; [unrolled: 1-line block ×6, first 2 shown]
	v_and_b32_e32 v22 /*v278*/, 16, v22 /*v278*/
	v_and_b32_e32 v23 /*v279*/, 0x1000, v23 /*v279*/
	;; [unrolled: 1-line block ×4, first 2 shown]
	s_set_vgpr_msb 16                       ;  msbs: dst=0 src0=0 src1=0 src2=1
	v_or3_b32 v25, v255, v25, v24 /*v280*/
	s_set_vgpr_msb 4                        ;  msbs: dst=0 src0=0 src1=1 src2=0
	v_or3_b32 v230, v21, v20 /*v276*/, v231
	s_set_vgpr_msb 1                        ;  msbs: dst=0 src0=1 src1=0 src2=0
	v_dot4_i32_iu8 v20, v0 /*v256*/, v38, 0 neg_lo:[1,1,0]
	v_lshrrev_b32_e32 v27, 4, v27
	v_and_b32_e32 v26, 0xf0f0f0f, v26
	s_set_vgpr_msb 0x44                     ;  msbs: dst=1 src0=0 src1=1 src2=0
	v_dual_lshlrev_b32 v34 /*v290*/, 4, v5 /*v261*/ :: v_dual_lshlrev_b32 v35 /*v291*/, 11, v5 /*v261*/
	v_dual_lshlrev_b32 v36 /*v292*/, 18, v5 /*v261*/ :: v_dual_lshlrev_b32 v5 /*v261*/, 25, v5 /*v261*/
	s_set_vgpr_msb 64                       ;  msbs: dst=1 src0=0 src1=0 src2=0
	v_dual_lshlrev_b32 v44 /*v300*/, 11, v31 :: v_dual_lshlrev_b32 v45 /*v301*/, 18, v31
	s_set_vgpr_msb 0                        ;  msbs: dst=0 src0=0 src1=0 src2=0
	v_lshlrev_b32_e32 v31, 25, v31
	v_and_b32_e32 v34, 0xf0f0f0f, v34
	v_and_b32_e32 v227, 0xf0f0f0f, v227
	s_set_vgpr_msb 0x44                     ;  msbs: dst=1 src0=0 src1=1 src2=0
	v_and_b32_e32 v26 /*v282*/, 0x1000, v26 /*v282*/
	v_and_b32_e32 v28 /*v284*/, 16, v28 /*v284*/
	;; [unrolled: 1-line block ×8, first 2 shown]
	s_set_vgpr_msb 0                        ;  msbs: dst=0 src0=0 src1=0 src2=0
	v_and_b32_e32 v30, 0x10000000, v30
	s_set_vgpr_msb 0x44                     ;  msbs: dst=1 src0=0 src1=1 src2=0
	v_and_b32_e32 v48 /*v304*/, 0x100000, v48 /*v304*/
	v_and_b32_e32 v10 /*v266*/, 0x10000000, v10 /*v266*/
	s_set_vgpr_msb 64                       ;  msbs: dst=1 src0=0 src1=0 src2=0
	v_and_b32_e32 v64 /*v320*/, 0x1000, v35
	s_set_vgpr_msb 4                        ;  msbs: dst=0 src0=0 src1=1 src2=0
	v_and_b32_e32 v35, 0x100000, v51 /*v307*/
	s_set_vgpr_msb 0x44                     ;  msbs: dst=1 src0=0 src1=1 src2=0
	v_and_b32_e32 v51 /*v307*/, 16, v52 /*v308*/
	v_and_b32_e32 v52 /*v308*/, 0x1000, v53 /*v309*/
	;; [unrolled: 1-line block ×11, first 2 shown]
	s_set_vgpr_msb 64                       ;  msbs: dst=1 src0=0 src1=0 src2=0
	v_and_b32_e32 v61 /*v317*/, 0x1000, v229
	s_set_vgpr_msb 21                       ;  msbs: dst=0 src0=1 src1=1 src2=1
	v_or3_b32 v229, v1 /*v257*/, v2 /*v258*/, v30 /*v286*/
	s_set_vgpr_msb 20                       ;  msbs: dst=0 src0=0 src1=1 src2=1
	v_or3_b32 v25, v25, v22 /*v278*/, v23 /*v279*/
	s_set_vgpr_msb 0                        ;  msbs: dst=0 src0=0 src1=0 src2=0
	v_dot4_i32_iu8 v21, v230, v39, 0 neg_lo:[1,1,0]
	v_cvt_f32_i32_e32 v20, v20
	v_and_b32_e32 v27, 0xf0f0f0f, v27
	v_and_b32_e32 v32, 0xf0f0f0f, v32
	s_set_vgpr_msb 0x44                     ;  msbs: dst=1 src0=0 src1=1 src2=0
	v_and_b32_e32 v32 /*v288*/, 0x1000, v32 /*v288*/
	v_and_b32_e32 v36 /*v292*/, 0x100000, v36 /*v292*/
	;; [unrolled: 1-line block ×5, first 2 shown]
	s_set_vgpr_msb 0                        ;  msbs: dst=0 src0=0 src1=0 src2=0
	v_and_b32_e32 v33, 0x10000000, v33
	s_set_vgpr_msb 21                       ;  msbs: dst=0 src0=1 src1=1 src2=1
	v_or3_b32 v255, v33 /*v289*/, v3 /*v259*/, v31 /*v287*/
	s_set_vgpr_msb 17                       ;  msbs: dst=0 src0=1 src1=0 src2=1
	v_or3_b32 v30, v39 /*v295*/, v30, v37 /*v293*/
	s_set_vgpr_msb 0x51                     ;  msbs: dst=1 src0=1 src1=0 src2=1
	v_or3_b32 v3 /*v259*/, v10 /*v266*/, v34, v48 /*v304*/
	v_or3_b32 v10 /*v266*/, v15 /*v271*/, v227, v59 /*v315*/
	s_set_vgpr_msb 4                        ;  msbs: dst=0 src0=0 src1=1 src2=0
	v_or3_b32 v227, v37, v26 /*v282*/, v26
	s_set_vgpr_msb 20                       ;  msbs: dst=0 src0=0 src1=1 src2=1
	v_or3_b32 v37, v229, v28 /*v284*/, v29 /*v285*/
	s_set_vgpr_msb 0                        ;  msbs: dst=0 src0=0 src1=0 src2=0
	v_dot4_i32_iu8 v26, v25, v40, 0 neg_lo:[1,1,0]
	v_cvt_f32_i32_e32 v21, v21
	v_fma_f32 v20, v0, v20, -v1
	s_set_vgpr_msb 0x44                     ;  msbs: dst=1 src0=0 src1=1 src2=0
	v_dual_lshlrev_b32 v40 /*v296*/, 4, v7 /*v263*/ :: v_dual_lshlrev_b32 v41 /*v297*/, 11, v7 /*v263*/
	v_dual_lshlrev_b32 v42 /*v298*/, 18, v7 /*v263*/ :: v_dual_lshlrev_b32 v7 /*v263*/, 25, v7 /*v263*/
	v_and_b32_e32 v34 /*v290*/, 16, v34 /*v290*/
	v_and_b32_e32 v35 /*v291*/, 0x1000, v35 /*v291*/
	s_set_vgpr_msb 17                       ;  msbs: dst=0 src0=1 src1=0 src2=1
	v_or3_b32 v27, v5 /*v261*/, v27, v36 /*v292*/
	s_set_vgpr_msb 0x50                     ;  msbs: dst=1 src0=0 src1=0 src2=1
	v_or3_b32 v5 /*v261*/, v35, v33, v49 /*v305*/
	s_set_vgpr_msb 20                       ;  msbs: dst=0 src0=0 src1=1 src2=1
	v_or3_b32 v35, v255, v32 /*v288*/, v4 /*v260*/
	s_set_vgpr_msb 4                        ;  msbs: dst=0 src0=0 src1=1 src2=0
	v_or3_b32 v34, v30, v38 /*v294*/, v32
	s_set_vgpr_msb 0                        ;  msbs: dst=0 src0=0 src1=0 src2=0
	v_dot4_i32_iu8 v30, v227, v41, 0 neg_lo:[1,1,0]
	v_cvt_f32_i32_e32 v26, v26
	v_fma_f32 v21, v0, v21, -v1
	s_wait_loadcnt 0x0
	v_fma_mix_f32 v20, v20, v23, 0 op_sel_hi:[0,1,0]
	v_dot4_i32_iu8 v229, v37, v42, 0 neg_lo:[1,1,0]
	s_set_vgpr_msb 0x44                     ;  msbs: dst=1 src0=0 src1=1 src2=0
	v_and_b32_e32 v42 /*v298*/, 0x100000, v42 /*v298*/
	v_and_b32_e32 v7 /*v263*/, 0x10000000, v7 /*v263*/
	;; [unrolled: 1-line block ×4, first 2 shown]
	s_set_vgpr_msb 0                        ;  msbs: dst=0 src0=0 src1=0 src2=0
	v_and_b32_e32 v31, 0x10000000, v31
	s_set_vgpr_msb 20                       ;  msbs: dst=0 src0=0 src1=1 src2=1
	v_or3_b32 v33, v27, v34 /*v290*/, v35 /*v291*/
	s_set_vgpr_msb 0                        ;  msbs: dst=0 src0=0 src1=0 src2=0
	v_dot4_i32_iu8 v231, v35, v43, 0 neg_lo:[1,1,0]
	v_cvt_f32_i32_e32 v30, v30
	v_fma_mix_f32 v20, v21, v23, v20 op_sel_hi:[0,1,0]
	v_cvt_f32_i32_e32 v229, v229
	v_fma_f32 v26, v0, v26, -v1
	s_set_vgpr_msb 0x55                     ;  msbs: dst=1 src0=1 src1=1 src2=1
	v_and_b32_e32 v40 /*v296*/, 16, v40 /*v296*/
	v_and_b32_e32 v41 /*v297*/, 0x1000, v41 /*v297*/
	;; [unrolled: 1-line block ×3, first 2 shown]
	v_or3_b32 v1 /*v257*/, v7 /*v263*/, v8 /*v264*/, v42 /*v298*/
	s_set_vgpr_msb 0x51                     ;  msbs: dst=1 src0=1 src1=0 src2=1
	v_or3_b32 v2 /*v258*/, v45 /*v301*/, v31, v43 /*v299*/
	s_set_vgpr_msb 0                        ;  msbs: dst=0 src0=0 src1=0 src2=0
	v_dot4_i32_iu8 v255, v33, v44, 0 neg_lo:[1,1,0]
	v_dot4_i32_iu8 v21, v34, v45, 0 neg_lo:[1,1,0]
	v_cvt_f32_i32_e32 v231, v231
	v_dual_fma_f32 v30, v0, v30, -v1 :: v_dual_fma_f32 v229, v2, v229, -v82
	v_fma_mix_f32 v26, v26, v23, v20 op_sel_hi:[0,1,0]
	s_set_vgpr_msb 21                       ;  msbs: dst=0 src0=1 src1=1 src2=1
	v_or3_b32 v31, v1 /*v257*/, v40 /*v296*/, v41 /*v297*/
	v_or3_b32 v32, v2 /*v258*/, v44 /*v300*/, v9 /*v265*/
	s_set_vgpr_msb 0                        ;  msbs: dst=0 src0=0 src1=0 src2=0
	v_cvt_f32_i32_e32 v21, v21
	v_cvt_f32_i32_e32 v20, v255
	v_fma_f32 v231, v2, v231, -v82
	v_fma_mix_f32 v26, v30, v23, v26 op_sel_hi:[0,1,0]
	v_cvt_f32_f16_e64 v24, v228
	s_set_vgpr_msb 0x44                     ;  msbs: dst=1 src0=0 src1=1 src2=0
	v_and_b32_e32 v46 /*v302*/, 16, v46 /*v302*/
	v_and_b32_e32 v47 /*v303*/, 0x1000, v47 /*v303*/
	s_set_vgpr_msb 0                        ;  msbs: dst=0 src0=0 src1=0 src2=0
	v_dot4_i32_iu8 v30, v31, v46, 0 neg_lo:[1,1,0]
	v_dot4_i32_iu8 v255, v32, v47, 0 neg_lo:[1,1,0]
	v_pk_fma_f32 v[20:21], v[2:3], v[20:21], v[82:83] neg_lo:[0,0,1] neg_hi:[0,0,1]
	v_fma_mix_f32 v26, v229, v228, v26 op_sel_hi:[0,1,0]
	s_set_vgpr_msb 0x44                     ;  msbs: dst=1 src0=0 src1=1 src2=0
	v_and_b32_e32 v11 /*v267*/, 0x10000000, v11 /*v267*/
	v_and_b32_e32 v13 /*v269*/, 0x10000000, v13 /*v269*/
	s_set_vgpr_msb 21                       ;  msbs: dst=0 src0=1 src1=1 src2=1
	v_or3_b32 v27, v3 /*v259*/, v46 /*v302*/, v47 /*v303*/
	v_or3_b32 v229, v5 /*v261*/, v64 /*v320*/, v50 /*v306*/
	s_set_vgpr_msb 64                       ;  msbs: dst=1 src0=0 src1=0 src2=0
	v_cvt_f32_i32_e32 v3 /*v259*/, v255
	v_cvt_f32_i32_e32 v2 /*v258*/, v30
	s_set_vgpr_msb 0                        ;  msbs: dst=0 src0=0 src1=0 src2=0
	v_pk_mul_f32 v[20:21], v[20:21], v[24:25] op_sel_hi:[1,0]
	v_fma_mix_f32 v26, v231, v228, v26 op_sel_hi:[0,1,0]
	s_set_vgpr_msb 0x55                     ;  msbs: dst=1 src0=1 src1=1 src2=1
	v_or3_b32 v7 /*v263*/, v11 /*v267*/, v12 /*v268*/, v53 /*v309*/
	v_or3_b32 v8 /*v264*/, v56 /*v312*/, v13 /*v269*/, v54 /*v310*/
	s_set_vgpr_msb 0                        ;  msbs: dst=0 src0=0 src1=0 src2=0
	v_dot4_i32_iu8 v30, v229, v49, 0 neg_lo:[1,1,0]
	v_dot4_i32_iu8 v255, v27, v48, 0 neg_lo:[1,1,0]
	s_set_vgpr_msb 0x44                     ;  msbs: dst=1 src0=0 src1=1 src2=0
	v_pk_fma_f32 v[2:3] /*v[258:259]*/, v[4:5], v[2:3] /*v[258:259]*/, v[80:81] neg_lo:[0,0,1] neg_hi:[0,0,1]
	s_set_vgpr_msb 0                        ;  msbs: dst=0 src0=0 src1=0 src2=0
	v_add_f32_e32 v20, v20, v26
	s_set_vgpr_msb 0x44                     ;  msbs: dst=1 src0=0 src1=1 src2=0
	v_and_b32_e32 v63 /*v319*/, 0x100000, v63 /*v319*/
	s_set_vgpr_msb 21                       ;  msbs: dst=0 src0=1 src1=1 src2=1
	v_or3_b32 v228, v7 /*v263*/, v51 /*v307*/, v52 /*v308*/
	v_or3_b32 v231, v8 /*v264*/, v55 /*v311*/, v14 /*v270*/
	s_set_vgpr_msb 64                       ;  msbs: dst=1 src0=0 src1=0 src2=0
	v_cvt_f32_i32_e32 v5 /*v261*/, v30
	v_cvt_f32_i32_e32 v4 /*v260*/, v255
	s_set_vgpr_msb 0x41                     ;  msbs: dst=1 src0=1 src1=0 src2=0
	v_pk_mul_f32 v[2:3] /*v[258:259]*/, v[2:3] /*v[258:259]*/, v[22:23] op_sel_hi:[1,0]
	s_set_vgpr_msb 0                        ;  msbs: dst=0 src0=0 src1=0 src2=0
	v_add_f32_e32 v26, v20, v21
	s_set_vgpr_msb 21                       ;  msbs: dst=0 src0=1 src1=1 src2=1
	v_or3_b32 v30, v63 /*v319*/, v65 /*v321*/, v60 /*v316*/
	s_set_vgpr_msb 64                       ;  msbs: dst=1 src0=0 src1=0 src2=0
	v_dot4_i32_iu8 v1 /*v257*/, v231, v51, 0 neg_lo:[1,1,0]
	v_dot4_i32_iu8 v7 /*v263*/, v228, v50, 0 neg_lo:[1,1,0]
	s_set_vgpr_msb 4                        ;  msbs: dst=0 src0=0 src1=1 src2=0
	v_pk_fma_f32 v[20:21], v[4:5], v[4:5] /*v[260:261]*/, v[80:81] neg_lo:[0,0,1] neg_hi:[0,0,1]
	v_add_f32_e32 v26, v26, v2 /*v258*/
	s_set_vgpr_msb 20                       ;  msbs: dst=0 src0=0 src1=1 src2=1
	v_or3_b32 v255, v30, v61 /*v317*/, v62 /*v318*/
	s_set_vgpr_msb 0x41                     ;  msbs: dst=1 src0=1 src1=0 src2=0
	v_cvt_f32_i32_e32 v5 /*v261*/, v1 /*v257*/
	v_cvt_f32_i32_e32 v4 /*v260*/, v7 /*v263*/
	s_set_vgpr_msb 0                        ;  msbs: dst=0 src0=0 src1=0 src2=0
	v_pk_mul_f32 v[20:21], v[20:21], v[22:23] op_sel_hi:[1,0]
	s_set_vgpr_msb 4                        ;  msbs: dst=0 src0=0 src1=1 src2=0
	v_add_f32_e32 v30, v26, v3 /*v259*/
	s_set_vgpr_msb 0x55                     ;  msbs: dst=1 src0=1 src1=1 src2=1
	v_or3_b32 v1 /*v257*/, v10 /*v266*/, v57 /*v313*/, v58 /*v314*/
	s_set_vgpr_msb 1                        ;  msbs: dst=0 src0=1 src1=0 src2=0
	v_cvt_f32_f16_e64 v26, v6 /*v262*/
	s_set_vgpr_msb 64                       ;  msbs: dst=1 src0=0 src1=0 src2=0
	v_dot4_i32_iu8 v6 /*v262*/, v255, v53, 0 neg_lo:[1,1,0]
	s_set_vgpr_msb 0x44                     ;  msbs: dst=1 src0=0 src1=1 src2=0
	v_pk_fma_f32 v[2:3] /*v[258:259]*/, v[6:7], v[4:5] /*v[260:261]*/, v[78:79] neg_lo:[0,0,1] neg_hi:[0,0,1]
	s_set_vgpr_msb 0                        ;  msbs: dst=0 src0=0 src1=0 src2=0
	v_add_f32_e32 v20, v20, v30
	s_set_vgpr_msb 1                        ;  msbs: dst=0 src0=1 src1=0 src2=0
	v_dot4_i32_iu8 v30, v1 /*v257*/, v52, 0 neg_lo:[1,1,0]
	s_set_vgpr_msb 0x41                     ;  msbs: dst=1 src0=1 src1=0 src2=0
	v_cvt_f32_i32_e32 v5 /*v261*/, v6 /*v262*/
	v_pk_mul_f32 v[2:3] /*v[258:259]*/, v[2:3] /*v[258:259]*/, v[26:27] op_sel_hi:[1,0]
	s_set_vgpr_msb 0                        ;  msbs: dst=0 src0=0 src1=0 src2=0
	v_add_f32_e32 v20, v20, v21
	s_set_vgpr_msb 64                       ;  msbs: dst=1 src0=0 src1=0 src2=0
	v_cvt_f32_i32_e32 v4 /*v260*/, v30
	s_set_vgpr_msb 4                        ;  msbs: dst=0 src0=0 src1=1 src2=0
	s_delay_alu instid0(VALU_DEP_2) | instskip(NEXT) | instid1(VALU_DEP_2)
	v_add_f32_e32 v30, v20, v2 /*v258*/
	v_pk_fma_f32 v[20:21], v[6:7], v[4:5] /*v[260:261]*/, v[78:79] neg_lo:[0,0,1] neg_hi:[0,0,1]
	s_delay_alu instid0(VALU_DEP_2) | instskip(SKIP_1) | instid1(VALU_DEP_2)
	v_add_f32_e32 v30, v30, v3 /*v259*/
	s_set_vgpr_msb 0                        ;  msbs: dst=0 src0=0 src1=0 src2=0
	v_pk_mul_f32 v[20:21], v[20:21], v[26:27] op_sel_hi:[1,0]
	s_delay_alu instid0(VALU_DEP_1) | instskip(NEXT) | instid1(VALU_DEP_1)
	v_add_f32_e32 v20, v20, v30
	v_add_f32_e32 v20, v20, v21
	ds_bpermute_b32 v21, v241, v20
	s_wait_dscnt 0x0
	v_add_f32_e32 v20, v20, v21
                                        ; implicit-def: $vgpr21
	s_delay_alu instid0(VALU_DEP_1) | instskip(SKIP_1) | instid1(SALU_CYCLE_1)
	v_cmp_ngt_f32_e64 s10, 0x3f200000, |v20|
	s_and_saveexec_b32 s11, s10
	s_xor_b32 s10, exec_lo, s11
	s_cbranch_execz .LBB22_19
; %bb.18:                               ;   in Loop: Header=BB22_17 Depth=1
	v_add_f32_e64 v21, |v20|, |v20|
	s_delay_alu instid0(VALU_DEP_1) | instskip(SKIP_2) | instid1(VALU_DEP_2)
	v_mul_f32_e32 v30, 0x3fb8aa3b, v21
	v_cmp_ngt_f32_e32 vcc_lo, 0xc2ce8ed0, v21
	s_set_vgpr_msb 64                       ;  msbs: dst=1 src0=0 src1=0 src2=0
	v_rndne_f32_e32 v2 /*v258*/, v30
	v_fma_f32 v3 /*v259*/, 0x3fb8aa3b, v21, -v30
	s_set_vgpr_msb 4                        ;  msbs: dst=0 src0=0 src1=1 src2=0
	s_delay_alu instid0(VALU_DEP_2) | instskip(SKIP_1) | instid1(VALU_DEP_2)
	v_sub_f32_e32 v30, v30, v2 /*v258*/
	s_set_vgpr_msb 0x41                     ;  msbs: dst=1 src0=1 src1=0 src2=0
	v_fmac_f32_e32 v3 /*v259*/, 0x32a5705f, v21
	v_cvt_i32_f32_e32 v2 /*v258*/, v2 /*v258*/
	s_set_vgpr_msb 4                        ;  msbs: dst=0 src0=0 src1=1 src2=0
	s_delay_alu instid0(VALU_DEP_2) | instskip(NEXT) | instid1(VALU_DEP_1)
	v_add_f32_e32 v30, v30, v3 /*v259*/
	v_exp_f32_e32 v30, v30
	v_nop
	s_delay_alu instid0(TRANS32_DEP_1) | instskip(SKIP_1) | instid1(VALU_DEP_1)
	v_ldexp_f32 v30, v30, v2 /*v258*/
	s_set_vgpr_msb 0                        ;  msbs: dst=0 src0=0 src1=0 src2=0
	v_cndmask_b32_e32 v30, 0, v30, vcc_lo
	v_cmp_nlt_f32_e32 vcc_lo, 0x42b17218, v21
	s_delay_alu instid0(VALU_DEP_2) | instskip(NEXT) | instid1(VALU_DEP_1)
	v_cndmask_b32_e32 v21, 0x7f800000, v30, vcc_lo
	v_add_f32_e32 v21, 1.0, v21
	s_delay_alu instid0(VALU_DEP_1) | instskip(SKIP_1) | instid1(TRANS32_DEP_1)
	v_rcp_f32_e32 v21, v21
	v_nop
	v_fma_f32 v21, v21, -2.0, 1.0
.LBB22_19:                              ;   in Loop: Header=BB22_17 Depth=1
	s_and_not1_saveexec_b32 s10, s10
	s_cbranch_execz .LBB22_21
; %bb.20:                               ;   in Loop: Header=BB22_17 Depth=1
	v_mul_f32_e32 v21, v20, v20
	s_delay_alu instid0(VALU_DEP_1) | instskip(NEXT) | instid1(VALU_DEP_1)
	v_fmaak_f32 v30, s9, v21, 0x3ca908c9
	v_fmaak_f32 v30, v21, v30, 0xbd5c1c4e
	s_delay_alu instid0(VALU_DEP_1) | instskip(NEXT) | instid1(VALU_DEP_1)
	v_fmaak_f32 v30, v21, v30, 0x3e088382
	v_fmaak_f32 v30, v21, v30, 0xbeaaaa99
	s_delay_alu instid0(VALU_DEP_1) | instskip(NEXT) | instid1(VALU_DEP_1)
	v_mul_f32_e64 v30, |v20|, v30
	v_fma_f32 v21, v21, v30, |v20|
.LBB22_21:                              ;   in Loop: Header=BB22_17 Depth=1
	s_or_b32 exec_lo, exec_lo, s10
	s_delay_alu instid0(VALU_DEP_1) | instskip(SKIP_2) | instid1(VALU_DEP_2)
	v_bfi_b32 v30, 0x7fffffff, v21, v20
	v_add_nc_u64_e32 v[20:21], s[14:15], v[90:91]
	s_and_not1_b32 vcc_lo, exec_lo, s27
	v_mul_f32_e32 v30, s31, v30
	s_cbranch_vccnz .LBB22_23
; %bb.22:                               ;   in Loop: Header=BB22_17 Depth=1
	s_set_vgpr_msb 64                       ;  msbs: dst=1 src0=0 src1=0 src2=0
	global_load_u16 v2 /*v258*/, v[20:21], off offset:-2
	s_wait_loadcnt 0x0
	s_set_vgpr_msb 4                        ;  msbs: dst=0 src0=0 src1=1 src2=0
	v_fma_mix_f32 v30, v239, v2 /*v258*/, v30 op_sel_hi:[0,1,0]
.LBB22_23:                              ;   in Loop: Header=BB22_17 Depth=1
	s_set_vgpr_msb 0x41                     ;  msbs: dst=1 src0=1 src1=0 src2=0
	v_dot4_i32_iu8 v0 /*v256*/, v0 /*v256*/, v54, 0 neg_lo:[1,1,0]
	s_set_vgpr_msb 0                        ;  msbs: dst=0 src0=0 src1=0 src2=0
	v_dot4_i32_iu8 v230, v230, v55, 0 neg_lo:[1,1,0]
	s_set_vgpr_msb 64                       ;  msbs: dst=1 src0=0 src1=0 src2=0
	v_dot4_i32_iu8 v2 /*v258*/, v25, v56, 0 neg_lo:[1,1,0]
	s_set_vgpr_msb 0                        ;  msbs: dst=0 src0=0 src1=0 src2=0
	v_cvt_f32_f16_e32 v23, v23
	v_dot4_i32_iu8 v227, v227, v57, 0 neg_lo:[1,1,0]
	s_set_vgpr_msb 0x41                     ;  msbs: dst=1 src0=1 src1=0 src2=0
	v_cvt_f32_i32_e32 v0 /*v256*/, v0 /*v256*/
	s_set_vgpr_msb 0                        ;  msbs: dst=0 src0=0 src1=0 src2=0
	v_cvt_f32_i32_e32 v230, v230
	s_set_vgpr_msb 0x41                     ;  msbs: dst=1 src0=1 src1=0 src2=0
	v_cvt_f32_i32_e32 v2 /*v258*/, v2 /*v258*/
	s_set_vgpr_msb 0                        ;  msbs: dst=0 src0=0 src1=0 src2=0
	v_dot4_i32_iu8 v37, v37, v58, 0 neg_lo:[1,1,0]
	v_cvt_f32_i32_e32 v227, v227
	s_set_vgpr_msb 0x44                     ;  msbs: dst=1 src0=0 src1=1 src2=0
	v_fma_f32 v0 /*v256*/, v8, v0 /*v256*/, -v9
	s_set_vgpr_msb 0                        ;  msbs: dst=0 src0=0 src1=0 src2=0
	v_fma_f32 v230, v8, v230, -v9
	s_set_vgpr_msb 0x44                     ;  msbs: dst=1 src0=0 src1=1 src2=0
	v_fma_f32 v2 /*v258*/, v8, v2 /*v258*/, -v9
	s_set_vgpr_msb 0                        ;  msbs: dst=0 src0=0 src1=0 src2=0
	v_dot4_i32_iu8 v35, v35, v59, 0 neg_lo:[1,1,0]
	v_dot4_i32_iu8 v33, v33, v60, 0 neg_lo:[1,1,0]
	s_set_vgpr_msb 0x41                     ;  msbs: dst=1 src0=1 src1=0 src2=0
	v_fma_f32 v0 /*v256*/, v0 /*v256*/, v23, 0
	s_set_vgpr_msb 0                        ;  msbs: dst=0 src0=0 src1=0 src2=0
	v_dot4_i32_iu8 v34, v34, v61, 0 neg_lo:[1,1,0]
	v_fma_f32 v227, v8, v227, -v9
	v_cvt_f32_i32_e32 v37, v37
	v_mov_b32_e32 v25, v24
	s_set_vgpr_msb 64                       ;  msbs: dst=1 src0=0 src1=0 src2=0
	v_fmac_f32_e32 v0 /*v256*/, v230, v23
	s_set_vgpr_msb 0                        ;  msbs: dst=0 src0=0 src1=0 src2=0
	v_cvt_f32_i32_e32 v230, v35
	v_cvt_f32_i32_e32 v35, v34
	;; [unrolled: 1-line block ×3, first 2 shown]
	v_fma_f32 v37, v10, v37, -v76
	s_set_vgpr_msb 0x41                     ;  msbs: dst=1 src0=1 src1=0 src2=0
	v_fmac_f32_e32 v0 /*v256*/, v2 /*v258*/, v23
	s_set_vgpr_msb 0                        ;  msbs: dst=0 src0=0 src1=0 src2=0
	v_dot4_i32_iu8 v27, v27, v64, 0 neg_lo:[1,1,0]
	s_set_vgpr_msb 64                       ;  msbs: dst=1 src0=0 src1=0 src2=0
	s_delay_alu instid0(VALU_DEP_2)
	v_fmac_f32_e32 v0 /*v256*/, v227, v23
	s_set_vgpr_msb 0                        ;  msbs: dst=0 src0=0 src1=0 src2=0
	v_dot4_i32_iu8 v23, v31, v62, 0 neg_lo:[1,1,0]
	v_dot4_i32_iu8 v31, v32, v63, 0 neg_lo:[1,1,0]
	v_pk_fma_f32 v[32:33], v[10:11], v[34:35], v[76:77] neg_lo:[0,0,1] neg_hi:[0,0,1]
	s_set_vgpr_msb 64                       ;  msbs: dst=1 src0=0 src1=0 src2=0
	v_fmac_f32_e32 v0 /*v256*/, v37, v24
	s_set_vgpr_msb 0                        ;  msbs: dst=0 src0=0 src1=0 src2=0
	v_cvt_f32_i32_e32 v34, v23
	v_cvt_f32_i32_e32 v35, v31
	v_pk_mul_f32 v[32:33], v[32:33], v[24:25]
	v_fma_f32 v227, v10, v230, -v76
	v_dot4_i32_iu8 v31, v229, v65, 0 neg_lo:[1,1,0]
	v_dot4_i32_iu8 v37, v228, v66, 0 neg_lo:[1,1,0]
	s_set_vgpr_msb 64                       ;  msbs: dst=1 src0=0 src1=0 src2=0
	s_delay_alu instid0(VALU_DEP_3)
	v_fmac_f32_e32 v0 /*v256*/, v227, v24
	s_set_vgpr_msb 0                        ;  msbs: dst=0 src0=0 src1=0 src2=0
	v_mov_b32_e32 v23, v22
	v_pk_fma_f32 v[24:25], v[12:13], v[34:35], v[74:75] neg_lo:[0,0,1] neg_hi:[0,0,1]
	v_cvt_f32_i32_e32 v35, v31
	v_cvt_f32_i32_e32 v34, v27
	s_set_vgpr_msb 4                        ;  msbs: dst=0 src0=0 src1=1 src2=0
	v_add_f32_e32 v32, v32, v0 /*v256*/
	s_set_vgpr_msb 0                        ;  msbs: dst=0 src0=0 src1=0 src2=0
	v_dot4_i32_iu8 v31, v231, v67, 0 neg_lo:[1,1,0]
	v_pk_mul_f32 v[24:25], v[24:25], v[22:23]
	s_delay_alu instid0(VALU_DEP_3) | instskip(SKIP_1) | instid1(VALU_DEP_4)
	v_add_f32_e32 v27, v32, v33
	v_pk_fma_f32 v[32:33], v[12:13], v[34:35], v[74:75] neg_lo:[0,0,1] neg_hi:[0,0,1]
	v_cvt_f32_i32_e32 v35, v31
	v_cvt_f32_i32_e32 v34, v37
	s_delay_alu instid0(VALU_DEP_4) | instskip(NEXT) | instid1(VALU_DEP_4)
	v_dual_add_f32 v24, v27, v24 :: v_dual_mov_b32 v27, v26
	v_pk_mul_f32 v[22:23], v[32:33], v[22:23]
	v_dot4_i32_iu8 v32, v255, v69, 0 neg_lo:[1,1,0]
	s_delay_alu instid0(VALU_DEP_3) | instskip(SKIP_1) | instid1(VALU_DEP_3)
	v_add_f32_e32 v31, v24, v25
	v_pk_fma_f32 v[24:25], v[14:15], v[34:35], v[72:73] neg_lo:[0,0,1] neg_hi:[0,0,1]
	v_cvt_f32_i32_e32 v33, v32
	s_delay_alu instid0(VALU_DEP_2) | instskip(NEXT) | instid1(VALU_DEP_4)
	v_pk_mul_f32 v[24:25], v[24:25], v[26:27]
	v_add_f32_e32 v22, v22, v31
	s_set_vgpr_msb 1                        ;  msbs: dst=0 src0=1 src1=0 src2=0
	v_dot4_i32_iu8 v31, v1 /*v257*/, v68, 0 neg_lo:[1,1,0]
	s_set_vgpr_msb 0                        ;  msbs: dst=0 src0=0 src1=0 src2=0
	s_delay_alu instid0(VALU_DEP_2) | instskip(NEXT) | instid1(VALU_DEP_2)
	v_add_f32_e32 v22, v22, v23
	v_cvt_f32_i32_e32 v32, v31
	s_delay_alu instid0(VALU_DEP_2) | instskip(NEXT) | instid1(VALU_DEP_2)
	v_add_f32_e32 v24, v22, v24
	v_pk_fma_f32 v[22:23], v[14:15], v[32:33], v[72:73] neg_lo:[0,0,1] neg_hi:[0,0,1]
	s_delay_alu instid0(VALU_DEP_2) | instskip(NEXT) | instid1(VALU_DEP_2)
	v_add_f32_e32 v24, v24, v25
	v_pk_mul_f32 v[22:23], v[22:23], v[26:27]
	s_delay_alu instid0(VALU_DEP_1) | instskip(NEXT) | instid1(VALU_DEP_1)
	v_add_f32_e32 v22, v22, v24
	v_add_f32_e32 v22, v22, v23
	ds_bpermute_b32 v23, v241, v22
	s_wait_dscnt 0x0
	v_add_f32_e32 v22, v22, v23
                                        ; implicit-def: $vgpr23
	s_delay_alu instid0(VALU_DEP_1) | instskip(SKIP_1) | instid1(SALU_CYCLE_1)
	v_cmp_ngt_f32_e64 s10, 0x3f200000, |v22|
	s_and_saveexec_b32 s11, s10
	s_xor_b32 s10, exec_lo, s11
	s_cbranch_execz .LBB22_25
; %bb.24:                               ;   in Loop: Header=BB22_17 Depth=1
	v_add_f32_e64 v23, |v22|, |v22|
	s_delay_alu instid0(VALU_DEP_1) | instskip(SKIP_1) | instid1(VALU_DEP_2)
	v_mul_f32_e32 v24, 0x3fb8aa3b, v23
	v_cmp_ngt_f32_e32 vcc_lo, 0xc2ce8ed0, v23
	v_rndne_f32_e32 v25, v24
	v_fma_f32 v26, 0x3fb8aa3b, v23, -v24
	s_delay_alu instid0(VALU_DEP_2) | instskip(NEXT) | instid1(VALU_DEP_2)
	v_sub_f32_e32 v24, v24, v25
	v_fmac_f32_e32 v26, 0x32a5705f, v23
	v_cvt_i32_f32_e32 v25, v25
	s_delay_alu instid0(VALU_DEP_2) | instskip(NEXT) | instid1(VALU_DEP_1)
	v_add_f32_e32 v24, v24, v26
	v_exp_f32_e32 v24, v24
	v_nop
	s_delay_alu instid0(TRANS32_DEP_1) | instskip(NEXT) | instid1(VALU_DEP_1)
	v_ldexp_f32 v24, v24, v25
	v_cndmask_b32_e32 v24, 0, v24, vcc_lo
	v_cmp_nlt_f32_e32 vcc_lo, 0x42b17218, v23
	s_delay_alu instid0(VALU_DEP_2) | instskip(NEXT) | instid1(VALU_DEP_1)
	v_cndmask_b32_e32 v23, 0x7f800000, v24, vcc_lo
	v_add_f32_e32 v23, 1.0, v23
	s_delay_alu instid0(VALU_DEP_1) | instskip(SKIP_1) | instid1(TRANS32_DEP_1)
	v_rcp_f32_e32 v23, v23
	v_nop
	v_fma_f32 v23, v23, -2.0, 1.0
.LBB22_25:                              ;   in Loop: Header=BB22_17 Depth=1
	s_and_not1_saveexec_b32 s10, s10
	s_cbranch_execz .LBB22_27
; %bb.26:                               ;   in Loop: Header=BB22_17 Depth=1
	v_mul_f32_e32 v23, v22, v22
	s_delay_alu instid0(VALU_DEP_1) | instskip(NEXT) | instid1(VALU_DEP_1)
	v_fmaak_f32 v24, s9, v23, 0x3ca908c9
	v_fmaak_f32 v24, v23, v24, 0xbd5c1c4e
	s_delay_alu instid0(VALU_DEP_1) | instskip(NEXT) | instid1(VALU_DEP_1)
	v_fmaak_f32 v24, v23, v24, 0x3e088382
	v_fmaak_f32 v24, v23, v24, 0xbeaaaa99
	s_delay_alu instid0(VALU_DEP_1) | instskip(NEXT) | instid1(VALU_DEP_1)
	v_mul_f32_e64 v24, |v22|, v24
	v_fma_f32 v23, v23, v24, |v22|
.LBB22_27:                              ;   in Loop: Header=BB22_17 Depth=1
	s_or_b32 exec_lo, exec_lo, s10
	s_delay_alu instid0(VALU_DEP_1) | instskip(SKIP_1) | instid1(VALU_DEP_1)
	v_bfi_b32 v22, 0x7fffffff, v23, v22
	s_and_not1_b32 vcc_lo, exec_lo, s8
	v_mul_f32_e32 v31, s31, v22
	s_cbranch_vccnz .LBB22_29
; %bb.28:                               ;   in Loop: Header=BB22_17 Depth=1
	v_add_nc_u64_e32 v[22:23], s[14:15], v[88:89]
	global_load_u16 v22, v[22:23], off
	s_wait_loadcnt 0x0
	v_fma_mix_f32 v31, v239, v22, v31 op_sel_hi:[0,1,0]
.LBB22_29:                              ;   in Loop: Header=BB22_17 Depth=1
	v_add_nc_u64_e32 v[22:23], s[20:21], v[86:87]
	v_add_nc_u64_e32 v[24:25], s[20:21], v[84:85]
	global_load_b32 v26, v[22:23], off offset:2
	s_clause 0x2
	global_load_b32 v27, v[24:25], off offset:6
	global_load_b32 v32, v[24:25], off offset:14
	global_load_b32 v33, v[24:25], off offset:28
	s_clause 0x6
	global_load_b32 v34, v[22:23], off offset:24
	s_set_vgpr_msb 64                       ;  msbs: dst=1 src0=0 src1=0 src2=0
	global_load_u16 v10 /*v266*/, v[22:23], off offset:66
	s_set_vgpr_msb 0                        ;  msbs: dst=0 src0=0 src1=0 src2=0
	global_load_u16 v35, v[22:23], off offset:44
	s_set_vgpr_msb 64                       ;  msbs: dst=1 src0=0 src1=0 src2=0
	global_load_u16 v3 /*v259*/, v[22:23], off offset:22
	s_set_vgpr_msb 0                        ;  msbs: dst=0 src0=0 src1=0 src2=0
	global_load_b32 v37, v[24:25], off offset:36
	global_load_b32 v227, v[22:23], off offset:46
	s_clause 0x1
	global_load_b32 v228, v[24:25], off offset:50
	global_load_b32 v229, v[24:25], off offset:58
	;; [unrolled: 1-line block ×3, first 2 shown]
	s_clause 0x1
	global_load_b32 v231, v[24:25], off offset:72
	global_load_b32 v255, v[24:25], off offset:80
                                        ; kill: killed $vgpr24_vgpr25
	global_load_u16 v23, v[22:23], off
	s_wait_loadcnt 0xf
	s_wait_xcnt 0x1
	v_ashrrev_i32_e32 v25, v36, v26
	s_wait_loadcnt 0xe
	s_set_vgpr_msb 64                       ;  msbs: dst=1 src0=0 src1=0 src2=0
	v_and_b32_e32 v0 /*v256*/, 0xf0f0f0f, v27
	v_dual_ashrrev_i32 v1 /*v257*/, v248, v26 :: v_dual_ashrrev_i32 v2 /*v258*/, v249, v26
	s_wait_loadcnt 0xd
	v_and_b32_e32 v4 /*v260*/, 0xf0f0f0f, v32
	s_set_vgpr_msb 0                        ;  msbs: dst=0 src0=0 src1=0 src2=0
	v_dual_lshrrev_b32 v27, 4, v27 :: v_dual_lshrrev_b32 v32, 4, v32
	v_ashrrev_i32_e32 v26, v250, v26
	s_set_vgpr_msb 64                       ;  msbs: dst=1 src0=0 src1=0 src2=0
	v_dual_lshlrev_b32 v20 /*v276*/, 4, v25 :: v_dual_lshlrev_b32 v21 /*v277*/, 11, v25
	s_wait_loadcnt 0xb
	v_dual_lshlrev_b32 v22 /*v278*/, 18, v25 :: v_dual_ashrrev_i32 v5 /*v261*/, v36, v34
	v_ashrrev_i32_e32 v9 /*v265*/, v249, v34
	s_wait_loadcnt 0x2
	v_and_b32_e32 v16 /*v272*/, 0xf0f0f0f, v231
	s_set_vgpr_msb 0                        ;  msbs: dst=0 src0=0 src1=0 src2=0
	v_dual_lshrrev_b32 v231, 4, v231 :: v_dual_lshlrev_b32 v25, 25, v25
	s_set_vgpr_msb 64                       ;  msbs: dst=1 src0=0 src1=0 src2=0
	v_dual_ashrrev_i32 v7 /*v263*/, v248, v34 :: v_dual_ashrrev_i32 v14 /*v270*/, v249, v227
	v_and_b32_e32 v8 /*v264*/, 0xf0f0f0f, v37
	s_set_vgpr_msb 0                        ;  msbs: dst=0 src0=0 src1=0 src2=0
	v_lshrrev_b32_e32 v37, 4, v37
	s_set_vgpr_msb 64                       ;  msbs: dst=1 src0=0 src1=0 src2=0
	v_dual_ashrrev_i32 v11 /*v267*/, v36, v227 :: v_dual_ashrrev_i32 v15 /*v271*/, v36, v230
	v_and_b32_e32 v12 /*v268*/, 0xf0f0f0f, v228
	s_wait_xcnt 0x0
	s_set_vgpr_msb 0                        ;  msbs: dst=0 src0=0 src1=0 src2=0
	v_cvt_f32_f16_e32 v22, v35
	v_ashrrev_i32_e32 v35, v248, v227
	s_set_vgpr_msb 64                       ;  msbs: dst=1 src0=0 src1=0 src2=0
	v_and_b32_e32 v13 /*v269*/, 0xf0f0f0f, v229
	s_set_vgpr_msb 0                        ;  msbs: dst=0 src0=0 src1=0 src2=0
	v_dual_lshrrev_b32 v228, 4, v228 :: v_dual_lshrrev_b32 v229, 4, v229
	v_ashrrev_i32_e32 v227, v250, v227
	s_set_vgpr_msb 64                       ;  msbs: dst=1 src0=0 src1=0 src2=0
	v_dual_ashrrev_i32 v17 /*v273*/, v248, v230 :: v_dual_ashrrev_i32 v19 /*v275*/, v249, v230
	s_wait_loadcnt 0x1
	v_and_b32_e32 v18 /*v274*/, 0xf0f0f0f, v255
	s_set_vgpr_msb 0                        ;  msbs: dst=0 src0=0 src1=0 src2=0
	v_dual_lshrrev_b32 v255, 4, v255 :: v_dual_ashrrev_i32 v230, v250, v230
	s_set_vgpr_msb 0x44                     ;  msbs: dst=1 src0=0 src1=1 src2=0
	v_dual_lshlrev_b32 v23 /*v279*/, 4, v1 /*v257*/ :: v_dual_lshlrev_b32 v24 /*v280*/, 11, v1 /*v257*/
	v_dual_lshlrev_b32 v25 /*v281*/, 18, v1 /*v257*/ :: v_dual_lshlrev_b32 v1 /*v257*/, 25, v1 /*v257*/
	;; [unrolled: 1-line block ×4, first 2 shown]
	s_set_vgpr_msb 64                       ;  msbs: dst=1 src0=0 src1=0 src2=0
	v_dual_lshlrev_b32 v29 /*v285*/, 4, v26 :: v_dual_lshlrev_b32 v30 /*v286*/, 11, v26
	v_lshlrev_b32_e32 v31 /*v287*/, 18, v26
	s_set_vgpr_msb 0                        ;  msbs: dst=0 src0=0 src1=0 src2=0
	v_lshlrev_b32_e32 v26, 25, v26
	s_set_vgpr_msb 0x44                     ;  msbs: dst=1 src0=0 src1=1 src2=0
	v_and_b32_e32 v22 /*v278*/, 0x100000, v22 /*v278*/
	s_set_vgpr_msb 0                        ;  msbs: dst=0 src0=0 src1=0 src2=0
	v_and_b32_e32 v25, 0x10000000, v25
	s_set_vgpr_msb 64                       ;  msbs: dst=1 src0=0 src1=0 src2=0
	v_and_b32_e32 v6 /*v262*/, 0xf0f0f0f, v33
	s_set_vgpr_msb 0                        ;  msbs: dst=0 src0=0 src1=0 src2=0
	v_dual_lshrrev_b32 v33, 4, v33 :: v_dual_ashrrev_i32 v34, v250, v34
	v_and_b32_e32 v27, 0xf0f0f0f, v27
	s_set_vgpr_msb 0x44                     ;  msbs: dst=1 src0=0 src1=1 src2=0
	v_dual_lshlrev_b32 v38 /*v294*/, 4, v9 /*v265*/ :: v_dual_lshlrev_b32 v39 /*v295*/, 11, v9 /*v265*/
	v_dual_lshlrev_b32 v40 /*v296*/, 18, v9 /*v265*/ :: v_dual_lshlrev_b32 v9 /*v265*/, 25, v9 /*v265*/
	s_set_vgpr_msb 64                       ;  msbs: dst=1 src0=0 src1=0 src2=0
	v_dual_lshlrev_b32 v53 /*v309*/, 4, v227 :: v_dual_lshlrev_b32 v55 /*v311*/, 18, v227
	v_and_b32_e32 v54 /*v310*/, 0xf0f0f0f, v229
	s_set_vgpr_msb 0                        ;  msbs: dst=0 src0=0 src1=0 src2=0
	v_dual_lshlrev_b32 v229, 11, v227 :: v_dual_lshlrev_b32 v227, 25, v227
	s_set_vgpr_msb 64                       ;  msbs: dst=1 src0=0 src1=0 src2=0
	v_dual_lshlrev_b32 v65 /*v321*/, 4, v230 :: v_dual_lshlrev_b32 v67 /*v323*/, 18, v230
	v_and_b32_e32 v66 /*v322*/, 0xf0f0f0f, v255
	s_set_vgpr_msb 0                        ;  msbs: dst=0 src0=0 src1=0 src2=0
	v_dual_lshlrev_b32 v255, 11, v230 :: v_dual_lshlrev_b32 v230, 25, v230
	s_set_vgpr_msb 0x44                     ;  msbs: dst=1 src0=0 src1=1 src2=0
	v_and_b32_e32 v20 /*v276*/, 16, v20 /*v276*/
	v_and_b32_e32 v21 /*v277*/, 0x1000, v21 /*v277*/
	;; [unrolled: 1-line block ×9, first 2 shown]
	s_set_vgpr_msb 0                        ;  msbs: dst=0 src0=0 src1=0 src2=0
	v_and_b32_e32 v26, 0x10000000, v26
	s_set_vgpr_msb 20                       ;  msbs: dst=0 src0=0 src1=1 src2=1
	v_or3_b32 v25, v25, v0 /*v256*/, v22 /*v278*/
	s_set_vgpr_msb 0                        ;  msbs: dst=0 src0=0 src1=0 src2=0
	v_and_b32_e32 v32, 0xf0f0f0f, v32
	v_and_b32_e32 v33, 0xf0f0f0f, v33
	s_set_vgpr_msb 0x44                     ;  msbs: dst=1 src0=0 src1=1 src2=0
	v_dual_lshlrev_b32 v56 /*v312*/, 4, v15 /*v271*/ :: v_dual_lshlrev_b32 v57 /*v313*/, 11, v15 /*v271*/
	v_dual_lshlrev_b32 v58 /*v314*/, 18, v15 /*v271*/ :: v_dual_lshlrev_b32 v15 /*v271*/, 25, v15 /*v271*/
	;; [unrolled: 1-line block ×6, first 2 shown]
	v_and_b32_e32 v24 /*v280*/, 0x1000, v24 /*v280*/
	v_and_b32_e32 v26 /*v282*/, 16, v26 /*v282*/
	v_and_b32_e32 v27 /*v283*/, 0x1000, v27 /*v283*/
	v_and_b32_e32 v30 /*v286*/, 0x1000, v30 /*v286*/
	v_and_b32_e32 v40 /*v296*/, 0x100000, v40 /*v296*/
	v_and_b32_e32 v9 /*v265*/, 0x10000000, v9 /*v265*/
	v_and_b32_e32 v53 /*v309*/, 16, v53 /*v309*/
	s_set_vgpr_msb 64                       ;  msbs: dst=1 src0=0 src1=0 src2=0
	v_and_b32_e32 v68 /*v324*/, 0x1000, v229
	s_set_vgpr_msb 4                        ;  msbs: dst=0 src0=0 src1=1 src2=0
	v_and_b32_e32 v229, 0x100000, v55 /*v311*/
	s_set_vgpr_msb 0                        ;  msbs: dst=0 src0=0 src1=0 src2=0
	v_and_b32_e32 v227, 0x10000000, v227
	s_set_vgpr_msb 64                       ;  msbs: dst=1 src0=0 src1=0 src2=0
	v_and_b32_e32 v69 /*v325*/, 0x10000000, v230
	s_set_vgpr_msb 21                       ;  msbs: dst=0 src0=1 src1=1 src2=1
	v_or3_b32 v230, v25 /*v281*/, v1 /*v257*/, v23 /*v279*/
	s_set_vgpr_msb 17                       ;  msbs: dst=0 src0=1 src1=0 src2=1
	v_or3_b32 v27, v2 /*v258*/, v27, v28 /*v284*/
	v_or3_b32 v26, v31 /*v287*/, v26, v29 /*v285*/
	s_set_vgpr_msb 0x54                     ;  msbs: dst=1 src0=0 src1=1 src2=1
	v_or3_b32 v2 /*v258*/, v25, v20 /*v276*/, v21 /*v277*/
	v_dual_lshlrev_b32 v32 /*v288*/, 4, v5 /*v261*/ :: v_dual_lshlrev_b32 v33 /*v289*/, 11, v5 /*v261*/
	v_dual_lshlrev_b32 v34 /*v290*/, 18, v5 /*v261*/ :: v_dual_lshlrev_b32 v5 /*v261*/, 25, v5 /*v261*/
	v_and_b32_e32 v55 /*v311*/, 16, v56 /*v312*/
	v_and_b32_e32 v56 /*v312*/, 0x1000, v57 /*v313*/
	;; [unrolled: 1-line block ×10, first 2 shown]
	s_set_vgpr_msb 64                       ;  msbs: dst=1 src0=0 src1=0 src2=0
	v_and_b32_e32 v65 /*v321*/, 0x1000, v255
	s_set_vgpr_msb 17                       ;  msbs: dst=0 src0=1 src1=0 src2=1
	v_or3_b32 v33, v9 /*v265*/, v33, v40 /*v296*/
	s_set_vgpr_msb 0x50                     ;  msbs: dst=1 src0=0 src1=0 src2=1
	v_or3_b32 v9 /*v265*/, v229, v227, v53 /*v309*/
	s_set_vgpr_msb 20                       ;  msbs: dst=0 src0=0 src1=1 src2=1
	v_or3_b32 v255, v230, v24 /*v280*/, v4 /*v260*/
	v_or3_b32 v25, v27, v26 /*v282*/, v27 /*v283*/
	s_set_vgpr_msb 4                        ;  msbs: dst=0 src0=0 src1=1 src2=0
	v_or3_b32 v229, v26, v30 /*v286*/, v32
	s_set_vgpr_msb 1                        ;  msbs: dst=0 src0=1 src1=0 src2=0
	v_dot4_i32_iu8 v26, v2 /*v258*/, v38, 0 neg_lo:[1,1,0]
	s_set_vgpr_msb 0x44                     ;  msbs: dst=1 src0=0 src1=1 src2=0
	v_dual_lshlrev_b32 v35 /*v291*/, 4, v7 /*v263*/ :: v_dual_lshlrev_b32 v36 /*v292*/, 11, v7 /*v263*/
	v_dual_lshlrev_b32 v37 /*v293*/, 18, v7 /*v263*/ :: v_dual_lshlrev_b32 v7 /*v263*/, 25, v7 /*v263*/
	s_set_vgpr_msb 64                       ;  msbs: dst=1 src0=0 src1=0 src2=0
	v_dual_lshlrev_b32 v41 /*v297*/, 4, v34 :: v_dual_lshlrev_b32 v42 /*v298*/, 11, v34
	v_dual_lshlrev_b32 v43 /*v299*/, 18, v34 :: v_dual_lshlrev_b32 v47 /*v303*/, 4, v35
	s_set_vgpr_msb 0                        ;  msbs: dst=0 src0=0 src1=0 src2=0
	v_lshlrev_b32_e32 v34, 25, v34
	s_set_vgpr_msb 0x44                     ;  msbs: dst=1 src0=0 src1=1 src2=0
	v_dual_lshlrev_b32 v50 /*v306*/, 4, v14 /*v270*/ :: v_dual_lshlrev_b32 v51 /*v307*/, 11, v14 /*v270*/
	v_dual_lshlrev_b32 v52 /*v308*/, 18, v14 /*v270*/ :: v_dual_lshlrev_b32 v14 /*v270*/, 25, v14 /*v270*/
	v_and_b32_e32 v34 /*v290*/, 0x100000, v34 /*v290*/
	v_and_b32_e32 v5 /*v261*/, 0x10000000, v5 /*v261*/
	s_set_vgpr_msb 0                        ;  msbs: dst=0 src0=0 src1=0 src2=0
	v_dot4_i32_iu8 v27, v255, v39, 0 neg_lo:[1,1,0]
	v_cvt_f32_i32_e32 v26, v26
	v_dot4_i32_iu8 v32, v25, v40, 0 neg_lo:[1,1,0]
	s_set_vgpr_msb 0x44                     ;  msbs: dst=1 src0=0 src1=1 src2=0
	v_dual_lshlrev_b32 v44 /*v300*/, 4, v11 /*v267*/ :: v_dual_lshlrev_b32 v45 /*v301*/, 11, v11 /*v267*/
	v_dual_lshlrev_b32 v46 /*v302*/, 18, v11 /*v267*/ :: v_dual_lshlrev_b32 v11 /*v267*/, 25, v11 /*v267*/
	s_set_vgpr_msb 64                       ;  msbs: dst=1 src0=0 src1=0 src2=0
	v_dual_lshlrev_b32 v48 /*v304*/, 11, v35 :: v_dual_lshlrev_b32 v49 /*v305*/, 18, v35
	s_set_vgpr_msb 0                        ;  msbs: dst=0 src0=0 src1=0 src2=0
	v_lshlrev_b32_e32 v35, 25, v35
	v_and_b32_e32 v228, 0xf0f0f0f, v228
	v_and_b32_e32 v231, 0xf0f0f0f, v231
	s_set_vgpr_msb 0x44                     ;  msbs: dst=1 src0=0 src1=1 src2=0
	v_and_b32_e32 v32 /*v288*/, 16, v32 /*v288*/
	v_and_b32_e32 v33 /*v289*/, 0x1000, v33 /*v289*/
	;; [unrolled: 1-line block ×7, first 2 shown]
	s_set_vgpr_msb 0                        ;  msbs: dst=0 src0=0 src1=0 src2=0
	v_and_b32_e32 v34, 0x10000000, v34
	s_set_vgpr_msb 0x55                     ;  msbs: dst=1 src0=1 src1=1 src2=1
	v_and_b32_e32 v52 /*v308*/, 0x100000, v52 /*v308*/
	v_and_b32_e32 v14 /*v270*/, 0x10000000, v14 /*v270*/
	;; [unrolled: 1-line block ×3, first 2 shown]
	v_or3_b32 v0 /*v256*/, v5 /*v261*/, v6 /*v262*/, v34 /*v290*/
	s_set_vgpr_msb 0                        ;  msbs: dst=0 src0=0 src1=0 src2=0
	v_cvt_f32_i32_e32 v230, v27
	v_cvt_f32_i32_e32 v32, v32
	v_fma_f32 v26, v0, v26, -v1
	v_and_b32_e32 v37, 0xf0f0f0f, v37
	s_set_vgpr_msb 0x44                     ;  msbs: dst=1 src0=0 src1=1 src2=0
	v_and_b32_e32 v36 /*v292*/, 0x1000, v36 /*v292*/
	v_and_b32_e32 v38 /*v294*/, 16, v38 /*v294*/
	;; [unrolled: 1-line block ×8, first 2 shown]
	s_set_vgpr_msb 0                        ;  msbs: dst=0 src0=0 src1=0 src2=0
	v_and_b32_e32 v35, 0x10000000, v35
	s_set_vgpr_msb 0x55                     ;  msbs: dst=1 src0=1 src1=1 src2=1
	v_or3_b32 v1 /*v257*/, v37 /*v293*/, v7 /*v263*/, v35 /*v291*/
	s_set_vgpr_msb 17                       ;  msbs: dst=0 src0=1 src1=0 src2=1
	v_or3_b32 v34, v43 /*v299*/, v34, v41 /*v297*/
	s_set_vgpr_msb 0x51                     ;  msbs: dst=1 src0=1 src1=0 src2=1
	v_or3_b32 v7 /*v263*/, v14 /*v270*/, v228, v52 /*v308*/
	v_or3_b32 v14 /*v270*/, v19 /*v275*/, v231, v63 /*v319*/
	s_set_vgpr_msb 21                       ;  msbs: dst=0 src0=1 src1=1 src2=1
	v_or3_b32 v228, v0 /*v256*/, v32 /*v288*/, v33 /*v289*/
	s_set_vgpr_msb 0                        ;  msbs: dst=0 src0=0 src1=0 src2=0
	v_dot4_i32_iu8 v231, v229, v41, 0 neg_lo:[1,1,0]
	v_dual_fma_f32 v230, v0, v230, -v1 :: v_dual_fma_f32 v32, v0, v32, -v1
	s_wait_loadcnt 0x0
	v_fma_mix_f32 v26, v26, v23, 0 op_sel_hi:[0,1,0]
	s_set_vgpr_msb 0x55                     ;  msbs: dst=1 src0=1 src1=1 src2=1
	v_and_b32_e32 v44 /*v300*/, 16, v44 /*v300*/
	v_and_b32_e32 v45 /*v301*/, 0x1000, v45 /*v301*/
	v_or3_b32 v5 /*v261*/, v11 /*v267*/, v12 /*v268*/, v46 /*v302*/
	s_set_vgpr_msb 0x51                     ;  msbs: dst=1 src0=1 src1=0 src2=1
	v_or3_b32 v6 /*v262*/, v49 /*v305*/, v35, v47 /*v303*/
	s_set_vgpr_msb 21                       ;  msbs: dst=0 src0=1 src1=1 src2=1
	v_or3_b32 v227, v1 /*v257*/, v36 /*v292*/, v8 /*v264*/
	s_set_vgpr_msb 20                       ;  msbs: dst=0 src0=0 src1=1 src2=1
	v_or3_b32 v35, v33, v38 /*v294*/, v39 /*v295*/
	s_set_vgpr_msb 4                        ;  msbs: dst=0 src0=0 src1=1 src2=0
	v_or3_b32 v37, v34, v42 /*v298*/, v37
	s_set_vgpr_msb 64                       ;  msbs: dst=1 src0=0 src1=0 src2=0
	v_dot4_i32_iu8 v0 /*v256*/, v228, v42, 0 neg_lo:[1,1,0]
	s_set_vgpr_msb 0                        ;  msbs: dst=0 src0=0 src1=0 src2=0
	v_cvt_f32_i32_e32 v231, v231
	v_fma_mix_f32 v26, v230, v23, v26 op_sel_hi:[0,1,0]
	s_set_vgpr_msb 21                       ;  msbs: dst=0 src0=1 src1=1 src2=1
	v_or3_b32 v33, v5 /*v261*/, v44 /*v300*/, v45 /*v301*/
	s_set_vgpr_msb 64                       ;  msbs: dst=1 src0=0 src1=0 src2=0
	v_dot4_i32_iu8 v1 /*v257*/, v227, v43, 0 neg_lo:[1,1,0]
	s_set_vgpr_msb 0                        ;  msbs: dst=0 src0=0 src1=0 src2=0
	v_dot4_i32_iu8 v230, v35, v44, 0 neg_lo:[1,1,0]
	s_set_vgpr_msb 64                       ;  msbs: dst=1 src0=0 src1=0 src2=0
	v_dot4_i32_iu8 v4 /*v260*/, v37, v45, 0 neg_lo:[1,1,0]
	s_set_vgpr_msb 0x41                     ;  msbs: dst=1 src0=1 src1=0 src2=0
	v_cvt_f32_i32_e32 v0 /*v256*/, v0 /*v256*/
	s_set_vgpr_msb 64                       ;  msbs: dst=1 src0=0 src1=0 src2=0
	v_fma_f32 v5 /*v261*/, v0, v231, -v1
	s_set_vgpr_msb 0                        ;  msbs: dst=0 src0=0 src1=0 src2=0
	v_fma_mix_f32 v26, v32, v23, v26 op_sel_hi:[0,1,0]
	s_set_vgpr_msb 0x44                     ;  msbs: dst=1 src0=0 src1=1 src2=0
	v_and_b32_e32 v50 /*v306*/, 16, v50 /*v306*/
	v_and_b32_e32 v51 /*v307*/, 0x1000, v51 /*v307*/
	s_set_vgpr_msb 1                        ;  msbs: dst=0 src0=1 src1=0 src2=0
	v_cvt_f32_i32_e32 v32, v1 /*v257*/
	v_cvt_f32_i32_e32 v231, v4 /*v260*/
	s_set_vgpr_msb 0                        ;  msbs: dst=0 src0=0 src1=0 src2=0
	v_cvt_f32_i32_e32 v230, v230
	s_set_vgpr_msb 0x44                     ;  msbs: dst=1 src0=0 src1=1 src2=0
	v_fma_f32 v4 /*v260*/, v2, v0 /*v256*/, -v82
	s_set_vgpr_msb 1                        ;  msbs: dst=0 src0=1 src1=0 src2=0
	v_fma_mix_f32 v26, v5 /*v261*/, v23, v26 op_sel_hi:[0,1,0]
	s_set_vgpr_msb 0x44                     ;  msbs: dst=1 src0=0 src1=1 src2=0
	v_and_b32_e32 v48 /*v304*/, 0x1000, v48 /*v304*/
	s_set_vgpr_msb 21                       ;  msbs: dst=0 src0=1 src1=1 src2=1
	v_or3_b32 v27, v7 /*v263*/, v50 /*v306*/, v51 /*v307*/
	s_set_vgpr_msb 0                        ;  msbs: dst=0 src0=0 src1=0 src2=0
	v_fma_f32 v32, v2, v32, -v82
	s_set_vgpr_msb 64                       ;  msbs: dst=1 src0=0 src1=0 src2=0
	v_pk_fma_f32 v[0:1] /*v[256:257]*/, v[2:3], v[230:231], v[82:83] neg_lo:[0,0,1] neg_hi:[0,0,1]
	s_set_vgpr_msb 5                        ;  msbs: dst=0 src0=1 src1=1 src2=0
	v_fma_mix_f32 v26, v4 /*v260*/, v3 /*v259*/, v26 op_sel_hi:[0,1,0]
	s_set_vgpr_msb 21                       ;  msbs: dst=0 src0=1 src1=1 src2=1
	v_or3_b32 v231, v9 /*v265*/, v68 /*v324*/, v54 /*v310*/
	v_cvt_f32_f16_e64 v24, v3 /*v259*/
	v_or3_b32 v34, v6 /*v262*/, v48 /*v304*/, v13 /*v269*/
	s_set_vgpr_msb 64                       ;  msbs: dst=1 src0=0 src1=0 src2=0
	v_dot4_i32_iu8 v6 /*v262*/, v33, v46, 0 neg_lo:[1,1,0]
	s_set_vgpr_msb 4                        ;  msbs: dst=0 src0=0 src1=1 src2=0
	v_fma_mix_f32 v26, v32, v3 /*v259*/, v26 op_sel_hi:[0,1,0]
	s_set_vgpr_msb 0                        ;  msbs: dst=0 src0=0 src1=0 src2=0
	v_dot4_i32_iu8 v32, v231, v49, 0 neg_lo:[1,1,0]
	s_set_vgpr_msb 64                       ;  msbs: dst=1 src0=0 src1=0 src2=0
	v_dot4_i32_iu8 v3 /*v259*/, v27, v48, 0 neg_lo:[1,1,0]
	v_dot4_i32_iu8 v5 /*v261*/, v34, v47, 0 neg_lo:[1,1,0]
	s_set_vgpr_msb 0x41                     ;  msbs: dst=1 src0=1 src1=0 src2=0
	v_cvt_f32_i32_e32 v4 /*v260*/, v6 /*v262*/
	s_set_vgpr_msb 0x44                     ;  msbs: dst=1 src0=0 src1=1 src2=0
	v_and_b32_e32 v15 /*v271*/, 0x10000000, v15 /*v271*/
	v_cvt_f32_i32_e32 v7 /*v263*/, v32
	s_set_vgpr_msb 0x41                     ;  msbs: dst=1 src0=1 src1=0 src2=0
	v_cvt_f32_i32_e32 v6 /*v262*/, v3 /*v259*/
	s_set_vgpr_msb 0x44                     ;  msbs: dst=1 src0=0 src1=1 src2=0
	v_and_b32_e32 v17 /*v273*/, 0x10000000, v17 /*v273*/
	s_set_vgpr_msb 0x41                     ;  msbs: dst=1 src0=1 src1=0 src2=0
	v_cvt_f32_i32_e32 v5 /*v261*/, v5 /*v261*/
	v_pk_mul_f32 v[0:1] /*v[256:257]*/, v[0:1] /*v[256:257]*/, v[24:25] op_sel_hi:[1,0]
	s_set_vgpr_msb 0x55                     ;  msbs: dst=1 src0=1 src1=1 src2=1
	v_or3_b32 v11 /*v267*/, v15 /*v271*/, v16 /*v272*/, v57 /*v313*/
	s_set_vgpr_msb 0x44                     ;  msbs: dst=1 src0=0 src1=1 src2=0
	v_pk_fma_f32 v[6:7] /*v[262:263]*/, v[4:5], v[6:7] /*v[262:263]*/, v[80:81] neg_lo:[0,0,1] neg_hi:[0,0,1]
	s_set_vgpr_msb 0x55                     ;  msbs: dst=1 src0=1 src1=1 src2=1
	v_or3_b32 v12 /*v268*/, v60 /*v316*/, v17 /*v273*/, v58 /*v314*/
	s_set_vgpr_msb 0x44                     ;  msbs: dst=1 src0=0 src1=1 src2=0
	v_pk_fma_f32 v[4:5] /*v[260:261]*/, v[4:5], v[4:5] /*v[260:261]*/, v[80:81] neg_lo:[0,0,1] neg_hi:[0,0,1]
	v_and_b32_e32 v67 /*v323*/, 0x100000, v67 /*v323*/
	s_set_vgpr_msb 21                       ;  msbs: dst=0 src0=1 src1=1 src2=1
	v_or3_b32 v230, v11 /*v267*/, v55 /*v311*/, v56 /*v312*/
	s_set_vgpr_msb 0x41                     ;  msbs: dst=1 src0=1 src1=0 src2=0
	v_pk_mul_f32 v[6:7] /*v[262:263]*/, v[6:7] /*v[262:263]*/, v[22:23] op_sel_hi:[1,0]
	s_set_vgpr_msb 1                        ;  msbs: dst=0 src0=1 src1=0 src2=0
	v_add_f32_e32 v26, v0 /*v256*/, v26
	s_set_vgpr_msb 0x55                     ;  msbs: dst=1 src0=1 src1=1 src2=1
	v_or3_b32 v0 /*v256*/, v12 /*v268*/, v59 /*v315*/, v18 /*v274*/
	s_set_vgpr_msb 0x41                     ;  msbs: dst=1 src0=1 src1=0 src2=0
	v_pk_mul_f32 v[4:5] /*v[260:261]*/, v[4:5] /*v[260:261]*/, v[22:23] op_sel_hi:[1,0]
	s_set_vgpr_msb 21                       ;  msbs: dst=0 src0=1 src1=1 src2=1
	v_or3_b32 v32, v67 /*v323*/, v69 /*v325*/, v64 /*v320*/
	s_set_vgpr_msb 64                       ;  msbs: dst=1 src0=0 src1=0 src2=0
	v_dot4_i32_iu8 v8 /*v264*/, v230, v50, 0 neg_lo:[1,1,0]
	s_set_vgpr_msb 4                        ;  msbs: dst=0 src0=0 src1=1 src2=0
	v_add_f32_e32 v26, v26, v1 /*v257*/
	s_set_vgpr_msb 0x41                     ;  msbs: dst=1 src0=1 src1=0 src2=0
	v_dot4_i32_iu8 v3 /*v259*/, v0 /*v256*/, v51, 0 neg_lo:[1,1,0]
	s_set_vgpr_msb 0x54                     ;  msbs: dst=1 src0=0 src1=1 src2=1
	v_or3_b32 v1 /*v257*/, v32, v65 /*v321*/, v66 /*v322*/
	s_set_vgpr_msb 0x41                     ;  msbs: dst=1 src0=1 src1=0 src2=0
	v_cvt_f32_i32_e32 v8 /*v264*/, v8 /*v264*/
	s_set_vgpr_msb 4                        ;  msbs: dst=0 src0=0 src1=1 src2=0
	v_add_f32_e32 v26, v26, v4 /*v260*/
	s_set_vgpr_msb 0x55                     ;  msbs: dst=1 src0=1 src1=1 src2=1
	v_cvt_f32_i32_e32 v9 /*v265*/, v3 /*v259*/
	v_or3_b32 v3 /*v259*/, v14 /*v270*/, v61 /*v317*/, v62 /*v318*/
	s_set_vgpr_msb 4                        ;  msbs: dst=0 src0=0 src1=1 src2=0
	v_add_f32_e32 v32, v26, v5 /*v261*/
	s_set_vgpr_msb 1                        ;  msbs: dst=0 src0=1 src1=0 src2=0
	v_cvt_f32_f16_e64 v26, v10 /*v266*/
	s_set_vgpr_msb 0x41                     ;  msbs: dst=1 src0=1 src1=0 src2=0
	v_dot4_i32_iu8 v10 /*v266*/, v1 /*v257*/, v53, 0 neg_lo:[1,1,0]
	s_set_vgpr_msb 0x44                     ;  msbs: dst=1 src0=0 src1=1 src2=0
	v_pk_fma_f32 v[4:5] /*v[260:261]*/, v[6:7], v[8:9] /*v[264:265]*/, v[78:79] neg_lo:[0,0,1] neg_hi:[0,0,1]
	s_set_vgpr_msb 1                        ;  msbs: dst=0 src0=1 src1=0 src2=0
	v_add_f32_e32 v32, v6 /*v262*/, v32
	s_set_vgpr_msb 0x41                     ;  msbs: dst=1 src0=1 src1=0 src2=0
	v_dot4_i32_iu8 v6 /*v262*/, v3 /*v259*/, v52, 0 neg_lo:[1,1,0]
	v_cvt_f32_i32_e32 v9 /*v265*/, v10 /*v266*/
	v_pk_mul_f32 v[4:5] /*v[260:261]*/, v[4:5] /*v[260:261]*/, v[26:27] op_sel_hi:[1,0]
	s_set_vgpr_msb 4                        ;  msbs: dst=0 src0=0 src1=1 src2=0
	v_add_f32_e32 v32, v32, v7 /*v263*/
	s_set_vgpr_msb 0x41                     ;  msbs: dst=1 src0=1 src1=0 src2=0
	v_cvt_f32_i32_e32 v8 /*v264*/, v6 /*v262*/
	s_set_vgpr_msb 4                        ;  msbs: dst=0 src0=0 src1=1 src2=0
	s_delay_alu instid0(VALU_DEP_2) | instskip(SKIP_1) | instid1(VALU_DEP_2)
	v_add_f32_e32 v32, v32, v4 /*v260*/
	s_set_vgpr_msb 0x44                     ;  msbs: dst=1 src0=0 src1=1 src2=0
	v_pk_fma_f32 v[6:7] /*v[262:263]*/, v[6:7], v[8:9] /*v[264:265]*/, v[78:79] neg_lo:[0,0,1] neg_hi:[0,0,1]
	s_set_vgpr_msb 4                        ;  msbs: dst=0 src0=0 src1=1 src2=0
	s_delay_alu instid0(VALU_DEP_2) | instskip(SKIP_1) | instid1(VALU_DEP_2)
	v_add_f32_e32 v32, v32, v5 /*v261*/
	s_set_vgpr_msb 0x41                     ;  msbs: dst=1 src0=1 src1=0 src2=0
	v_pk_mul_f32 v[4:5] /*v[260:261]*/, v[6:7] /*v[262:263]*/, v[26:27] op_sel_hi:[1,0]
	s_set_vgpr_msb 1                        ;  msbs: dst=0 src0=1 src1=0 src2=0
	s_delay_alu instid0(VALU_DEP_1) | instskip(SKIP_1) | instid1(VALU_DEP_1)
	v_add_f32_e32 v32, v4 /*v260*/, v32
	s_set_vgpr_msb 4                        ;  msbs: dst=0 src0=0 src1=1 src2=0
	v_add_f32_e32 v32, v32, v5 /*v261*/
	s_set_vgpr_msb 64                       ;  msbs: dst=1 src0=0 src1=0 src2=0
	ds_bpermute_b32 v4 /*v260*/, v241, v32
	s_wait_dscnt 0x0
	s_set_vgpr_msb 4                        ;  msbs: dst=0 src0=0 src1=1 src2=0
	v_add_f32_e32 v32, v32, v4 /*v260*/
                                        ; implicit-def: $vgpr260
	s_set_vgpr_msb 0                        ;  msbs: dst=0 src0=0 src1=0 src2=0
	s_delay_alu instid0(VALU_DEP_1) | instskip(SKIP_1) | instid1(SALU_CYCLE_1)
	v_cmp_ngt_f32_e64 s10, 0x3f200000, |v32|
	s_and_saveexec_b32 s11, s10
	s_xor_b32 s10, exec_lo, s11
	s_cbranch_execz .LBB22_31
; %bb.30:                               ;   in Loop: Header=BB22_17 Depth=1
	s_set_vgpr_msb 64                       ;  msbs: dst=1 src0=0 src1=0 src2=0
	v_add_f32_e64 v4 /*v260*/, |v32|, |v32|
	s_set_vgpr_msb 0x44                     ;  msbs: dst=1 src0=0 src1=1 src2=0
	s_delay_alu instid0(VALU_DEP_1) | instskip(SKIP_2) | instid1(VALU_DEP_2)
	v_mul_f32_e32 v5 /*v261*/, 0x3fb8aa3b, v4 /*v260*/
	v_cmp_ngt_f32_e32 vcc_lo, 0xc2ce8ed0, v4 /*v260*/
	s_set_vgpr_msb 0x41                     ;  msbs: dst=1 src0=1 src1=0 src2=0
	v_rndne_f32_e32 v6 /*v262*/, v5 /*v261*/
	s_set_vgpr_msb 0x54                     ;  msbs: dst=1 src0=0 src1=1 src2=1
	v_fma_f32 v7 /*v263*/, 0x3fb8aa3b, v4 /*v260*/, -v5 /*v261*/
	s_set_vgpr_msb 0x45                     ;  msbs: dst=1 src0=1 src1=1 src2=0
	s_delay_alu instid0(VALU_DEP_2) | instskip(NEXT) | instid1(VALU_DEP_2)
	v_sub_f32_e32 v5 /*v261*/, v5 /*v261*/, v6 /*v262*/
	v_fmac_f32_e32 v7 /*v263*/, 0x32a5705f, v4 /*v260*/
	v_cvt_i32_f32_e32 v6 /*v262*/, v6 /*v262*/
	s_delay_alu instid0(VALU_DEP_2) | instskip(NEXT) | instid1(VALU_DEP_1)
	v_add_f32_e32 v5 /*v261*/, v5 /*v261*/, v7 /*v263*/
	v_exp_f32_e32 v5 /*v261*/, v5 /*v261*/
	v_nop
	s_delay_alu instid0(TRANS32_DEP_1) | instskip(NEXT) | instid1(VALU_DEP_1)
	v_ldexp_f32 v5 /*v261*/, v5 /*v261*/, v6 /*v262*/
	v_cndmask_b32_e32 v5 /*v261*/, 0, v5 /*v261*/, vcc_lo
	v_cmp_nlt_f32_e32 vcc_lo, 0x42b17218, v4 /*v260*/
	s_delay_alu instid0(VALU_DEP_2) | instskip(NEXT) | instid1(VALU_DEP_1)
	v_cndmask_b32_e32 v4 /*v260*/, 0x7f800000, v5 /*v261*/, vcc_lo
	v_add_f32_e32 v4 /*v260*/, 1.0, v4 /*v260*/
	s_delay_alu instid0(VALU_DEP_1) | instskip(SKIP_1) | instid1(TRANS32_DEP_1)
	v_rcp_f32_e32 v4 /*v260*/, v4 /*v260*/
	v_nop
	v_fma_f32 v4 /*v260*/, v4 /*v260*/, -2.0, 1.0
.LBB22_31:                              ;   in Loop: Header=BB22_17 Depth=1
	s_and_not1_saveexec_b32 s10, s10
	s_set_vgpr_msb 0                        ;  msbs: dst=0 src0=0 src1=0 src2=0
	s_cbranch_execz .LBB22_33
; %bb.32:                               ;   in Loop: Header=BB22_17 Depth=1
	s_set_vgpr_msb 64                       ;  msbs: dst=1 src0=0 src1=0 src2=0
	v_mul_f32_e32 v4 /*v260*/, v32, v32
	s_set_vgpr_msb 0x45                     ;  msbs: dst=1 src0=1 src1=1 src2=0
	s_delay_alu instid0(VALU_DEP_1) | instskip(NEXT) | instid1(VALU_DEP_1)
	v_fmaak_f32 v5 /*v261*/, s9, v4 /*v260*/, 0x3ca908c9
	v_fmaak_f32 v5 /*v261*/, v4 /*v260*/, v5 /*v261*/, 0xbd5c1c4e
	s_delay_alu instid0(VALU_DEP_1) | instskip(NEXT) | instid1(VALU_DEP_1)
	v_fmaak_f32 v5 /*v261*/, v4 /*v260*/, v5 /*v261*/, 0x3e088382
	v_fmaak_f32 v5 /*v261*/, v4 /*v260*/, v5 /*v261*/, 0xbeaaaa99
	s_set_vgpr_msb 0x44                     ;  msbs: dst=1 src0=0 src1=1 src2=0
	s_delay_alu instid0(VALU_DEP_1) | instskip(SKIP_1) | instid1(VALU_DEP_1)
	v_mul_f32_e64 v5 /*v261*/, |v32|, v5 /*v261*/
	s_set_vgpr_msb 0x45                     ;  msbs: dst=1 src0=1 src1=1 src2=0
	v_fma_f32 v4 /*v260*/, v4 /*v260*/, v5 /*v261*/, |v32|
.LBB22_33:                              ;   in Loop: Header=BB22_17 Depth=1
	s_or_b32 exec_lo, exec_lo, s10
	s_set_vgpr_msb 4                        ;  msbs: dst=0 src0=0 src1=1 src2=0
	s_delay_alu instid0(VALU_DEP_1) | instskip(SKIP_2) | instid1(VALU_DEP_1)
	v_bfi_b32 v32, 0x7fffffff, v4 /*v260*/, v32
	s_and_not1_b32 vcc_lo, exec_lo, s27
	s_set_vgpr_msb 0                        ;  msbs: dst=0 src0=0 src1=0 src2=0
	v_mul_f32_e32 v32, s31, v32
	s_cbranch_vccnz .LBB22_35
; %bb.34:                               ;   in Loop: Header=BB22_17 Depth=1
	global_load_u16 v20, v[20:21], off
	s_wait_loadcnt 0x0
	v_fma_mix_f32 v32, v239, v20, v32 op_sel_hi:[0,1,0]
.LBB22_35:                              ;   in Loop: Header=BB22_17 Depth=1
	s_set_vgpr_msb 1                        ;  msbs: dst=0 src0=1 src1=0 src2=0
	v_dot4_i32_iu8 v20, v2 /*v258*/, v54, 0 neg_lo:[1,1,0]
	s_set_vgpr_msb 0                        ;  msbs: dst=0 src0=0 src1=0 src2=0
	v_dot4_i32_iu8 v21, v255, v55, 0 neg_lo:[1,1,0]
	v_cvt_f32_f16_e32 v23, v23
	v_dot4_i32_iu8 v255, v25, v56, 0 neg_lo:[1,1,0]
	v_dot4_i32_iu8 v229, v229, v57, 0 neg_lo:[1,1,0]
	v_cvt_f32_i32_e32 v20, v20
	v_cvt_f32_i32_e32 v21, v21
	v_dot4_i32_iu8 v35, v35, v60, 0 neg_lo:[1,1,0]
	v_cvt_f32_i32_e32 v255, v255
	v_dot4_i32_iu8 v227, v227, v59, 0 neg_lo:[1,1,0]
	s_delay_alu instid0(VALU_DEP_4) | instskip(SKIP_1) | instid1(VALU_DEP_3)
	v_dual_fma_f32 v20, v8, v20, -v9 :: v_dual_fma_f32 v21, v8, v21, -v9
	v_dot4_i32_iu8 v27, v27, v64, 0 neg_lo:[1,1,0]
	v_cvt_f32_i32_e32 v227, v227
	s_set_vgpr_msb 64                       ;  msbs: dst=1 src0=0 src1=0 src2=0
	s_delay_alu instid0(VALU_DEP_3)
	v_fma_f32 v2 /*v258*/, v20, v23, 0
	s_set_vgpr_msb 0                        ;  msbs: dst=0 src0=0 src1=0 src2=0
	v_dot4_i32_iu8 v20, v228, v58, 0 neg_lo:[1,1,0]
	v_cvt_f32_i32_e32 v228, v229
	v_fma_f32 v229, v8, v255, -v9
	s_set_vgpr_msb 64                       ;  msbs: dst=1 src0=0 src1=0 src2=0
	v_fmac_f32_e32 v2 /*v258*/, v21, v23
	s_set_vgpr_msb 0                        ;  msbs: dst=0 src0=0 src1=0 src2=0
	v_dot4_i32_iu8 v21, v37, v61, 0 neg_lo:[1,1,0]
	v_cvt_f32_i32_e32 v37, v20
	v_fma_f32 v228, v8, v228, -v9
	v_cvt_f32_i32_e32 v20, v35
	s_set_vgpr_msb 64                       ;  msbs: dst=1 src0=0 src1=0 src2=0
	v_fmac_f32_e32 v2 /*v258*/, v229, v23
	s_set_vgpr_msb 0                        ;  msbs: dst=0 src0=0 src1=0 src2=0
	v_cvt_f32_i32_e32 v21, v21
	v_dual_mov_b32 v25, v24 :: v_dual_fma_f32 v35, v10, v37, -v76
	s_set_vgpr_msb 64                       ;  msbs: dst=1 src0=0 src1=0 src2=0
	v_fmac_f32_e32 v2 /*v258*/, v228, v23
	s_set_vgpr_msb 0                        ;  msbs: dst=0 src0=0 src1=0 src2=0
	v_pk_fma_f32 v[20:21], v[10:11], v[20:21], v[76:77] neg_lo:[0,0,1] neg_hi:[0,0,1]
	v_dot4_i32_iu8 v23, v33, v62, 0 neg_lo:[1,1,0]
	v_dot4_i32_iu8 v33, v34, v63, 0 neg_lo:[1,1,0]
	s_set_vgpr_msb 64                       ;  msbs: dst=1 src0=0 src1=0 src2=0
	v_fmac_f32_e32 v2 /*v258*/, v35, v24
	s_set_vgpr_msb 0                        ;  msbs: dst=0 src0=0 src1=0 src2=0
	v_pk_mul_f32 v[20:21], v[20:21], v[24:25]
	v_fma_f32 v37, v10, v227, -v76
	v_cvt_f32_i32_e32 v35, v33
	v_cvt_f32_i32_e32 v34, v23
	v_dot4_i32_iu8 v33, v231, v65, 0 neg_lo:[1,1,0]
	s_set_vgpr_msb 64                       ;  msbs: dst=1 src0=0 src1=0 src2=0
	v_fmac_f32_e32 v2 /*v258*/, v37, v24
	s_set_vgpr_msb 0                        ;  msbs: dst=0 src0=0 src1=0 src2=0
	v_mov_b32_e32 v23, v22
	v_pk_fma_f32 v[24:25], v[12:13], v[34:35], v[74:75] neg_lo:[0,0,1] neg_hi:[0,0,1]
	v_cvt_f32_i32_e32 v35, v33
	v_cvt_f32_i32_e32 v34, v27
	s_set_vgpr_msb 4                        ;  msbs: dst=0 src0=0 src1=1 src2=0
	v_add_f32_e32 v20, v20, v2 /*v258*/
	s_set_vgpr_msb 1                        ;  msbs: dst=0 src0=1 src1=0 src2=0
	v_dot4_i32_iu8 v33, v0 /*v256*/, v67, 0 neg_lo:[1,1,0]
	s_set_vgpr_msb 0                        ;  msbs: dst=0 src0=0 src1=0 src2=0
	v_dot4_i32_iu8 v37, v230, v66, 0 neg_lo:[1,1,0]
	v_pk_mul_f32 v[24:25], v[24:25], v[22:23]
	v_add_f32_e32 v27, v20, v21
	v_pk_fma_f32 v[20:21], v[12:13], v[34:35], v[74:75] neg_lo:[0,0,1] neg_hi:[0,0,1]
	v_cvt_f32_i32_e32 v35, v33
	v_cvt_f32_i32_e32 v34, v37
	s_delay_alu instid0(VALU_DEP_4) | instskip(NEXT) | instid1(VALU_DEP_4)
	v_dual_add_f32 v24, v27, v24 :: v_dual_mov_b32 v27, v26
	v_pk_mul_f32 v[20:21], v[20:21], v[22:23]
	s_delay_alu instid0(VALU_DEP_3) | instskip(NEXT) | instid1(VALU_DEP_1)
	v_pk_fma_f32 v[22:23], v[14:15], v[34:35], v[72:73] neg_lo:[0,0,1] neg_hi:[0,0,1]
	v_pk_mul_f32 v[22:23], v[22:23], v[26:27]
	s_delay_alu instid0(VALU_DEP_4) | instskip(SKIP_3) | instid1(VALU_DEP_2)
	v_add_f32_e32 v24, v24, v25
	s_set_vgpr_msb 1                        ;  msbs: dst=0 src0=1 src1=0 src2=0
	v_dot4_i32_iu8 v25, v1 /*v257*/, v69, 0 neg_lo:[1,1,0]
	s_set_vgpr_msb 0                        ;  msbs: dst=0 src0=0 src1=0 src2=0
	v_add_f32_e32 v20, v20, v24
	s_set_vgpr_msb 1                        ;  msbs: dst=0 src0=1 src1=0 src2=0
	v_dot4_i32_iu8 v24, v3 /*v259*/, v68, 0 neg_lo:[1,1,0]
	s_set_vgpr_msb 0                        ;  msbs: dst=0 src0=0 src1=0 src2=0
	v_cvt_f32_i32_e32 v25, v25
	v_add_f32_e32 v20, v20, v21
	s_delay_alu instid0(VALU_DEP_3) | instskip(NEXT) | instid1(VALU_DEP_2)
	v_cvt_f32_i32_e32 v24, v24
	v_add_f32_e32 v22, v20, v22
	s_delay_alu instid0(VALU_DEP_2) | instskip(NEXT) | instid1(VALU_DEP_2)
	v_pk_fma_f32 v[20:21], v[14:15], v[24:25], v[72:73] neg_lo:[0,0,1] neg_hi:[0,0,1]
	v_add_f32_e32 v22, v22, v23
	s_delay_alu instid0(VALU_DEP_2) | instskip(NEXT) | instid1(VALU_DEP_1)
	v_pk_mul_f32 v[20:21], v[20:21], v[26:27]
	v_add_f32_e32 v20, v20, v22
	s_delay_alu instid0(VALU_DEP_1) | instskip(SKIP_3) | instid1(VALU_DEP_1)
	v_add_f32_e32 v20, v20, v21
	ds_bpermute_b32 v21, v241, v20
	s_wait_dscnt 0x0
	v_add_f32_e32 v20, v20, v21
                                        ; implicit-def: $vgpr21
	v_cmp_ngt_f32_e64 s10, 0x3f200000, |v20|
	s_and_saveexec_b32 s11, s10
	s_delay_alu instid0(SALU_CYCLE_1)
	s_xor_b32 s10, exec_lo, s11
	s_cbranch_execz .LBB22_37
; %bb.36:                               ;   in Loop: Header=BB22_17 Depth=1
	v_add_f32_e64 v21, |v20|, |v20|
	s_delay_alu instid0(VALU_DEP_1) | instskip(SKIP_1) | instid1(VALU_DEP_2)
	v_mul_f32_e32 v22, 0x3fb8aa3b, v21
	v_cmp_ngt_f32_e32 vcc_lo, 0xc2ce8ed0, v21
	v_rndne_f32_e32 v23, v22
	v_fma_f32 v24, 0x3fb8aa3b, v21, -v22
	s_delay_alu instid0(VALU_DEP_2) | instskip(NEXT) | instid1(VALU_DEP_2)
	v_sub_f32_e32 v22, v22, v23
	v_fmac_f32_e32 v24, 0x32a5705f, v21
	v_cvt_i32_f32_e32 v23, v23
	s_delay_alu instid0(VALU_DEP_2) | instskip(NEXT) | instid1(VALU_DEP_1)
	v_add_f32_e32 v22, v22, v24
	v_exp_f32_e32 v22, v22
	v_nop
	s_delay_alu instid0(TRANS32_DEP_1) | instskip(NEXT) | instid1(VALU_DEP_1)
	v_ldexp_f32 v22, v22, v23
	v_cndmask_b32_e32 v22, 0, v22, vcc_lo
	v_cmp_nlt_f32_e32 vcc_lo, 0x42b17218, v21
	s_delay_alu instid0(VALU_DEP_2) | instskip(NEXT) | instid1(VALU_DEP_1)
	v_cndmask_b32_e32 v21, 0x7f800000, v22, vcc_lo
	v_add_f32_e32 v21, 1.0, v21
	s_delay_alu instid0(VALU_DEP_1) | instskip(SKIP_1) | instid1(TRANS32_DEP_1)
	v_rcp_f32_e32 v21, v21
	v_nop
	v_fma_f32 v21, v21, -2.0, 1.0
.LBB22_37:                              ;   in Loop: Header=BB22_17 Depth=1
	s_and_not1_saveexec_b32 s10, s10
	s_cbranch_execz .LBB22_39
; %bb.38:                               ;   in Loop: Header=BB22_17 Depth=1
	v_mul_f32_e32 v21, v20, v20
	s_delay_alu instid0(VALU_DEP_1) | instskip(NEXT) | instid1(VALU_DEP_1)
	v_fmaak_f32 v22, s9, v21, 0x3ca908c9
	v_fmaak_f32 v22, v21, v22, 0xbd5c1c4e
	s_delay_alu instid0(VALU_DEP_1) | instskip(NEXT) | instid1(VALU_DEP_1)
	v_fmaak_f32 v22, v21, v22, 0x3e088382
	v_fmaak_f32 v22, v21, v22, 0xbeaaaa99
	s_delay_alu instid0(VALU_DEP_1) | instskip(NEXT) | instid1(VALU_DEP_1)
	v_mul_f32_e64 v22, |v20|, v22
	v_fma_f32 v21, v21, v22, |v20|
.LBB22_39:                              ;   in Loop: Header=BB22_17 Depth=1
	s_or_b32 exec_lo, exec_lo, s10
	s_delay_alu instid0(VALU_DEP_1) | instskip(SKIP_1) | instid1(VALU_DEP_1)
	v_bfi_b32 v20, 0x7fffffff, v21, v20
	s_and_not1_b32 vcc_lo, exec_lo, s8
	v_mul_f32_e32 v20, s31, v20
	s_cbranch_vccnz .LBB22_41
; %bb.40:                               ;   in Loop: Header=BB22_17 Depth=1
	v_add_nc_u64_e32 v[22:23], s[14:15], v[92:93]
	global_load_u16 v21, v[22:23], off
	s_wait_loadcnt 0x0
	v_fma_mix_f32 v20, v239, v21, v20 op_sel_hi:[0,1,0]
.LBB22_41:                              ;   in Loop: Header=BB22_17 Depth=1
	v_add_nc_u64_e32 v[22:23], s[4:5], v[98:99]
	v_add_nc_u64_e32 v[24:25], s[4:5], v[94:95]
	;; [unrolled: 1-line block ×5, first 2 shown]
	v_add_f32_e32 v21, 0x40051340, v30
	s_set_vgpr_msb 64                       ;  msbs: dst=1 src0=0 src1=0 src2=0
	v_cndmask_b32_e64 v6 /*v262*/, v20, v31, s1
	s_set_vgpr_msb 0                        ;  msbs: dst=0 src0=0 src1=0 src2=0
	global_load_b32 v37, v[22:23], off
	global_load_b32 v255, v[24:25], off offset:2
	s_wait_xcnt 0x1
	v_add_nc_u64_e32 v[22:23], s[4:5], v[224:225]
	s_set_vgpr_msb 64                       ;  msbs: dst=1 src0=0 src1=0 src2=0
	global_load_u16 v12 /*v268*/, v[24:25], off
	global_load_b32 v13 /*v269*/, v[34:35], off
	global_load_b32 v14 /*v270*/, v[26:27], off offset:2
	s_wait_xcnt 0x1
	s_set_vgpr_msb 0                        ;  msbs: dst=0 src0=0 src1=0 src2=0
	v_add_nc_u64_e32 v[34:35], s[4:5], v[218:219]
	v_add_nc_u64_e32 v[24:25], s[4:5], v[220:221]
	s_set_vgpr_msb 64                       ;  msbs: dst=1 src0=0 src1=0 src2=0
	global_load_u16 v15 /*v271*/, v[26:27], off
	global_load_b32 v16 /*v272*/, v[228:229], off
	global_load_b32 v17 /*v273*/, v[22:23], off offset:2
	s_wait_xcnt 0x1
	s_set_vgpr_msb 0                        ;  msbs: dst=0 src0=0 src1=0 src2=0
	v_add_nc_u64_e32 v[228:229], s[4:5], v[214:215]
	;; [unrolled: 8-line block ×3, first 2 shown]
	v_add_nc_u64_e32 v[22:23], s[4:5], v[212:213]
	s_set_vgpr_msb 64                       ;  msbs: dst=1 src0=0 src1=0 src2=0
	global_load_u16 v21 /*v277*/, v[24:25], off
	global_load_b32 v22 /*v278*/, v[228:229], off
	s_clause 0x1
	global_load_b32 v23 /*v279*/, v[26:27], off offset:2
	global_load_u16 v24 /*v280*/, v[26:27], off
	global_load_b32 v25 /*v281*/, v[34:35], off
	global_load_b32 v26 /*v282*/, v[22:23], off offset:2
	s_wait_xcnt 0x5
	s_set_vgpr_msb 0                        ;  msbs: dst=0 src0=0 src1=0 src2=0
	v_dual_add_f32 v24, 0x40051340, v32 :: v_dual_add_f32 v25, 0x40051340, v31
	s_wait_xcnt 0x2
	v_add_f32_e32 v26, 0x40051340, v20
	s_wait_xcnt 0x1
	v_add_nc_u64_e32 v[34:35], s[4:5], v[200:201]
	s_set_vgpr_msb 64                       ;  msbs: dst=1 src0=0 src1=0 src2=0
	v_add_nc_u64_e32 v[0:1] /*v[256:257]*/, s[4:5], v[194:195]
	s_set_vgpr_msb 0                        ;  msbs: dst=0 src0=0 src1=0 src2=0
	v_max3_num_f32 v21, v29, v21, v24
	v_add_nc_u64_e32 v[230:231], s[4:5], v[196:197]
	v_max3_num_f32 v24, v28, v25, v26
	s_set_vgpr_msb 64                       ;  msbs: dst=1 src0=0 src1=0 src2=0
	v_add_nc_u64_e32 v[2:3] /*v[258:259]*/, s[4:5], v[190:191]
	v_add_nc_u64_e32 v[4:5] /*v[260:261]*/, s[4:5], v[192:193]
	s_set_vgpr_msb 0                        ;  msbs: dst=0 src0=0 src1=0 src2=0
	ds_bpermute_b32 v25, v242, v21
	s_set_vgpr_msb 64                       ;  msbs: dst=1 src0=0 src1=0 src2=0
	v_add_nc_u64_e32 v[10:11] /*v[266:267]*/, s[4:5], v[186:187]
	s_set_vgpr_msb 0                        ;  msbs: dst=0 src0=0 src1=0 src2=0
	ds_bpermute_b32 v26, v242, v24
	s_set_vgpr_msb 64                       ;  msbs: dst=1 src0=0 src1=0 src2=0
	v_add_nc_u64_e32 v[8:9] /*v[264:265]*/, s[4:5], v[188:189]
	s_set_vgpr_msb 0                        ;  msbs: dst=0 src0=0 src1=0 src2=0
	v_add_nc_u64_e32 v[84:85], s[36:37], v[84:85]
	v_add_nc_u64_e32 v[86:87], s[36:37], v[86:87]
	;; [unrolled: 1-line block ×16, first 2 shown]
	s_wait_dscnt 0x1
	v_max_num_f32_e32 v25, v25, v25
	v_add_nc_u64_e32 v[196:197], s[22:23], v[196:197]
	s_wait_dscnt 0x0
	v_max_num_f32_e32 v26, v26, v26
	v_add_nc_u64_e32 v[200:201], s[22:23], v[200:201]
	v_add_nc_u64_e32 v[210:211], s[22:23], v[210:211]
	v_max_num_f32_e32 v21, v21, v25
	v_add_nc_u64_e32 v[212:213], s[22:23], v[212:213]
	v_max_num_f32_e32 v24, v24, v26
	v_add_nc_u64_e32 v[214:215], s[22:23], v[214:215]
	v_add_nc_u64_e32 v[216:217], s[22:23], v[216:217]
	ds_bpermute_b32 v25, v243, v21
	v_add_nc_u64_e32 v[218:219], s[22:23], v[218:219]
	ds_bpermute_b32 v26, v243, v24
	v_add_nc_u64_e32 v[220:221], s[22:23], v[220:221]
	v_add_nc_u64_e32 v[222:223], s[22:23], v[222:223]
	v_add_nc_u64_e32 v[224:225], s[22:23], v[224:225]
	s_add_co_i32 s50, s50, s34
	v_cndmask_b32_e64 v228, v226, v30, s1
	v_add_nc_u64_e32 v[30:31], s[4:5], v[202:203]
	v_add_nc_u64_e32 v[226:227], s[4:5], v[198:199]
	;; [unrolled: 1-line block ×4, first 2 shown]
	s_cmp_ge_i32 s50, s29
	s_wait_dscnt 0x0
	v_dual_max_num_f32 v25, v25, v25 :: v_dual_max_num_f32 v26, v26, v26
	s_delay_alu instid0(VALU_DEP_1) | instskip(SKIP_4) | instid1(VALU_DEP_1)
	v_dual_max_num_f32 v21, v21, v25 :: v_dual_max_num_f32 v24, v24, v26
	ds_bpermute_b32 v25, v244, v21
	ds_bpermute_b32 v26, v244, v24
	s_wait_dscnt 0x0
	v_dual_max_num_f32 v25, v25, v25 :: v_dual_max_num_f32 v26, v26, v26
	v_max_num_f32_e32 v33, v21, v25
	v_add_nc_u64_e32 v[20:21], s[4:5], v[208:209]
	s_delay_alu instid0(VALU_DEP_3)
	v_max_num_f32_e32 v229, v24, v26
	v_add_nc_u64_e32 v[24:25], s[4:5], v[206:207]
	s_set_vgpr_msb 64                       ;  msbs: dst=1 src0=0 src1=0 src2=0
	global_load_u16 v28 /*v284*/, v[22:23], off
	global_load_b32 v29 /*v285*/, v[24:25], off
	s_clause 0x1
	global_load_b32 v30 /*v286*/, v[20:21], off offset:2
	global_load_u16 v31 /*v287*/, v[20:21], off
	global_load_b32 v32 /*v288*/, v[30:31], off
	s_set_vgpr_msb 0                        ;  msbs: dst=0 src0=0 src1=0 src2=0
	v_add_nc_u64_e32 v[26:27], s[4:5], v[204:205]
	s_set_vgpr_msb 64                       ;  msbs: dst=1 src0=0 src1=0 src2=0
	s_clause 0x1
	global_load_b32 v33 /*v289*/, v[26:27], off offset:2
	global_load_u16 v34 /*v290*/, v[26:27], off
	global_load_b32 v35 /*v291*/, v[226:227], off
	ds_bpermute_b32 v7 /*v263*/, v245, v33
	s_set_vgpr_msb 0                        ;  msbs: dst=0 src0=0 src1=0 src2=0
	v_cndmask_b32_e64 v32, v32, v228, s1
	v_add_nc_u64_e32 v[204:205], s[22:23], v[204:205]
	v_add_nc_u64_e32 v[206:207], s[22:23], v[206:207]
	;; [unrolled: 1-line block ×3, first 2 shown]
	s_wait_loadcnt 0x18
	v_ashrrev_i32_e32 v37, v251, v37
	s_wait_loadcnt 0x17
	s_set_vgpr_msb 64                       ;  msbs: dst=1 src0=0 src1=0 src2=0
	v_dual_lshrrev_b32 v51 /*v307*/, v247, v255 :: v_dual_lshrrev_b32 v52 /*v308*/, v252, v255
	v_lshrrev_b32_e32 v53 /*v309*/, v253, v255
	s_set_vgpr_msb 0                        ;  msbs: dst=0 src0=0 src1=0 src2=0
	v_lshrrev_b32_e32 v255, v254, v255
	s_wait_loadcnt 0x14
	s_set_vgpr_msb 0x44                     ;  msbs: dst=1 src0=0 src1=1 src2=0
	v_dual_ashrrev_i32 v13 /*v269*/, v251, v13 /*v269*/ :: v_dual_lshrrev_b32 v55 /*v311*/, v252, v14 /*v270*/
	v_dual_lshrrev_b32 v54 /*v310*/, v247, v14 /*v270*/ :: v_dual_lshrrev_b32 v56 /*v312*/, v253, v14 /*v270*/
	s_wait_loadcnt 0x12
	v_dual_lshrrev_b32 v14 /*v270*/, v254, v14 /*v270*/ :: v_dual_ashrrev_i32 v16 /*v272*/, v251, v16 /*v272*/
	v_dual_lshlrev_b32 v52 /*v308*/, 12, v52 /*v308*/ :: v_dual_lshlrev_b32 v53 /*v309*/, 20, v53 /*v309*/
	s_wait_loadcnt 0x8
	v_dual_lshlrev_b32 v51 /*v307*/, 4, v51 /*v307*/ :: v_dual_lshrrev_b32 v66 /*v322*/, v247, v26 /*v282*/
	s_set_vgpr_msb 0                        ;  msbs: dst=0 src0=0 src1=0 src2=0
	v_lshlrev_b32_e32 v255, 28, v255
	s_set_vgpr_msb 0x44                     ;  msbs: dst=1 src0=0 src1=1 src2=0
	v_dual_lshlrev_b32 v54 /*v310*/, 4, v54 /*v310*/ :: v_dual_lshlrev_b32 v55 /*v311*/, 12, v55 /*v311*/
	v_dual_lshlrev_b32 v56 /*v312*/, 20, v56 /*v312*/ :: v_dual_lshlrev_b32 v14 /*v270*/, 28, v14 /*v270*/
	v_dual_lshrrev_b32 v57 /*v313*/, v247, v17 /*v273*/ :: v_dual_lshrrev_b32 v58 /*v314*/, v252, v17 /*v273*/
	v_dual_lshrrev_b32 v59 /*v315*/, v253, v17 /*v273*/ :: v_dual_lshrrev_b32 v17 /*v273*/, v254, v17 /*v273*/
	s_set_vgpr_msb 0                        ;  msbs: dst=0 src0=0 src1=0 src2=0
	v_and_b32_e32 v37, 0xf0f0f0f, v37
	s_set_vgpr_msb 0x44                     ;  msbs: dst=1 src0=0 src1=1 src2=0
	v_and_b32_e32 v13 /*v269*/, 0xf0f0f0f, v13 /*v269*/
	v_and_b32_e32 v51 /*v307*/, 16, v51 /*v307*/
	v_and_b32_e32 v52 /*v308*/, 0x1000, v52 /*v308*/
	v_and_b32_e32 v53 /*v309*/, 0x100000, v53 /*v309*/
	s_set_vgpr_msb 0                        ;  msbs: dst=0 src0=0 src1=0 src2=0
	v_and_b32_e32 v255, 0x10000000, v255
	s_set_vgpr_msb 0x44                     ;  msbs: dst=1 src0=0 src1=1 src2=0
	v_and_b32_e32 v54 /*v310*/, 16, v54 /*v310*/
	v_and_b32_e32 v55 /*v311*/, 0x1000, v55 /*v311*/
	;; [unrolled: 1-line block ×4, first 2 shown]
	v_dual_lshlrev_b32 v57 /*v313*/, 4, v57 /*v313*/ :: v_dual_lshlrev_b32 v58 /*v314*/, 12, v58 /*v314*/
	v_dual_lshlrev_b32 v59 /*v315*/, 20, v59 /*v315*/ :: v_dual_lshlrev_b32 v17 /*v273*/, 28, v17 /*v273*/
	s_set_vgpr_msb 0x51                     ;  msbs: dst=1 src0=1 src1=0 src2=1
	v_or3_b32 v51 /*v307*/, v51 /*v307*/, v37, v52 /*v308*/
	s_set_vgpr_msb 4                        ;  msbs: dst=0 src0=0 src1=1 src2=0
	v_or3_b32 v37, v37, v53 /*v309*/, v255
	s_set_vgpr_msb 21                       ;  msbs: dst=0 src0=1 src1=1 src2=1
	v_or3_b32 v255, v54 /*v310*/, v13 /*v269*/, v55 /*v311*/
	s_set_vgpr_msb 0x55                     ;  msbs: dst=1 src0=1 src1=1 src2=1
	v_or3_b32 v13 /*v269*/, v13 /*v269*/, v56 /*v312*/, v14 /*v270*/
	s_set_vgpr_msb 0x44                     ;  msbs: dst=1 src0=0 src1=1 src2=0
	v_dual_ashrrev_i32 v19 /*v275*/, v251, v19 /*v275*/ :: v_dual_lshrrev_b32 v61 /*v317*/, v252, v20 /*v276*/
	v_dual_lshrrev_b32 v60 /*v316*/, v247, v20 /*v276*/ :: v_dual_lshrrev_b32 v62 /*v318*/, v253, v20 /*v276*/
	v_dual_lshrrev_b32 v20 /*v276*/, v254, v20 /*v276*/ :: v_dual_ashrrev_i32 v22 /*v278*/, v251, v22 /*v278*/
	v_dual_lshrrev_b32 v63 /*v319*/, v247, v23 /*v279*/ :: v_dual_lshrrev_b32 v64 /*v320*/, v252, v23 /*v279*/
	v_dual_lshrrev_b32 v65 /*v321*/, v253, v23 /*v279*/ :: v_dual_lshrrev_b32 v23 /*v279*/, v254, v23 /*v279*/
	v_and_b32_e32 v16 /*v272*/, 0xf0f0f0f, v16 /*v272*/
	v_and_b32_e32 v57 /*v313*/, 16, v57 /*v313*/
	;; [unrolled: 1-line block ×5, first 2 shown]
	v_dual_lshrrev_b32 v13 /*v269*/, 16, v13 /*v269*/ :: v_dual_lshlrev_b32 v60 /*v316*/, 4, v60 /*v316*/
	v_dual_lshlrev_b32 v61 /*v317*/, 12, v61 /*v317*/ :: v_dual_lshlrev_b32 v62 /*v318*/, 20, v62 /*v318*/
	v_dual_lshlrev_b32 v20 /*v276*/, 28, v20 /*v276*/ :: v_dual_lshlrev_b32 v63 /*v319*/, 4, v63 /*v319*/
	v_dual_lshlrev_b32 v64 /*v320*/, 12, v64 /*v320*/ :: v_dual_lshlrev_b32 v65 /*v321*/, 20, v65 /*v321*/
	v_lshlrev_b32_e32 v23 /*v279*/, 28, v23 /*v279*/
	s_set_vgpr_msb 0x55                     ;  msbs: dst=1 src0=1 src1=1 src2=1
	v_or3_b32 v14 /*v270*/, v57 /*v313*/, v16 /*v272*/, v58 /*v314*/
	v_or3_b32 v16 /*v272*/, v16 /*v272*/, v59 /*v315*/, v17 /*v273*/
	v_lshlrev_b16 v59 /*v315*/, 8, v13 /*v269*/
	v_and_b32_e32 v13 /*v269*/, 0x1f00, v13 /*v269*/
	v_and_b32_e32 v19 /*v275*/, 0xf0f0f0f, v19 /*v275*/
	;; [unrolled: 1-line block ×10, first 2 shown]
	v_add_nc_u16 v13 /*v269*/, 0xf000, v13 /*v269*/
	v_and_b32_e32 v63 /*v319*/, 16, v63 /*v319*/
	v_or3_b32 v17 /*v273*/, v60 /*v316*/, v19 /*v275*/, v61 /*v317*/
	v_or3_b32 v19 /*v275*/, v19 /*v275*/, v62 /*v318*/, v20 /*v276*/
	v_lshlrev_b16 v52 /*v308*/, 8, v51 /*v307*/
	v_lshrrev_b32_e32 v13 /*v269*/, 8, v13 /*v269*/
	v_or3_b32 v20 /*v276*/, v63 /*v319*/, v22 /*v278*/, v64 /*v320*/
	v_or3_b32 v22 /*v278*/, v22 /*v278*/, v65 /*v321*/, v23 /*v279*/
	s_set_vgpr_msb 0                        ;  msbs: dst=0 src0=0 src1=0 src2=0
	v_lshrrev_b32_e32 v37, 16, v37
	s_set_vgpr_msb 64                       ;  msbs: dst=1 src0=0 src1=0 src2=0
	v_lshlrev_b16 v53 /*v309*/, 8, v255
	s_set_vgpr_msb 0x44                     ;  msbs: dst=1 src0=0 src1=1 src2=0
	v_lshlrev_b16 v55 /*v311*/, 8, v17 /*v273*/
	v_add_nc_u16 v52 /*v308*/, 0xf000, v52 /*v308*/
	v_lshrrev_b32_e32 v22 /*v278*/, 16, v22 /*v278*/
	v_lshlrev_b16 v54 /*v310*/, 8, v14 /*v270*/
	v_lshlrev_b16 v56 /*v312*/, 8, v20 /*v276*/
	s_set_vgpr_msb 64                       ;  msbs: dst=1 src0=0 src1=0 src2=0
	v_lshlrev_b16 v58 /*v314*/, 8, v37
	s_set_vgpr_msb 0                        ;  msbs: dst=0 src0=0 src1=0 src2=0
	v_and_b32_e32 v37, 0x1f00, v37
	s_set_vgpr_msb 0x44                     ;  msbs: dst=1 src0=0 src1=1 src2=0
	v_lshlrev_b16 v62 /*v318*/, 8, v22 /*v278*/
	v_and_b32_e32 v22 /*v278*/, 0x1f00, v22 /*v278*/
	v_add_nc_u16 v53 /*v309*/, 0xf000, v53 /*v309*/
	v_add_nc_u16 v55 /*v311*/, 0xf000, v55 /*v311*/
	v_lshrrev_b16 v52 /*v308*/, 8, v52 /*v308*/
	v_lshrrev_b32_e32 v16 /*v272*/, 16, v16 /*v272*/
	v_add_nc_u16 v22 /*v278*/, 0xf000, v22 /*v278*/
	s_wait_dscnt 0x0
	s_wait_xcnt 0x4
	s_set_vgpr_msb 5                        ;  msbs: dst=0 src0=1 src1=1 src2=0
	v_max_num_f32_e32 v20, v7 /*v263*/, v7 /*v263*/
	s_set_vgpr_msb 0x44                     ;  msbs: dst=1 src0=0 src1=1 src2=0
	v_add_nc_u16 v54 /*v310*/, 0xf000, v54 /*v310*/
	v_add_nc_u16 v56 /*v312*/, 0xf000, v56 /*v312*/
	s_set_vgpr_msb 0                        ;  msbs: dst=0 src0=0 src1=0 src2=0
	v_add_nc_u16 v37, 0xf000, v37
	s_set_vgpr_msb 0x44                     ;  msbs: dst=1 src0=0 src1=1 src2=0
	v_lshrrev_b16 v53 /*v309*/, 8, v53 /*v309*/
	s_set_vgpr_msb 0                        ;  msbs: dst=0 src0=0 src1=0 src2=0
	v_max_num_f32_e32 v228, v33, v20
	s_set_vgpr_msb 64                       ;  msbs: dst=1 src0=0 src1=0 src2=0
	ds_bpermute_b32 v27 /*v283*/, v245, v229
	s_set_vgpr_msb 0x45                     ;  msbs: dst=1 src0=1 src1=1 src2=0
	v_lshrrev_b16 v55 /*v311*/, 8, v55 /*v311*/
	v_bitop3_b16 v51 /*v307*/, v51 /*v307*/, v52 /*v308*/, 0x1f00 bitop3:0xec
	v_lshrrev_b32_e32 v19 /*v275*/, 16, v19 /*v275*/
	s_set_vgpr_msb 0                        ;  msbs: dst=0 src0=0 src1=0 src2=0
	v_sub_f32_e32 v20, v29, v228
	s_set_vgpr_msb 0x44                     ;  msbs: dst=1 src0=0 src1=1 src2=0
	v_lshlrev_b16 v60 /*v316*/, 8, v16 /*v272*/
	v_and_b32_e32 v16 /*v272*/, 0x1f00, v16 /*v272*/
	v_add_nc_u16 v58 /*v314*/, 0xf000, v58 /*v314*/
	v_lshrrev_b16 v54 /*v310*/, 8, v54 /*v310*/
	v_lshrrev_b16 v56 /*v312*/, 8, v56 /*v312*/
	s_set_vgpr_msb 0                        ;  msbs: dst=0 src0=0 src1=0 src2=0
	v_lshrrev_b32_e32 v37, 8, v37
	s_set_vgpr_msb 4                        ;  msbs: dst=0 src0=0 src1=1 src2=0
	v_bitop3_b16 v255, v255, v53 /*v309*/, 0x1f00 bitop3:0xec
	s_set_vgpr_msb 0x45                     ;  msbs: dst=1 src0=1 src1=1 src2=0
	v_bitop3_b16 v17 /*v273*/, v17 /*v273*/, v55 /*v311*/, 0x1f00 bitop3:0xec
	v_add_nc_u16 v51 /*v307*/, 0xf000, v51 /*v307*/
	s_set_vgpr_msb 0x44                     ;  msbs: dst=1 src0=0 src1=1 src2=0
	v_dual_ashrrev_i32 v25 /*v281*/, v251, v25 /*v281*/ :: v_dual_lshrrev_b32 v67 /*v323*/, v252, v26 /*v282*/
	v_lshlrev_b32_e32 v66 /*v322*/, 4, v66 /*v322*/
	v_lshlrev_b16 v61 /*v317*/, 8, v19 /*v275*/
	v_and_b32_e32 v19 /*v275*/, 0x1f00, v19 /*v275*/
	v_add_nc_u16 v59 /*v315*/, 0xf000, v59 /*v315*/
	s_wait_dscnt 0x0
	s_set_vgpr_msb 5                        ;  msbs: dst=0 src0=1 src1=1 src2=0
	v_max_num_f32_e32 v21, v27 /*v283*/, v27 /*v283*/
	s_set_vgpr_msb 64                       ;  msbs: dst=1 src0=0 src1=0 src2=0
	s_clause 0x1
	global_load_b32 v27 /*v283*/, v[34:35], off offset:2
	global_load_u16 v36 /*v292*/, v[34:35], off
	s_set_vgpr_msb 0x41                     ;  msbs: dst=1 src0=1 src1=0 src2=0
	global_load_b32 v37 /*v293*/, v[0:1] /*v[256:257]*/, off
	s_set_vgpr_msb 64                       ;  msbs: dst=1 src0=0 src1=0 src2=0
	s_clause 0x1
	global_load_b32 v38 /*v294*/, v[230:231], off offset:2
	global_load_u16 v39 /*v295*/, v[230:231], off
	s_set_vgpr_msb 0x41                     ;  msbs: dst=1 src0=1 src1=0 src2=0
	global_load_b32 v40 /*v296*/, v[2:3] /*v[258:259]*/, off
	s_set_vgpr_msb 0x44                     ;  msbs: dst=1 src0=0 src1=1 src2=0
	v_add_nc_u16 v60 /*v316*/, 0xf000, v60 /*v316*/
	s_set_vgpr_msb 0                        ;  msbs: dst=0 src0=0 src1=0 src2=0
	v_dual_max_num_f32 v229, v229, v21 :: v_dual_sub_f32 v21, v32, v228
	v_mul_f32_e32 v24, 0x3fb8aa3b, v20
	s_set_vgpr_msb 0x44                     ;  msbs: dst=1 src0=0 src1=1 src2=0
	v_add_nc_u16 v16 /*v272*/, 0xf000, v16 /*v272*/
	v_ashrrev_i16 v52 /*v308*/, 8, v58 /*v314*/
	s_set_vgpr_msb 1                        ;  msbs: dst=0 src0=1 src1=0 src2=0
	v_sub_f32_e32 v23, v6 /*v262*/, v229
	s_set_vgpr_msb 0                        ;  msbs: dst=0 src0=0 src1=0 src2=0
	v_sub_f32_e32 v22, v28, v229
	v_fma_f32 v28, 0x3fb8aa3b, v20, -v24
	v_rndne_f32_e32 v29, v24
	v_cmp_ngt_f32_e32 vcc_lo, 0xc2ce8ed0, v21
	s_wait_xcnt 0x7
	v_mul_f32_e32 v27, 0x3fb8aa3b, v23
	v_dual_mul_f32 v25, 0x3fb8aa3b, v21 :: v_dual_mul_f32 v26, 0x3fb8aa3b, v22
	s_set_vgpr_msb 0x45                     ;  msbs: dst=1 src0=1 src1=1 src2=0
	v_bitop3_b16 v14 /*v270*/, v14 /*v270*/, v54 /*v310*/, 0x1f00 bitop3:0xec
	v_bitop3_b16 v20 /*v276*/, v20 /*v276*/, v56 /*v312*/, 0x1f00 bitop3:0xec
	s_wait_xcnt 0x4
	s_set_vgpr_msb 0                        ;  msbs: dst=0 src0=0 src1=0 src2=0
	v_fma_f32 v34, 0x3fb8aa3b, v23, -v27
	v_fma_f32 v30, 0x3fb8aa3b, v21, -v25
	v_rndne_f32_e32 v31, v25
	v_rndne_f32_e32 v35, v27
	v_fmac_f32_e32 v28, 0x32a5705f, v20
	v_rndne_f32_e32 v33, v26
	s_delay_alu instid0(VALU_DEP_4) | instskip(NEXT) | instid1(VALU_DEP_4)
	v_dual_fmac_f32 v30, 0x32a5705f, v21 :: v_dual_sub_f32 v25, v25, v31
	v_sub_f32_e32 v27, v27, v35
	v_fmac_f32_e32 v34, 0x32a5705f, v23
	v_fma_f32 v32, 0x3fb8aa3b, v22, -v26
	v_bfe_i32 v37, v37, 0, 8
	v_dual_add_f32 v25, v25, v30 :: v_dual_sub_f32 v24, v24, v29
	s_delay_alu instid0(VALU_DEP_4) | instskip(SKIP_1) | instid1(VALU_DEP_3)
	v_dual_add_f32 v27, v27, v34 :: v_dual_sub_f32 v26, v26, v33
	v_cvt_i32_f32_e32 v30, v35
	v_exp_f32_e32 v25, v25
	s_delay_alu instid0(VALU_DEP_3)
	v_add_f32_e32 v24, v24, v28
	v_cvt_i32_f32_e32 v28, v31
	v_exp_f32_e32 v27, v27
	v_cvt_i32_f32_e32 v29, v29
	v_cvt_i32_f32_e32 v31, v33
	v_exp_f32_e32 v24, v24
	v_ldexp_f32 v25, v25, v28
	v_fmac_f32_e32 v32, 0x32a5705f, v22
	v_add_nc_u16 v255, 0xf000, v255
	v_ldexp_f32 v27, v27, v30
	s_set_vgpr_msb 0x44                     ;  msbs: dst=1 src0=0 src1=1 src2=0
	v_add_nc_u16 v17 /*v273*/, 0xf000, v17 /*v273*/
	s_set_vgpr_msb 0                        ;  msbs: dst=0 src0=0 src1=0 src2=0
	v_cndmask_b32_e32 v25, 0, v25, vcc_lo
	v_cmp_ngt_f32_e32 vcc_lo, 0xc2ce8ed0, v23
	v_add_f32_e32 v26, v26, v32
	v_ldexp_f32 v24, v24, v29
	s_set_vgpr_msb 0x44                     ;  msbs: dst=1 src0=0 src1=1 src2=0
	v_lshrrev_b32_e32 v56 /*v312*/, 8, v51 /*v307*/
	v_lshlrev_b32_e32 v67 /*v323*/, 12, v67 /*v323*/
	s_set_vgpr_msb 0                        ;  msbs: dst=0 src0=0 src1=0 src2=0
	v_cndmask_b32_e32 v27, 0, v27, vcc_lo
	v_cmp_nlt_f32_e32 vcc_lo, 0x42b17218, v21
	v_exp_f32_e32 v26, v26
	s_set_vgpr_msb 0x44                     ;  msbs: dst=1 src0=0 src1=1 src2=0
	v_dual_lshrrev_b32 v16 /*v272*/, 8, v16 /*v272*/ :: v_dual_bitop2_b32 v66 /*v322*/, 16, v66 /*v322*/ bitop3:0x40
	v_add_nc_u16 v19 /*v275*/, 0xf000, v19 /*v275*/
	s_set_vgpr_msb 0                        ;  msbs: dst=0 src0=0 src1=0 src2=0
	v_cndmask_b32_e32 v226, 0x7f800000, v25, vcc_lo
	v_cmp_nlt_f32_e32 vcc_lo, 0x42b17218, v23
	s_set_vgpr_msb 0x44                     ;  msbs: dst=1 src0=0 src1=1 src2=0
	v_ashrrev_i16 v53 /*v309*/, 8, v59 /*v315*/
	s_set_vgpr_msb 0                        ;  msbs: dst=0 src0=0 src1=0 src2=0
	v_ldexp_f32 v26, v26, v31
	s_set_vgpr_msb 0x44                     ;  msbs: dst=1 src0=0 src1=1 src2=0
	v_ashrrev_i16 v54 /*v310*/, 8, v60 /*v316*/
	s_set_vgpr_msb 0x41                     ;  msbs: dst=1 src0=1 src1=0 src2=0
	v_cvt_f16_i16_e64 v52 /*v308*/, v52 /*v308*/
	s_set_vgpr_msb 0                        ;  msbs: dst=0 src0=0 src1=0 src2=0
	v_cndmask_b32_e32 v227, 0x7f800000, v27, vcc_lo
	v_cmp_ngt_f32_e32 vcc_lo, 0xc2ce8ed0, v20
	s_set_vgpr_msb 0x41                     ;  msbs: dst=1 src0=1 src1=0 src2=0
	v_bfe_i32 v13 /*v269*/, v13 /*v269*/, 0, 8
	s_set_vgpr_msb 0x44                     ;  msbs: dst=1 src0=0 src1=1 src2=0
	v_add_nc_u16 v14 /*v270*/, 0xf000, v14 /*v270*/
	s_set_vgpr_msb 0x41                     ;  msbs: dst=1 src0=1 src1=0 src2=0
	v_bfe_i32 v51 /*v307*/, v51 /*v307*/, 0, 8
	s_set_vgpr_msb 0                        ;  msbs: dst=0 src0=0 src1=0 src2=0
	v_cvt_f16_f32_e64 v25, v227
	v_cndmask_b32_e32 v21, 0, v24, vcc_lo
	v_cmp_ngt_f32_e32 vcc_lo, 0xc2ce8ed0, v22
	v_cvt_f16_f32_e64 v24, v226
	ds_store_b16 v237, v24
	ds_store_b16 v237, v25 offset:256
	v_cndmask_b32_e32 v23, 0, v26, vcc_lo
	v_cmp_nlt_f32_e32 vcc_lo, 0x42b17218, v20
	s_wait_xcnt 0x0
	s_set_vgpr_msb 64                       ;  msbs: dst=1 src0=0 src1=0 src2=0
	ds_load_b128 v[0:3] /*v[256:259]*/, v246
	s_set_vgpr_msb 0x41                     ;  msbs: dst=1 src0=1 src1=0 src2=0
	s_clause 0x1
	global_load_b32 v41 /*v297*/, v[4:5] /*v[260:261]*/, off offset:2
	global_load_u16 v42 /*v298*/, v[4:5] /*v[260:261]*/, off
	s_wait_xcnt 0x0
	s_set_vgpr_msb 64                       ;  msbs: dst=1 src0=0 src1=0 src2=0
	ds_load_b128 v[4:7] /*v[260:263]*/, v246 offset:256
	s_set_vgpr_msb 0                        ;  msbs: dst=0 src0=0 src1=0 src2=0
	v_cvt_f16_i16_e32 v37, v37
	v_cndmask_b32_e32 v230, 0x7f800000, v21, vcc_lo
	v_cmp_nlt_f32_e32 vcc_lo, 0x42b17218, v22
	s_set_vgpr_msb 64                       ;  msbs: dst=1 src0=0 src1=0 src2=0
	v_lshrrev_b32_e32 v58 /*v314*/, 8, v255
	s_set_vgpr_msb 0x44                     ;  msbs: dst=1 src0=0 src1=1 src2=0
	v_lshrrev_b32_e32 v60 /*v316*/, 8, v17 /*v273*/
	s_set_vgpr_msb 0x41                     ;  msbs: dst=1 src0=1 src1=0 src2=0
	v_bfe_i32 v56 /*v312*/, v56 /*v312*/, 0, 8
	s_set_vgpr_msb 0                        ;  msbs: dst=0 src0=0 src1=0 src2=0
	v_cvt_f16_f32_e64 v20, v230
	v_cndmask_b32_e32 v231, 0x7f800000, v23, vcc_lo
	s_set_vgpr_msb 0x41                     ;  msbs: dst=1 src0=1 src1=0 src2=0
	global_load_b32 v43 /*v299*/, v[10:11] /*v[266:267]*/, off
	global_load_b32 v44 /*v300*/, v[8:9] /*v[264:265]*/, off offset:2
	s_set_vgpr_msb 0x44                     ;  msbs: dst=1 src0=0 src1=1 src2=0
	v_dual_lshrrev_b32 v19 /*v275*/, 8, v19 /*v275*/ :: v_dual_lshrrev_b32 v59 /*v315*/, 8, v14 /*v270*/
	s_set_vgpr_msb 0                        ;  msbs: dst=0 src0=0 src1=0 src2=0
	v_and_b32_e32 v20, 0xffff, v20
	v_cvt_f16_f32_e64 v21, v231
	s_set_vgpr_msb 0x41                     ;  msbs: dst=1 src0=1 src1=0 src2=0
	v_cvt_f16_i16_e64 v53 /*v309*/, v53 /*v309*/
	v_bfe_i32 v16 /*v272*/, v16 /*v272*/, 0, 8
	s_set_vgpr_msb 0                        ;  msbs: dst=0 src0=0 src1=0 src2=0
	v_bfe_i32 v255, v255, 0, 8
	s_wait_xcnt 0x1
	s_set_vgpr_msb 64                       ;  msbs: dst=1 src0=0 src1=0 src2=0
	v_mul_u32_u24_e32 v10 /*v266*/, 0x10001, v20
	s_set_vgpr_msb 0                        ;  msbs: dst=0 src0=0 src1=0 src2=0
	v_and_b32_e32 v21, 0xffff, v21
	s_set_vgpr_msb 0x41                     ;  msbs: dst=1 src0=1 src1=0 src2=0
	v_cvt_f16_i16_e64 v13 /*v269*/, v13 /*v269*/
	v_cvt_f16_i16_e64 v51 /*v307*/, v51 /*v307*/
	s_set_vgpr_msb 1                        ;  msbs: dst=0 src0=1 src1=0 src2=0
	v_pack_b32_f16 v37, v52 /*v308*/, v37
	s_set_vgpr_msb 0x41                     ;  msbs: dst=1 src0=1 src1=0 src2=0
	v_bfe_i32 v52 /*v308*/, v58 /*v314*/, 0, 8
	v_cvt_f16_i16_e64 v56 /*v312*/, v56 /*v312*/
	v_mul_u32_u24_e32 v11 /*v267*/, 0x10001, v21
	s_set_vgpr_msb 4                        ;  msbs: dst=0 src0=0 src1=1 src2=0
	v_pk_mul_f16 v16, v16, v10 /*v266*/
	v_pk_mul_f16 v17, v17, v10 /*v266*/
	s_wait_dscnt 0x1
	s_set_vgpr_msb 0x44                     ;  msbs: dst=1 src0=0 src1=1 src2=0
	v_lshrrev_b32_e32 v10 /*v266*/, 16, v0 /*v256*/
	v_and_b32_e32 v0 /*v256*/, 0xffff, v0 /*v256*/
	s_wait_dscnt 0x0
	v_dual_lshrrev_b32 v47 /*v303*/, 16, v4 /*v260*/ :: v_dual_lshrrev_b32 v48 /*v304*/, 16, v5 /*v261*/
	v_and_b32_e32 v4 /*v260*/, 0xffff, v4 /*v260*/
	v_mul_u32_u24_e32 v12 /*v268*/, 0x10001, v12 /*v268*/
	s_set_vgpr_msb 0x41                     ;  msbs: dst=1 src0=1 src1=0 src2=0
	v_cvt_f16_i16_e64 v54 /*v310*/, v54 /*v310*/
	v_bfe_i32 v14 /*v270*/, v14 /*v270*/, 0, 8
	v_cvt_f16_i16_e64 v16 /*v272*/, v16 /*v272*/
	s_set_vgpr_msb 0                        ;  msbs: dst=0 src0=0 src1=0 src2=0
	v_cvt_f16_i16_e64 v255, v255
	s_set_vgpr_msb 0x45                     ;  msbs: dst=1 src0=1 src1=1 src2=0
	v_pack_b32_f16 v13 /*v269*/, v53 /*v309*/, v13 /*v269*/
	v_bfe_i32 v53 /*v309*/, v59 /*v315*/, 0, 8
	v_cvt_f16_i16_e64 v52 /*v308*/, v52 /*v308*/
	v_pack_b32_f16 v51 /*v307*/, v51 /*v307*/, v56 /*v312*/
	s_set_vgpr_msb 4                        ;  msbs: dst=0 src0=0 src1=1 src2=0
	v_pk_mul_f16 v18, v18, v11 /*v267*/
	v_pk_mul_f16 v19, v19, v11 /*v267*/
	s_set_vgpr_msb 0x44                     ;  msbs: dst=1 src0=0 src1=1 src2=0
	v_mul_u32_u24_e32 v0 /*v256*/, 0x10001, v0 /*v256*/
	v_mul_u32_u24_e32 v4 /*v260*/, 0x10001, v4 /*v260*/
	;; [unrolled: 1-line block ×3, first 2 shown]
	s_set_vgpr_msb 0x45                     ;  msbs: dst=1 src0=1 src1=1 src2=0
	v_bfe_i32 v17 /*v273*/, v17 /*v273*/, 0, 8
	v_cvt_f16_i16_e64 v14 /*v270*/, v14 /*v270*/
	v_pack_b32_f16 v16 /*v272*/, v54 /*v310*/, v16 /*v272*/
	v_bfe_i32 v54 /*v310*/, v60 /*v316*/, 0, 8
	s_set_vgpr_msb 4                        ;  msbs: dst=0 src0=0 src1=1 src2=0
	v_pk_mul_f16 v37, v37, v12 /*v268*/
	s_set_vgpr_msb 0x41                     ;  msbs: dst=1 src0=1 src1=0 src2=0
	v_cvt_f16_i16_e64 v53 /*v309*/, v53 /*v309*/
	s_set_vgpr_msb 4                        ;  msbs: dst=0 src0=0 src1=1 src2=0
	v_pack_b32_f16 v255, v255, v52 /*v308*/
	s_set_vgpr_msb 0x45                     ;  msbs: dst=1 src0=1 src1=1 src2=0
	v_pk_mul_f16 v12 /*v268*/, v51 /*v307*/, v12 /*v268*/
	v_lshrrev_b32_e32 v11 /*v267*/, 16, v1 /*v257*/
	v_and_b32_e32 v1 /*v257*/, 0xffff, v1 /*v257*/
	v_and_b32_e32 v5 /*v261*/, 0xffff, v5 /*v261*/
	v_mul_u32_u24_e32 v10 /*v266*/, 0x10001, v10 /*v266*/
	v_mul_u32_u24_e32 v47 /*v303*/, 0x10001, v47 /*v303*/
	;; [unrolled: 1-line block ×3, first 2 shown]
	v_and_b32_e32 v25 /*v281*/, 0xf0f0f0f, v25 /*v281*/
	v_and_b32_e32 v67 /*v323*/, 0x1000, v67 /*v323*/
	v_add_nc_u16 v61 /*v317*/, 0xf000, v61 /*v317*/
	v_cvt_f16_i16_e64 v17 /*v273*/, v17 /*v273*/
	v_cvt_f16_i16_e64 v54 /*v310*/, v54 /*v310*/
	s_set_vgpr_msb 4                        ;  msbs: dst=0 src0=0 src1=1 src2=0
	v_pk_fma_f16 v17, v37, v0 /*v256*/, v17
	v_pk_fma_f16 v19, v37, v4 /*v260*/, v19
	s_set_vgpr_msb 5                        ;  msbs: dst=0 src0=1 src1=1 src2=0
	v_pack_b32_f16 v37, v14 /*v270*/, v53 /*v309*/
	s_set_vgpr_msb 4                        ;  msbs: dst=0 src0=0 src1=1 src2=0
	v_pk_mul_f16 v255, v255, v15 /*v271*/
	s_set_vgpr_msb 5                        ;  msbs: dst=0 src0=1 src1=1 src2=0
	v_pk_fma_f16 v16, v12 /*v268*/, v0 /*v256*/, v16
	v_pk_fma_f16 v18, v12 /*v268*/, v4 /*v260*/, v18
	s_set_vgpr_msb 0x55                     ;  msbs: dst=1 src0=1 src1=1 src2=1
	v_mul_u32_u24_e32 v1 /*v257*/, 0x10001, v1 /*v257*/
	v_mul_u32_u24_e32 v5 /*v261*/, 0x10001, v5 /*v261*/
	;; [unrolled: 1-line block ×3, first 2 shown]
	v_or3_b32 v23 /*v279*/, v66 /*v322*/, v25 /*v281*/, v67 /*v323*/
	v_ashrrev_i16 v55 /*v311*/, 8, v61 /*v317*/
	v_bfe_i32 v19 /*v275*/, v19 /*v275*/, 0, 8
	v_add_nc_u16 v20 /*v276*/, 0xf000, v20 /*v276*/
	v_pk_mul_f16 v13 /*v269*/, v13 /*v269*/, v15 /*v271*/
	v_pack_b32_f16 v14 /*v270*/, v17 /*v273*/, v54 /*v310*/
	s_set_vgpr_msb 4                        ;  msbs: dst=0 src0=0 src1=1 src2=0
	v_pk_mul_f16 v37, v37, v18 /*v274*/
	v_pk_fma_f16 v16, v255, v10 /*v266*/, v16
	v_pk_fma_f16 v18, v255, v47 /*v303*/, v18
	s_set_vgpr_msb 0x44                     ;  msbs: dst=1 src0=0 src1=1 src2=0
	v_mul_u32_u24_e32 v11 /*v267*/, 0x10001, v11 /*v267*/
	v_mul_u32_u24_e32 v48 /*v304*/, 0x10001, v48 /*v304*/
	v_lshlrev_b16 v57 /*v313*/, 8, v23 /*v279*/
	s_set_vgpr_msb 0x41                     ;  msbs: dst=1 src0=1 src1=0 src2=0
	v_cvt_f16_i16_e64 v55 /*v311*/, v55 /*v311*/
	v_cvt_f16_i16_e64 v19 /*v275*/, v19 /*v275*/
	s_set_vgpr_msb 0x44                     ;  msbs: dst=1 src0=0 src1=1 src2=0
	v_dual_lshrrev_b32 v61 /*v317*/, 8, v20 /*v276*/ :: v_dual_lshrrev_b32 v0 /*v256*/, v253, v26 /*v282*/
	s_set_vgpr_msb 0x45                     ;  msbs: dst=1 src0=1 src1=1 src2=0
	v_pk_mul_f16 v16 /*v272*/, v16 /*v272*/, v18 /*v274*/
	s_set_vgpr_msb 5                        ;  msbs: dst=0 src0=1 src1=1 src2=0
	v_pk_fma_f16 v17, v13 /*v269*/, v10 /*v266*/, v17
	v_pk_fma_f16 v19, v13 /*v269*/, v47 /*v303*/, v19
	v_pk_mul_f16 v255, v14 /*v270*/, v21 /*v277*/
	s_set_vgpr_msb 4                        ;  msbs: dst=0 src0=0 src1=1 src2=0
	v_pk_fma_f16 v16, v37, v1 /*v257*/, v16
	v_pk_fma_f16 v18, v37, v5 /*v261*/, v18
	s_set_vgpr_msb 0x44                     ;  msbs: dst=1 src0=0 src1=1 src2=0
	v_add_nc_u16 v62 /*v318*/, 0xf000, v62 /*v318*/
	s_set_vgpr_msb 0x45                     ;  msbs: dst=1 src0=1 src1=1 src2=0
	v_bfe_i32 v20 /*v276*/, v20 /*v276*/, 0, 8
	v_pack_b32_f16 v19 /*v275*/, v55 /*v311*/, v19 /*v275*/
	v_bfe_i32 v55 /*v311*/, v61 /*v317*/, 0, 8
	s_set_vgpr_msb 5                        ;  msbs: dst=0 src0=1 src1=1 src2=0
	v_pk_fma_f16 v17, v16 /*v272*/, v1 /*v257*/, v17
	v_pk_fma_f16 v19, v16 /*v272*/, v5 /*v261*/, v19
	s_set_vgpr_msb 4                        ;  msbs: dst=0 src0=0 src1=1 src2=0
	v_pk_fma_f16 v16, v255, v11 /*v267*/, v16
	v_pk_fma_f16 v18, v255, v48 /*v304*/, v18
	v_lshrrev_b32_e32 v255, 8, v22 /*v278*/
	s_set_vgpr_msb 0x44                     ;  msbs: dst=1 src0=0 src1=1 src2=0
	v_dual_lshrrev_b32 v1 /*v257*/, v254, v26 /*v282*/ :: v_dual_lshlrev_b32 v0 /*v256*/, 20, v0 /*v256*/
	v_add_nc_u16 v5 /*v261*/, 0xf000, v57 /*v313*/
	s_set_vgpr_msb 0x41                     ;  msbs: dst=1 src0=1 src1=0 src2=0
	v_cvt_f16_i16_e64 v20 /*v276*/, v20 /*v276*/
	v_cvt_f16_i16_e64 v55 /*v311*/, v55 /*v311*/
	s_set_vgpr_msb 0x44                     ;  msbs: dst=1 src0=0 src1=1 src2=0
	v_ashrrev_i16 v4 /*v260*/, 8, v62 /*v318*/
	s_set_vgpr_msb 0                        ;  msbs: dst=0 src0=0 src1=0 src2=0
	v_bfe_i32 v255, v255, 0, 8
	s_wait_loadcnt 0xf
	s_set_vgpr_msb 0x44                     ;  msbs: dst=1 src0=0 src1=1 src2=0
	v_dual_lshlrev_b32 v1 /*v257*/, 28, v1 /*v257*/ :: v_dual_lshrrev_b32 v12 /*v268*/, v247, v30 /*v286*/
	v_lshrrev_b16 v5 /*v261*/, 8, v5 /*v261*/
	v_dual_lshrrev_b32 v45 /*v301*/, 16, v2 /*v258*/ :: v_dual_lshrrev_b32 v46 /*v302*/, 16, v3 /*v259*/
	v_dual_lshrrev_b32 v49 /*v305*/, 16, v6 /*v262*/ :: v_dual_lshrrev_b32 v50 /*v306*/, 16, v7 /*v263*/
	v_and_b32_e32 v2 /*v258*/, 0xffff, v2 /*v258*/
	v_mul_u32_u24_e32 v24 /*v280*/, 0x10001, v24 /*v280*/
	s_set_vgpr_msb 5                        ;  msbs: dst=0 src0=1 src1=1 src2=0
	v_pack_b32_f16 v37, v20 /*v276*/, v55 /*v311*/
	s_set_vgpr_msb 0x41                     ;  msbs: dst=1 src0=1 src1=0 src2=0
	v_cvt_f16_i16_e64 v4 /*v260*/, v4 /*v260*/
	s_set_vgpr_msb 0                        ;  msbs: dst=0 src0=0 src1=0 src2=0
	v_cvt_f16_i16_e64 v255, v255
	s_set_vgpr_msb 0x45                     ;  msbs: dst=1 src0=1 src1=1 src2=0
	v_and_b32_e32 v0 /*v256*/, 0x100000, v0 /*v256*/
	v_and_b32_e32 v1 /*v257*/, 0x10000000, v1 /*v257*/
	;; [unrolled: 1-line block ×3, first 2 shown]
	v_bitop3_b16 v5 /*v261*/, v23 /*v279*/, v5 /*v261*/, 0x1f00 bitop3:0xec
	v_mul_u32_u24_e32 v2 /*v258*/, 0x10001, v2 /*v258*/
	v_pk_mul_f16 v19 /*v275*/, v19 /*v275*/, v21 /*v277*/
	s_set_vgpr_msb 1                        ;  msbs: dst=0 src0=1 src1=0 src2=0
	v_pack_b32_f16 v255, v4 /*v260*/, v255
	s_set_vgpr_msb 4                        ;  msbs: dst=0 src0=0 src1=1 src2=0
	v_pk_mul_f16 v37, v37, v24 /*v280*/
	s_set_vgpr_msb 0x55                     ;  msbs: dst=1 src0=1 src1=1 src2=1
	v_or3_b32 v0 /*v256*/, v25 /*v281*/, v0 /*v256*/, v1 /*v257*/
	v_mul_u32_u24_e32 v1 /*v257*/, 0x10001, v6 /*v262*/
	v_add_nc_u16 v4 /*v260*/, 0xf000, v5 /*v261*/
	s_set_vgpr_msb 5                        ;  msbs: dst=0 src0=1 src1=1 src2=0
	v_pk_fma_f16 v17, v19 /*v275*/, v11 /*v267*/, v17
	v_pk_fma_f16 v19, v19 /*v275*/, v48 /*v304*/, v19
	s_set_vgpr_msb 4                        ;  msbs: dst=0 src0=0 src1=1 src2=0
	v_pk_mul_f16 v255, v255, v24 /*v280*/
	s_set_vgpr_msb 0x44                     ;  msbs: dst=1 src0=0 src1=1 src2=0
	v_pk_fma_f16 v5 /*v261*/, v37, v2 /*v258*/, v16
	s_set_vgpr_msb 4                        ;  msbs: dst=0 src0=0 src1=1 src2=0
	v_lshrrev_b32_e32 v16, 16, v0 /*v256*/
	v_pk_fma_f16 v37, v37, v1 /*v257*/, v18
	v_lshrrev_b32_e32 v18, 8, v4 /*v260*/
	s_set_vgpr_msb 0x44                     ;  msbs: dst=1 src0=0 src1=1 src2=0
	v_pk_fma_f16 v0 /*v256*/, v255, v2 /*v258*/, v17
	s_set_vgpr_msb 4                        ;  msbs: dst=0 src0=0 src1=1 src2=0
	v_pk_fma_f16 v255, v255, v1 /*v257*/, v19
	s_set_vgpr_msb 0                        ;  msbs: dst=0 src0=0 src1=0 src2=0
	v_lshlrev_b16 v19, 8, v16
	s_set_vgpr_msb 0x41                     ;  msbs: dst=1 src0=1 src1=0 src2=0
	v_bfe_i32 v1 /*v257*/, v4 /*v260*/, 0, 8
	s_set_vgpr_msb 0                        ;  msbs: dst=0 src0=0 src1=0 src2=0
	v_bfe_i32 v18, v18, 0, 8
	ds_load_b128 v[32:35], v246 offset:16
	ds_load_b128 v[24:27], v246 offset:32
	;; [unrolled: 1-line block ×4, first 2 shown]
	s_set_vgpr_msb 0x41                     ;  msbs: dst=1 src0=1 src1=0 src2=0
	v_add_nc_u16 v4 /*v260*/, 0xf000, v19
	v_cvt_f16_i16_e64 v1 /*v257*/, v1 /*v257*/
	s_set_vgpr_msb 64                       ;  msbs: dst=1 src0=0 src1=0 src2=0
	v_cvt_f16_i16_e64 v6 /*v262*/, v18
	s_set_vgpr_msb 0                        ;  msbs: dst=0 src0=0 src1=0 src2=0
	v_add_nc_u64_e32 v[18:19], s[4:5], v[182:183]
	s_set_vgpr_msb 64                       ;  msbs: dst=1 src0=0 src1=0 src2=0
	v_and_b32_e32 v2 /*v258*/, 0x1f00, v16
	s_wait_loadcnt 0xc
	s_set_vgpr_msb 0x44                     ;  msbs: dst=1 src0=0 src1=1 src2=0
	v_dual_lshrrev_b32 v14 /*v270*/, v254, v30 /*v286*/ :: v_dual_lshrrev_b32 v15 /*v271*/, v252, v33 /*v289*/
	s_set_vgpr_msb 0x45                     ;  msbs: dst=1 src0=1 src1=1 src2=0
	v_pack_b32_f16 v1 /*v257*/, v1 /*v257*/, v6 /*v262*/
	s_set_vgpr_msb 0x44                     ;  msbs: dst=1 src0=0 src1=1 src2=0
	v_lshrrev_b32_e32 v6 /*v262*/, v252, v30 /*v286*/
	v_add_nc_u16 v2 /*v258*/, 0xf000, v2 /*v258*/
	global_load_b32 v13 /*v269*/, v[18:19], off
	s_wait_xcnt 0x0
	s_set_vgpr_msb 4                        ;  msbs: dst=0 src0=0 src1=1 src2=0
	v_dual_ashrrev_i32 v18, v251, v29 /*v285*/ :: v_dual_lshlrev_b32 v19, 4, v12 /*v268*/
	s_set_vgpr_msb 0x44                     ;  msbs: dst=1 src0=0 src1=1 src2=0
	v_lshrrev_b32_e32 v12 /*v268*/, v253, v30 /*v286*/
	v_lshlrev_b32_e32 v6 /*v262*/, 12, v6 /*v262*/
	v_lshrrev_b32_e32 v2 /*v258*/, 8, v2 /*v258*/
	s_set_vgpr_msb 0                        ;  msbs: dst=0 src0=0 src1=0 src2=0
	v_and_b32_e32 v18, 0xf0f0f0f, v18
	v_and_b32_e32 v19, 16, v19
	s_set_vgpr_msb 0x44                     ;  msbs: dst=1 src0=0 src1=1 src2=0
	v_ashrrev_i16 v4 /*v260*/, 8, v4 /*v260*/
	v_and_b32_e32 v6 /*v262*/, 0x1000, v6 /*v262*/
	s_set_vgpr_msb 0x41                     ;  msbs: dst=1 src0=1 src1=0 src2=0
	global_load_u16 v8 /*v264*/, v[8:9] /*v[264:265]*/, off
	s_wait_xcnt 0x0
	s_set_vgpr_msb 0x44                     ;  msbs: dst=1 src0=0 src1=1 src2=0
	v_lshlrev_b32_e32 v9 /*v265*/, 20, v12 /*v268*/
	s_set_vgpr_msb 0x41                     ;  msbs: dst=1 src0=1 src1=0 src2=0
	v_bfe_i32 v2 /*v258*/, v2 /*v258*/, 0, 8
	v_cvt_f16_i16_e64 v4 /*v260*/, v4 /*v260*/
	s_set_vgpr_msb 16                       ;  msbs: dst=0 src0=0 src1=0 src2=1
	v_or3_b32 v19, v19, v18, v6 /*v262*/
	s_set_vgpr_msb 0x44                     ;  msbs: dst=1 src0=0 src1=1 src2=0
	v_lshlrev_b32_e32 v6 /*v262*/, 28, v14 /*v270*/
	s_set_vgpr_msb 0                        ;  msbs: dst=0 src0=0 src1=0 src2=0
	v_add_nc_u64_e32 v[16:17], s[4:5], v[184:185]
	s_set_vgpr_msb 0x41                     ;  msbs: dst=1 src0=1 src1=0 src2=0
	v_cvt_f16_i16_e64 v2 /*v258*/, v2 /*v258*/
	s_set_vgpr_msb 0x44                     ;  msbs: dst=1 src0=0 src1=1 src2=0
	v_and_b32_e32 v9 /*v265*/, 0x100000, v9 /*v265*/
	s_set_vgpr_msb 64                       ;  msbs: dst=1 src0=0 src1=0 src2=0
	v_lshlrev_b16 v12 /*v268*/, 8, v19
	s_set_vgpr_msb 0x45                     ;  msbs: dst=1 src0=1 src1=1 src2=0
	v_and_b32_e32 v6 /*v262*/, 0x10000000, v6 /*v262*/
	v_mul_u32_u24_e32 v10 /*v266*/, 0x10001, v28 /*v284*/
	v_pack_b32_f16 v2 /*v258*/, v4 /*v260*/, v2 /*v258*/
	s_set_vgpr_msb 0x44                     ;  msbs: dst=1 src0=0 src1=1 src2=0
	global_load_b32 v11 /*v267*/, v[16:17], off offset:2
	v_add_nc_u16 v4 /*v260*/, 0xf000, v12 /*v268*/
	s_set_vgpr_msb 20                       ;  msbs: dst=0 src0=0 src1=1 src2=1
	v_or3_b32 v18, v18, v9 /*v265*/, v6 /*v262*/
	s_set_vgpr_msb 0x45                     ;  msbs: dst=1 src0=1 src1=1 src2=0
	v_mul_u32_u24_e32 v14 /*v270*/, 0x10001, v45 /*v301*/
	v_pk_mul_f16 v1 /*v257*/, v1 /*v257*/, v10 /*v266*/
	v_mul_u32_u24_e32 v6 /*v262*/, 0x10001, v49 /*v305*/
	v_lshrrev_b16 v4 /*v260*/, 8, v4 /*v260*/
	v_pk_mul_f16 v2 /*v258*/, v2 /*v258*/, v10 /*v266*/
	s_set_vgpr_msb 0                        ;  msbs: dst=0 src0=0 src1=0 src2=0
	v_lshrrev_b32_e32 v18, 16, v18
	s_set_vgpr_msb 0x55                     ;  msbs: dst=1 src0=1 src1=1 src2=1
	v_pk_fma_f16 v5 /*v261*/, v1 /*v257*/, v14 /*v270*/, v5 /*v261*/
	s_set_vgpr_msb 5                        ;  msbs: dst=0 src0=1 src1=1 src2=0
	v_pk_fma_f16 v37, v1 /*v257*/, v6 /*v262*/, v37
	s_set_vgpr_msb 4                        ;  msbs: dst=0 src0=0 src1=1 src2=0
	v_bitop3_b16 v19, v19, v4 /*v260*/, 0x1f00 bitop3:0xec
	s_set_vgpr_msb 0x55                     ;  msbs: dst=1 src0=1 src1=1 src2=1
	v_pk_fma_f16 v9 /*v265*/, v2 /*v258*/, v14 /*v270*/, v0 /*v256*/
	v_and_b32_e32 v0 /*v256*/, 0xffff, v3 /*v259*/
	s_set_vgpr_msb 64                       ;  msbs: dst=1 src0=0 src1=0 src2=0
	v_lshlrev_b16 v1 /*v257*/, 8, v18
	s_set_vgpr_msb 0x44                     ;  msbs: dst=1 src0=0 src1=1 src2=0
	v_lshrrev_b32_e32 v14 /*v270*/, v247, v33 /*v289*/
	s_set_vgpr_msb 64                       ;  msbs: dst=1 src0=0 src1=0 src2=0
	v_add_nc_u16 v3 /*v259*/, 0xf000, v19
	s_set_vgpr_msb 0                        ;  msbs: dst=0 src0=0 src1=0 src2=0
	v_and_b32_e32 v18, 0x1f00, v18
	s_set_vgpr_msb 5                        ;  msbs: dst=0 src0=1 src1=1 src2=0
	v_pk_fma_f16 v255, v2 /*v258*/, v6 /*v262*/, v255
	s_set_vgpr_msb 0x44                     ;  msbs: dst=1 src0=0 src1=1 src2=0
	v_mul_u32_u24_e32 v2 /*v258*/, 0x10001, v0 /*v256*/
	v_add_nc_u16 v4 /*v260*/, 0xf000, v1 /*v257*/
	s_set_vgpr_msb 64                       ;  msbs: dst=1 src0=0 src1=0 src2=0
	v_add_nc_u64_e32 v[0:1] /*v[256:257]*/, s[4:5], v[178:179]
	s_set_vgpr_msb 0x44                     ;  msbs: dst=1 src0=0 src1=1 src2=0
	v_dual_lshrrev_b32 v12 /*v268*/, 8, v3 /*v259*/ :: v_dual_ashrrev_i32 v16 /*v272*/, v251, v32 /*v288*/
	v_dual_lshlrev_b32 v14 /*v270*/, 4, v14 /*v270*/ :: v_dual_lshlrev_b32 v15 /*v271*/, 12, v15 /*v271*/
	s_set_vgpr_msb 64                       ;  msbs: dst=1 src0=0 src1=0 src2=0
	v_add_nc_u16 v6 /*v262*/, 0xf000, v18
	s_set_vgpr_msb 0                        ;  msbs: dst=0 src0=0 src1=0 src2=0
	v_add_nc_u64_e32 v[18:19], s[4:5], v[180:181]
	s_set_vgpr_msb 0x41                     ;  msbs: dst=1 src0=1 src1=0 src2=0
	global_load_b32 v18 /*v274*/, v[0:1] /*v[256:257]*/, off
	s_wait_xcnt 0x0
	v_bfe_i32 v0 /*v256*/, v12 /*v268*/, 0, 8
	s_set_vgpr_msb 0x44                     ;  msbs: dst=1 src0=0 src1=1 src2=0
	v_and_b32_e32 v1 /*v257*/, 0xf0f0f0f, v16 /*v272*/
	v_and_b32_e32 v12 /*v268*/, 16, v14 /*v270*/
	;; [unrolled: 1-line block ×3, first 2 shown]
	v_dual_lshrrev_b32 v15 /*v271*/, v253, v33 /*v289*/ :: v_dual_lshrrev_b32 v16 /*v272*/, v254, v33 /*v289*/
	global_load_b32 v17 /*v273*/, v[18:19], off offset:2
	s_set_vgpr_msb 0x55                     ;  msbs: dst=1 src0=1 src1=1 src2=1
	v_bfe_i32 v3 /*v259*/, v3 /*v259*/, 0, 8
	v_or3_b32 v12 /*v268*/, v12 /*v268*/, v1 /*v257*/, v14 /*v270*/
	s_set_vgpr_msb 64                       ;  msbs: dst=1 src0=0 src1=0 src2=0
	global_load_u16 v14 /*v270*/, v[16:17], off
	s_wait_xcnt 0x0
	s_set_vgpr_msb 4                        ;  msbs: dst=0 src0=0 src1=1 src2=0
	v_dual_lshlrev_b32 v16, 20, v15 /*v271*/ :: v_dual_lshlrev_b32 v17, 28, v16 /*v272*/
	s_set_vgpr_msb 0x41                     ;  msbs: dst=1 src0=1 src1=0 src2=0
	v_cvt_f16_i16_e64 v3 /*v259*/, v3 /*v259*/
	s_set_vgpr_msb 0x44                     ;  msbs: dst=1 src0=0 src1=1 src2=0
	v_lshlrev_b16 v15 /*v271*/, 8, v12 /*v268*/
	s_set_vgpr_msb 0x41                     ;  msbs: dst=1 src0=1 src1=0 src2=0
	v_cvt_f16_i16_e64 v0 /*v256*/, v0 /*v256*/
	s_set_vgpr_msb 0                        ;  msbs: dst=0 src0=0 src1=0 src2=0
	v_and_b32_e32 v16, 0x100000, v16
	v_and_b32_e32 v17, 0x10000000, v17
	s_set_vgpr_msb 0x44                     ;  msbs: dst=1 src0=0 src1=1 src2=0
	v_ashrrev_i16 v4 /*v260*/, 8, v4 /*v260*/
	v_add_nc_u16 v15 /*v271*/, 0xf000, v15 /*v271*/
	v_mul_u32_u24_e32 v10 /*v266*/, 0x10001, v31 /*v287*/
	s_wait_dscnt 0x0
	s_set_vgpr_msb 64                       ;  msbs: dst=1 src0=0 src1=0 src2=0
	v_lshrrev_b32_e32 v19 /*v275*/, 16, v28
	s_set_vgpr_msb 1                        ;  msbs: dst=0 src0=1 src1=0 src2=0
	v_or3_b32 v16, v1 /*v257*/, v16, v17
	s_set_vgpr_msb 5                        ;  msbs: dst=0 src0=1 src1=1 src2=0
	v_pack_b32_f16 v17, v3 /*v259*/, v0 /*v256*/
	s_set_vgpr_msb 0x44                     ;  msbs: dst=1 src0=0 src1=1 src2=0
	v_lshrrev_b16 v0 /*v256*/, 8, v15 /*v271*/
	s_set_vgpr_msb 0x41                     ;  msbs: dst=1 src0=1 src1=0 src2=0
	v_cvt_f16_i16_e64 v4 /*v260*/, v4 /*v260*/
	s_set_vgpr_msb 0x44                     ;  msbs: dst=1 src0=0 src1=1 src2=0
	v_and_b32_e32 v1 /*v257*/, 0xffff, v7 /*v263*/
	s_set_vgpr_msb 0                        ;  msbs: dst=0 src0=0 src1=0 src2=0
	v_lshrrev_b32_e32 v16, 16, v16
	s_set_vgpr_msb 4                        ;  msbs: dst=0 src0=0 src1=1 src2=0
	v_pk_mul_f16 v17, v17, v10 /*v266*/
	s_set_vgpr_msb 0x45                     ;  msbs: dst=1 src0=1 src1=1 src2=0
	v_bitop3_b16 v0 /*v256*/, v12 /*v268*/, v0 /*v256*/, 0x1f00 bitop3:0xec
	v_mul_u32_u24_e32 v7 /*v263*/, 0x10001, v46 /*v302*/
	v_mul_u32_u24_e32 v1 /*v257*/, 0x10001, v1 /*v257*/
	s_wait_loadcnt 0xf
	s_set_vgpr_msb 0x54                     ;  msbs: dst=1 src0=0 src1=1 src2=1
	v_lshrrev_b32_e32 v12 /*v268*/, v254, v27 /*v283*/
	v_pk_fma_f16 v5 /*v261*/, v17, v2 /*v258*/, v5 /*v261*/
	v_add_nc_u16 v0 /*v256*/, 0xf000, v0 /*v256*/
	v_lshrrev_b32_e32 v6 /*v262*/, 8, v6 /*v262*/
	s_set_vgpr_msb 4                        ;  msbs: dst=0 src0=0 src1=1 src2=0
	v_pk_fma_f16 v37, v17, v1 /*v257*/, v37
	s_wait_loadcnt 0xc
	s_set_vgpr_msb 0x44                     ;  msbs: dst=1 src0=0 src1=1 src2=0
	v_lshrrev_b32_e32 v25 /*v281*/, v252, v38 /*v294*/
	s_set_vgpr_msb 64                       ;  msbs: dst=1 src0=0 src1=0 src2=0
	v_lshrrev_b32_e32 v15 /*v271*/, 16, v35
	s_set_vgpr_msb 0                        ;  msbs: dst=0 src0=0 src1=0 src2=0
	v_and_b32_e32 v28, 0xffff, v28
	s_set_vgpr_msb 0x41                     ;  msbs: dst=1 src0=1 src1=0 src2=0
	v_bfe_i32 v6 /*v262*/, v6 /*v262*/, 0, 8
	v_dual_lshrrev_b32 v21 /*v277*/, 16, v29 :: v_dual_lshrrev_b32 v23 /*v279*/, 16, v30
	s_set_vgpr_msb 0                        ;  msbs: dst=0 src0=0 src1=0 src2=0
	v_and_b32_e32 v29, 0xffff, v29
	v_mul_u32_u24_e32 v28, 0x10001, v28
	s_set_vgpr_msb 0x41                     ;  msbs: dst=1 src0=1 src1=0 src2=0
	v_cvt_f16_i16_e64 v6 /*v262*/, v6 /*v262*/
	s_set_vgpr_msb 0                        ;  msbs: dst=0 src0=0 src1=0 src2=0
	v_and_b32_e32 v30, 0xffff, v30
	v_add_nc_u64_e32 v[178:179], s[22:23], v[178:179]
	v_mul_u32_u24_e32 v29, 0x10001, v29
	v_add_nc_u64_e32 v[180:181], s[22:23], v[180:181]
	s_set_vgpr_msb 0x45                     ;  msbs: dst=1 src0=1 src1=1 src2=0
	v_pack_b32_f16 v3 /*v259*/, v4 /*v260*/, v6 /*v262*/
	s_set_vgpr_msb 64                       ;  msbs: dst=1 src0=0 src1=0 src2=0
	v_and_b32_e32 v4 /*v260*/, 0x1f00, v16
	s_set_vgpr_msb 0                        ;  msbs: dst=0 src0=0 src1=0 src2=0
	v_lshlrev_b16 v16, 8, v16
	s_set_vgpr_msb 64                       ;  msbs: dst=1 src0=0 src1=0 src2=0
	global_load_u16 v6 /*v262*/, v[18:19], off
	s_wait_xcnt 0x0
	s_set_vgpr_msb 0                        ;  msbs: dst=0 src0=0 src1=0 src2=0
	v_add_nc_u64_e32 v[18:19], s[4:5], v[174:175]
	s_set_vgpr_msb 0x45                     ;  msbs: dst=1 src0=1 src1=1 src2=0
	v_pk_mul_f16 v3 /*v259*/, v3 /*v259*/, v10 /*v266*/
	s_set_vgpr_msb 4                        ;  msbs: dst=0 src0=0 src1=1 src2=0
	v_add_nc_u16 v17, 0xf000, v4 /*v260*/
	s_set_vgpr_msb 0x44                     ;  msbs: dst=1 src0=0 src1=1 src2=0
	v_lshrrev_b32_e32 v4 /*v260*/, 8, v0 /*v256*/
	s_set_vgpr_msb 0                        ;  msbs: dst=0 src0=0 src1=0 src2=0
	v_add_nc_u16 v16, 0xf000, v16
	s_set_vgpr_msb 0x55                     ;  msbs: dst=1 src0=1 src1=1 src2=1
	v_bfe_i32 v0 /*v256*/, v0 /*v256*/, 0, 8
	v_pk_fma_f16 v2 /*v258*/, v3 /*v259*/, v2 /*v258*/, v9 /*v265*/
	s_set_vgpr_msb 0                        ;  msbs: dst=0 src0=0 src1=0 src2=0
	v_lshrrev_b32_e32 v17, 8, v17
	s_set_vgpr_msb 5                        ;  msbs: dst=0 src0=1 src1=1 src2=0
	v_pk_fma_f16 v255, v3 /*v259*/, v1 /*v257*/, v255
	s_set_vgpr_msb 0x41                     ;  msbs: dst=1 src0=1 src1=0 src2=0
	v_bfe_i32 v1 /*v257*/, v4 /*v260*/, 0, 8
	v_ashrrev_i16 v3 /*v259*/, 8, v16
	v_cvt_f16_i16_e64 v0 /*v256*/, v0 /*v256*/
	s_set_vgpr_msb 64                       ;  msbs: dst=1 src0=0 src1=0 src2=0
	v_bfe_i32 v4 /*v260*/, v17, 0, 8
	s_set_vgpr_msb 0                        ;  msbs: dst=0 src0=0 src1=0 src2=0
	v_add_nc_u64_e32 v[16:17], s[4:5], v[176:177]
	s_set_vgpr_msb 0x41                     ;  msbs: dst=1 src0=1 src1=0 src2=0
	v_cvt_f16_i16_e64 v1 /*v257*/, v1 /*v257*/
	v_cvt_f16_i16_e64 v3 /*v259*/, v3 /*v259*/
	s_set_vgpr_msb 0x44                     ;  msbs: dst=1 src0=0 src1=1 src2=0
	v_mul_u32_u24_e32 v10 /*v266*/, 0x10001, v34 /*v290*/
	s_set_vgpr_msb 0x41                     ;  msbs: dst=1 src0=1 src1=0 src2=0
	v_cvt_f16_i16_e64 v4 /*v260*/, v4 /*v260*/
	s_set_vgpr_msb 0                        ;  msbs: dst=0 src0=0 src1=0 src2=0
	v_mul_u32_u24_e32 v30, 0x10001, v30
	s_set_vgpr_msb 0x45                     ;  msbs: dst=1 src0=1 src1=1 src2=0
	v_pack_b32_f16 v0 /*v256*/, v0 /*v256*/, v1 /*v257*/
	s_set_vgpr_msb 64                       ;  msbs: dst=1 src0=0 src1=0 src2=0
	s_clause 0x1
	global_load_b32 v9 /*v265*/, v[16:17], off offset:2
	global_load_u16 v28 /*v284*/, v[16:17], off
	s_set_vgpr_msb 0x45                     ;  msbs: dst=1 src0=1 src1=1 src2=0
	v_pack_b32_f16 v1 /*v257*/, v3 /*v259*/, v4 /*v260*/
	s_set_vgpr_msb 64                       ;  msbs: dst=1 src0=0 src1=0 src2=0
	global_load_b32 v3 /*v259*/, v[18:19], off
	s_wait_xcnt 0x0
	s_set_vgpr_msb 4                        ;  msbs: dst=0 src0=0 src1=1 src2=0
	v_mul_u32_u24_e32 v18, 0x10001, v50 /*v306*/
	v_lshrrev_b32_e32 v19, v247, v27 /*v283*/
	s_set_vgpr_msb 0x44                     ;  msbs: dst=1 src0=0 src1=1 src2=0
	v_lshrrev_b32_e32 v4 /*v260*/, v252, v27 /*v283*/
	s_set_vgpr_msb 0x45                     ;  msbs: dst=1 src0=1 src1=1 src2=0
	v_pk_mul_f16 v0 /*v256*/, v0 /*v256*/, v10 /*v266*/
	v_pk_mul_f16 v1 /*v257*/, v1 /*v257*/, v10 /*v266*/
	s_set_vgpr_msb 0x44                     ;  msbs: dst=1 src0=0 src1=1 src2=0
	v_ashrrev_i32_e32 v10 /*v266*/, v251, v35 /*v291*/
	s_set_vgpr_msb 0                        ;  msbs: dst=0 src0=0 src1=0 src2=0
	v_lshlrev_b32_e32 v19, 4, v19
	s_set_vgpr_msb 4                        ;  msbs: dst=0 src0=0 src1=1 src2=0
	v_lshlrev_b32_e32 v16, 12, v25 /*v281*/
	s_set_vgpr_msb 0x55                     ;  msbs: dst=1 src0=1 src1=1 src2=1
	v_pk_fma_f16 v5 /*v261*/, v0 /*v256*/, v7 /*v263*/, v5 /*v261*/
	s_set_vgpr_msb 1                        ;  msbs: dst=0 src0=1 src1=0 src2=0
	v_pk_fma_f16 v37, v0 /*v256*/, v18, v37
	s_set_vgpr_msb 0x44                     ;  msbs: dst=1 src0=0 src1=1 src2=0
	v_and_b32_e32 v0 /*v256*/, 0xf0f0f0f, v10 /*v266*/
	v_dual_lshrrev_b32 v10 /*v266*/, v253, v27 /*v283*/ :: v_dual_lshlrev_b32 v4 /*v260*/, 12, v4 /*v260*/
	s_set_vgpr_msb 1                        ;  msbs: dst=0 src0=1 src1=0 src2=0
	v_and_b32_e32 v19, 16, v19
	v_pk_fma_f16 v255, v1 /*v257*/, v18, v255
	s_set_vgpr_msb 0x55                     ;  msbs: dst=1 src0=1 src1=1 src2=1
	v_pk_fma_f16 v2 /*v258*/, v1 /*v257*/, v7 /*v263*/, v2 /*v258*/
	s_set_vgpr_msb 4                        ;  msbs: dst=0 src0=0 src1=1 src2=0
	v_lshlrev_b32_e32 v18, 20, v10 /*v266*/
	s_set_vgpr_msb 0x44                     ;  msbs: dst=1 src0=0 src1=1 src2=0
	v_and_b32_e32 v4 /*v260*/, 0x1000, v4 /*v260*/
	s_set_vgpr_msb 0                        ;  msbs: dst=0 src0=0 src1=0 src2=0
	v_and_b32_e32 v16, 0x1000, v16
	s_set_vgpr_msb 64                       ;  msbs: dst=1 src0=0 src1=0 src2=0
	v_lshrrev_b32_e32 v7 /*v263*/, 16, v32
	s_set_vgpr_msb 0                        ;  msbs: dst=0 src0=0 src1=0 src2=0
	v_and_b32_e32 v32, 0xffff, v32
	s_set_vgpr_msb 64                       ;  msbs: dst=1 src0=0 src1=0 src2=0
	v_lshrrev_b32_e32 v10 /*v266*/, 16, v33
	s_set_vgpr_msb 0x54                     ;  msbs: dst=1 src0=0 src1=1 src2=1
	v_or3_b32 v4 /*v260*/, v19, v0 /*v256*/, v4 /*v260*/
	s_set_vgpr_msb 4                        ;  msbs: dst=0 src0=0 src1=1 src2=0
	v_lshlrev_b32_e32 v19, 28, v12 /*v268*/
	s_set_vgpr_msb 0                        ;  msbs: dst=0 src0=0 src1=0 src2=0
	v_and_b32_e32 v18, 0x100000, v18
	v_mul_u32_u24_e32 v32, 0x10001, v32
	v_and_b32_e32 v33, 0xffff, v33
	s_set_vgpr_msb 0x44                     ;  msbs: dst=1 src0=0 src1=1 src2=0
	v_lshlrev_b16 v1 /*v257*/, 8, v4 /*v260*/
	s_set_vgpr_msb 0                        ;  msbs: dst=0 src0=0 src1=0 src2=0
	v_and_b32_e32 v19, 0x10000000, v19
	s_set_vgpr_msb 0x44                     ;  msbs: dst=1 src0=0 src1=1 src2=0
	v_mul_u32_u24_e32 v7 /*v263*/, 0x10001, v7 /*v263*/
	s_set_vgpr_msb 64                       ;  msbs: dst=1 src0=0 src1=0 src2=0
	v_lshrrev_b32_e32 v12 /*v268*/, 16, v34
	s_set_vgpr_msb 0                        ;  msbs: dst=0 src0=0 src1=0 src2=0
	v_add_nc_u64_e32 v[174:175], s[22:23], v[174:175]
	s_set_vgpr_msb 0x44                     ;  msbs: dst=1 src0=0 src1=1 src2=0
	v_add_nc_u16 v1 /*v257*/, 0xf000, v1 /*v257*/
	s_set_vgpr_msb 0x41                     ;  msbs: dst=1 src0=1 src1=0 src2=0
	v_or3_b32 v0 /*v256*/, v0 /*v256*/, v18, v19
	s_set_vgpr_msb 0                        ;  msbs: dst=0 src0=0 src1=0 src2=0
	v_add_nc_u64_e32 v[18:19], s[4:5], v[172:173]
	v_add_nc_u64_e32 v[172:173], s[22:23], v[172:173]
	;; [unrolled: 1-line block ×3, first 2 shown]
	s_set_vgpr_msb 0x44                     ;  msbs: dst=1 src0=0 src1=1 src2=0
	v_lshrrev_b16 v16 /*v272*/, 8, v1 /*v257*/
	v_lshrrev_b32_e32 v20 /*v276*/, 16, v0 /*v256*/
	s_set_vgpr_msb 64                       ;  msbs: dst=1 src0=0 src1=0 src2=0
	v_add_nc_u64_e32 v[0:1] /*v[256:257]*/, s[4:5], v[170:171]
	s_set_vgpr_msb 0                        ;  msbs: dst=0 src0=0 src1=0 src2=0
	v_add_nc_u64_e32 v[170:171], s[22:23], v[170:171]
	v_add_nc_u64_e32 v[182:183], s[22:23], v[182:183]
	s_set_vgpr_msb 0x45                     ;  msbs: dst=1 src0=1 src1=1 src2=0
	v_bitop3_b16 v4 /*v260*/, v4 /*v260*/, v16 /*v272*/, 0x1f00 bitop3:0xec
	v_lshlrev_b16 v22 /*v278*/, 8, v20 /*v276*/
	s_set_vgpr_msb 0x44                     ;  msbs: dst=1 src0=0 src1=1 src2=0
	global_load_b32 v16 /*v272*/, v[18:19], off offset:2
	v_and_b32_e32 v20 /*v276*/, 0x1f00, v20 /*v276*/
	s_set_vgpr_msb 0x41                     ;  msbs: dst=1 src0=1 src1=0 src2=0
	global_load_b32 v0 /*v256*/, v[0:1] /*v[256:257]*/, off
	s_wait_xcnt 0x0
	s_set_vgpr_msb 0x44                     ;  msbs: dst=1 src0=0 src1=1 src2=0
	v_add_nc_u16 v1 /*v257*/, 0xf000, v4 /*v260*/
	v_add_nc_u16 v4 /*v260*/, 0xf000, v22 /*v278*/
	v_lshrrev_b32_e32 v22 /*v278*/, v247, v38 /*v294*/
	v_add_nc_u16 v20 /*v276*/, 0xf000, v20 /*v276*/
	s_set_vgpr_msb 0                        ;  msbs: dst=0 src0=0 src1=0 src2=0
	v_add_nc_u64_e32 v[184:185], s[22:23], v[184:185]
	s_set_vgpr_msb 0x44                     ;  msbs: dst=1 src0=0 src1=1 src2=0
	v_lshrrev_b32_e32 v26 /*v282*/, 8, v1 /*v257*/
	s_set_vgpr_msb 0x41                     ;  msbs: dst=1 src0=1 src1=0 src2=0
	v_bfe_i32 v1 /*v257*/, v1 /*v257*/, 0, 8
	s_set_vgpr_msb 0x44                     ;  msbs: dst=1 src0=0 src1=1 src2=0
	v_dual_lshlrev_b32 v22 /*v278*/, 4, v22 /*v278*/ :: v_dual_ashrrev_i32 v27 /*v283*/, v251, v37 /*v293*/
	v_ashrrev_i16 v4 /*v260*/, 8, v4 /*v260*/
	s_set_vgpr_msb 1                        ;  msbs: dst=0 src0=1 src1=0 src2=0
	v_bfe_i32 v17, v26 /*v282*/, 0, 8
	s_set_vgpr_msb 0x41                     ;  msbs: dst=1 src0=1 src1=0 src2=0
	v_cvt_f16_i16_e64 v1 /*v257*/, v1 /*v257*/
	s_set_vgpr_msb 0x44                     ;  msbs: dst=1 src0=0 src1=1 src2=0
	v_and_b32_e32 v22 /*v278*/, 16, v22 /*v278*/
	v_and_b32_e32 v25 /*v281*/, 0xf0f0f0f, v27 /*v283*/
	v_lshrrev_b32_e32 v27 /*v283*/, v254, v38 /*v294*/
	s_set_vgpr_msb 0                        ;  msbs: dst=0 src0=0 src1=0 src2=0
	v_cvt_f16_i16_e32 v17, v17
	s_set_vgpr_msb 0x41                     ;  msbs: dst=1 src0=1 src1=0 src2=0
	v_cvt_f16_i16_e64 v4 /*v260*/, v4 /*v260*/
	s_set_vgpr_msb 0x44                     ;  msbs: dst=1 src0=0 src1=1 src2=0
	v_mul_u32_u24_e32 v26 /*v282*/, 0x10001, v36 /*v292*/
	s_set_vgpr_msb 5                        ;  msbs: dst=0 src0=1 src1=1 src2=0
	v_or3_b32 v16, v22 /*v278*/, v25 /*v281*/, v16
	s_set_vgpr_msb 0x44                     ;  msbs: dst=1 src0=0 src1=1 src2=0
	v_dual_lshrrev_b32 v22 /*v278*/, v253, v38 /*v294*/ :: v_dual_lshrrev_b32 v20 /*v276*/, 8, v20 /*v276*/
	v_lshlrev_b32_e32 v27 /*v283*/, 28, v27 /*v283*/
	s_set_vgpr_msb 1                        ;  msbs: dst=0 src0=1 src1=0 src2=0
	v_pack_b32_f16 v17, v1 /*v257*/, v17
	s_set_vgpr_msb 64                       ;  msbs: dst=1 src0=0 src1=0 src2=0
	v_lshlrev_b16 v29 /*v285*/, 8, v16
	s_set_vgpr_msb 0x44                     ;  msbs: dst=1 src0=0 src1=1 src2=0
	v_lshlrev_b32_e32 v22 /*v278*/, 20, v22 /*v278*/
	s_set_vgpr_msb 0x41                     ;  msbs: dst=1 src0=1 src1=0 src2=0
	v_bfe_i32 v20 /*v276*/, v20 /*v276*/, 0, 8
	s_set_vgpr_msb 0x44                     ;  msbs: dst=1 src0=0 src1=1 src2=0
	v_and_b32_e32 v27 /*v283*/, 0x10000000, v27 /*v283*/
	s_set_vgpr_msb 4                        ;  msbs: dst=0 src0=0 src1=1 src2=0
	v_pk_mul_f16 v17, v17, v26 /*v282*/
	s_set_vgpr_msb 0x44                     ;  msbs: dst=1 src0=0 src1=1 src2=0
	v_add_nc_u16 v29 /*v285*/, 0xf000, v29 /*v285*/
	v_and_b32_e32 v22 /*v278*/, 0x100000, v22 /*v278*/
	s_set_vgpr_msb 0x41                     ;  msbs: dst=1 src0=1 src1=0 src2=0
	v_cvt_f16_i16_e64 v20 /*v276*/, v20 /*v276*/
	s_set_vgpr_msb 0x50                     ;  msbs: dst=1 src0=0 src1=0 src2=1
	v_pk_fma_f16 v5 /*v261*/, v17, v32, v5 /*v261*/
	s_set_vgpr_msb 0x55                     ;  msbs: dst=1 src0=1 src1=1 src2=1
	v_lshrrev_b16 v1 /*v257*/, 8, v29 /*v285*/
	v_or3_b32 v22 /*v278*/, v25 /*v281*/, v22 /*v278*/, v27 /*v283*/
	v_pack_b32_f16 v4 /*v260*/, v4 /*v260*/, v20 /*v276*/
	s_set_vgpr_msb 0                        ;  msbs: dst=0 src0=0 src1=0 src2=0
	v_pk_fma_f16 v37, v17, v28, v37
	s_wait_loadcnt 0x11
	s_set_vgpr_msb 0x44                     ;  msbs: dst=1 src0=0 src1=1 src2=0
	v_mul_u32_u24_e32 v27 /*v283*/, 0x10001, v39 /*v295*/
	s_set_vgpr_msb 4                        ;  msbs: dst=0 src0=0 src1=1 src2=0
	v_bitop3_b16 v16, v16, v1 /*v257*/, 0x1f00 bitop3:0xec
	s_set_vgpr_msb 0x45                     ;  msbs: dst=1 src0=1 src1=1 src2=0
	v_lshrrev_b32_e32 v1 /*v257*/, 16, v22 /*v278*/
	v_pk_mul_f16 v4 /*v260*/, v4 /*v260*/, v26 /*v282*/
	s_set_vgpr_msb 64                       ;  msbs: dst=1 src0=0 src1=0 src2=0
	global_load_u16 v22 /*v278*/, v[18:19], off
	s_wait_loadcnt 0x11
	s_wait_xcnt 0x0
	s_set_vgpr_msb 4                        ;  msbs: dst=0 src0=0 src1=1 src2=0
	v_ashrrev_i32_e32 v18, v251, v40 /*v296*/
	s_set_vgpr_msb 0                        ;  msbs: dst=0 src0=0 src1=0 src2=0
	v_add_nc_u16 v16, 0xf000, v16
	s_set_vgpr_msb 64                       ;  msbs: dst=1 src0=0 src1=0 src2=0
	v_lshrrev_b32_e32 v24 /*v280*/, 16, v31
	s_set_vgpr_msb 4                        ;  msbs: dst=0 src0=0 src1=1 src2=0
	v_lshlrev_b16 v17, 8, v1 /*v257*/
	s_set_vgpr_msb 17                       ;  msbs: dst=0 src0=1 src1=0 src2=1
	v_pk_fma_f16 v32, v4 /*v260*/, v32, v2 /*v258*/
	s_set_vgpr_msb 1                        ;  msbs: dst=0 src0=1 src1=0 src2=0
	v_pk_fma_f16 v28, v4 /*v260*/, v28, v255
	s_set_vgpr_msb 64                       ;  msbs: dst=1 src0=0 src1=0 src2=0
	v_lshrrev_b32_e32 v2 /*v258*/, 8, v16
	s_set_vgpr_msb 0x44                     ;  msbs: dst=1 src0=0 src1=1 src2=0
	v_and_b32_e32 v1 /*v257*/, 0x1f00, v1 /*v257*/
	s_set_vgpr_msb 0                        ;  msbs: dst=0 src0=0 src1=0 src2=0
	v_add_nc_u16 v255, 0xf000, v17
	s_wait_loadcnt 0x10
	s_set_vgpr_msb 0x44                     ;  msbs: dst=1 src0=0 src1=1 src2=0
	v_lshrrev_b32_e32 v4 /*v260*/, v252, v41 /*v297*/
	s_set_vgpr_msb 0                        ;  msbs: dst=0 src0=0 src1=0 src2=0
	v_bfe_i32 v16, v16, 0, 8
	s_set_vgpr_msb 1                        ;  msbs: dst=0 src0=1 src1=0 src2=0
	v_bfe_i32 v17, v2 /*v258*/, 0, 8
	s_set_vgpr_msb 0x44                     ;  msbs: dst=1 src0=0 src1=1 src2=0
	v_lshrrev_b32_e32 v2 /*v258*/, v247, v41 /*v297*/
	v_add_nc_u16 v1 /*v257*/, 0xf000, v1 /*v257*/
	s_set_vgpr_msb 64                       ;  msbs: dst=1 src0=0 src1=0 src2=0
	v_and_b32_e32 v25 /*v281*/, 0xf0f0f0f, v18
	v_cvt_f16_i16_e64 v20 /*v276*/, v16
	s_set_vgpr_msb 0                        ;  msbs: dst=0 src0=0 src1=0 src2=0
	v_and_b32_e32 v31, 0xffff, v31
	s_set_vgpr_msb 4                        ;  msbs: dst=0 src0=0 src1=1 src2=0
	v_lshlrev_b32_e32 v19, 4, v2 /*v258*/
	s_set_vgpr_msb 0x44                     ;  msbs: dst=1 src0=0 src1=1 src2=0
	v_dual_lshlrev_b32 v2 /*v258*/, 12, v4 /*v260*/ :: v_dual_lshrrev_b32 v1 /*v257*/, 8, v1 /*v257*/
	v_cvt_f16_i16_e64 v4 /*v260*/, v17
	s_set_vgpr_msb 0                        ;  msbs: dst=0 src0=0 src1=0 src2=0
	v_add_nc_u64_e32 v[16:17], s[4:5], v[168:169]
	s_set_vgpr_msb 64                       ;  msbs: dst=1 src0=0 src1=0 src2=0
	v_and_b32_e32 v26 /*v282*/, 16, v19
	s_set_vgpr_msb 0                        ;  msbs: dst=0 src0=0 src1=0 src2=0
	v_add_nc_u64_e32 v[18:19], s[4:5], v[166:167]
	s_set_vgpr_msb 0x45                     ;  msbs: dst=1 src0=1 src1=1 src2=0
	v_and_b32_e32 v2 /*v258*/, 0x1000, v2 /*v258*/
	v_pack_b32_f16 v4 /*v260*/, v20 /*v276*/, v4 /*v260*/
	s_set_vgpr_msb 0                        ;  msbs: dst=0 src0=0 src1=0 src2=0
	v_mul_u32_u24_e32 v31, 0x10001, v31
	v_add_nc_u64_e32 v[166:167], s[22:23], v[166:167]
	s_set_vgpr_msb 64                       ;  msbs: dst=1 src0=0 src1=0 src2=0
	global_load_b32 v20 /*v276*/, v[16:17], off offset:2
	s_set_vgpr_msb 0x55                     ;  msbs: dst=1 src0=1 src1=1 src2=1
	v_or3_b32 v2 /*v258*/, v26 /*v282*/, v25 /*v281*/, v2 /*v258*/
	s_set_vgpr_msb 0x44                     ;  msbs: dst=1 src0=0 src1=1 src2=0
	v_lshrrev_b32_e32 v26 /*v282*/, v253, v41 /*v297*/
	global_load_b32 v29 /*v285*/, v[18:19], off
	s_wait_xcnt 0x0
	s_set_vgpr_msb 4                        ;  msbs: dst=0 src0=0 src1=1 src2=0
	v_lshrrev_b32_e32 v18, v254, v41 /*v297*/
	s_set_vgpr_msb 1                        ;  msbs: dst=0 src0=1 src1=0 src2=0
	v_ashrrev_i16 v19, 8, v255
	v_bfe_i32 v255, v1 /*v257*/, 0, 8
	s_set_vgpr_msb 0x44                     ;  msbs: dst=1 src0=0 src1=1 src2=0
	v_lshlrev_b32_e32 v1 /*v257*/, 20, v26 /*v282*/
	v_lshlrev_b16 v26 /*v282*/, 8, v2 /*v258*/
	s_set_vgpr_msb 0                        ;  msbs: dst=0 src0=0 src1=0 src2=0
	v_lshlrev_b32_e32 v18, 28, v18
	v_cvt_f16_i16_e32 v19, v19
	v_cvt_f16_i16_e64 v255, v255
	s_set_vgpr_msb 0x44                     ;  msbs: dst=1 src0=0 src1=1 src2=0
	v_and_b32_e32 v1 /*v257*/, 0x100000, v1 /*v257*/
	v_add_nc_u16 v26 /*v282*/, 0xf000, v26 /*v282*/
	s_set_vgpr_msb 0                        ;  msbs: dst=0 src0=0 src1=0 src2=0
	v_and_b32_e32 v18, 0x10000000, v18
	v_add_nc_u64_e32 v[168:169], s[22:23], v[168:169]
	v_pack_b32_f16 v19, v19, v255
	s_set_vgpr_msb 5                        ;  msbs: dst=0 src0=1 src1=1 src2=0
	v_pk_mul_f16 v255, v4 /*v260*/, v27 /*v283*/
	s_set_vgpr_msb 0x44                     ;  msbs: dst=1 src0=0 src1=1 src2=0
	v_lshrrev_b16 v4 /*v260*/, 8, v26 /*v282*/
	s_set_vgpr_msb 5                        ;  msbs: dst=0 src0=1 src1=1 src2=0
	v_or3_b32 v18, v25 /*v281*/, v1 /*v257*/, v18
	s_set_vgpr_msb 0x44                     ;  msbs: dst=1 src0=0 src1=1 src2=0
	v_mul_u32_u24_e32 v1 /*v257*/, 0x10001, v19 /*v275*/
	s_set_vgpr_msb 4                        ;  msbs: dst=0 src0=0 src1=1 src2=0
	v_pk_mul_f16 v19, v19, v27 /*v283*/
	s_set_vgpr_msb 0x54                     ;  msbs: dst=1 src0=0 src1=1 src2=1
	v_pk_fma_f16 v5 /*v261*/, v255, v7 /*v263*/, v5 /*v261*/
	s_set_vgpr_msb 0x45                     ;  msbs: dst=1 src0=1 src1=1 src2=0
	v_bitop3_b16 v2 /*v258*/, v2 /*v258*/, v4 /*v260*/, 0x1f00 bitop3:0xec
	s_set_vgpr_msb 0                        ;  msbs: dst=0 src0=0 src1=0 src2=0
	v_lshrrev_b32_e32 v18, 16, v18
	s_set_vgpr_msb 4                        ;  msbs: dst=0 src0=0 src1=1 src2=0
	v_pk_fma_f16 v37, v255, v1 /*v257*/, v37
	v_pk_fma_f16 v28, v19, v1 /*v257*/, v28
	s_set_vgpr_msb 64                       ;  msbs: dst=1 src0=0 src1=0 src2=0
	v_mul_u32_u24_e32 v1 /*v257*/, 0x10001, v33
	s_wait_loadcnt 0xf
	s_set_vgpr_msb 4                        ;  msbs: dst=0 src0=0 src1=1 src2=0
	v_lshrrev_b32_e32 v33, v247, v44 /*v300*/
	v_pk_fma_f16 v255, v19, v7 /*v263*/, v32
	v_add_nc_u16 v32, 0xf000, v2 /*v258*/
	s_set_vgpr_msb 64                       ;  msbs: dst=1 src0=0 src1=0 src2=0
	v_lshlrev_b16 v2 /*v258*/, 8, v18
	s_set_vgpr_msb 0                        ;  msbs: dst=0 src0=0 src1=0 src2=0
	v_and_b32_e32 v18, 0x1f00, v18
	s_set_vgpr_msb 0x44                     ;  msbs: dst=1 src0=0 src1=1 src2=0
	v_lshrrev_b32_e32 v4 /*v260*/, v252, v44 /*v300*/
	s_set_vgpr_msb 0                        ;  msbs: dst=0 src0=0 src1=0 src2=0
	v_dual_lshlrev_b32 v33, 4, v33 :: v_dual_lshrrev_b32 v19, 8, v32
	s_set_vgpr_msb 0x44                     ;  msbs: dst=1 src0=0 src1=1 src2=0
	v_ashrrev_i32_e32 v25 /*v281*/, v251, v43 /*v299*/
	s_set_vgpr_msb 64                       ;  msbs: dst=1 src0=0 src1=0 src2=0
	v_add_nc_u16 v7 /*v263*/, 0xf000, v18
	s_set_vgpr_msb 0x44                     ;  msbs: dst=1 src0=0 src1=1 src2=0
	v_lshlrev_b32_e32 v4 /*v260*/, 12, v4 /*v260*/
	v_bfe_i32 v26 /*v282*/, v32, 0, 8
	s_set_vgpr_msb 64                       ;  msbs: dst=1 src0=0 src1=0 src2=0
	v_and_b32_e32 v27 /*v283*/, 16, v33
	s_set_vgpr_msb 0                        ;  msbs: dst=0 src0=0 src1=0 src2=0
	v_add_nc_u64_e32 v[32:33], s[4:5], v[162:163]
	s_set_vgpr_msb 64                       ;  msbs: dst=1 src0=0 src1=0 src2=0
	v_bfe_i32 v19 /*v275*/, v19, 0, 8
	s_set_vgpr_msb 0                        ;  msbs: dst=0 src0=0 src1=0 src2=0
	v_add_nc_u64_e32 v[18:19], s[4:5], v[164:165]
	s_set_vgpr_msb 0x44                     ;  msbs: dst=1 src0=0 src1=1 src2=0
	v_and_b32_e32 v25 /*v281*/, 0xf0f0f0f, v25 /*v281*/
	v_lshrrev_b32_e32 v7 /*v263*/, 8, v7 /*v263*/
	v_and_b32_e32 v4 /*v260*/, 0x1000, v4 /*v260*/
	global_load_u16 v30 /*v286*/, v[16:17], off
	global_load_b32 v31 /*v287*/, v[18:19], off offset:2
	s_wait_xcnt 0x1
	s_set_vgpr_msb 1                        ;  msbs: dst=0 src0=1 src1=0 src2=0
	v_cvt_f16_i16_e64 v17, v26 /*v282*/
	s_set_vgpr_msb 0x55                     ;  msbs: dst=1 src0=1 src1=1 src2=1
	v_or3_b32 v4 /*v260*/, v27 /*v283*/, v25 /*v281*/, v4 /*v260*/
	s_set_vgpr_msb 64                       ;  msbs: dst=1 src0=0 src1=0 src2=0
	global_load_b32 v26 /*v282*/, v[32:33], off
	s_wait_xcnt 0x0
	s_set_vgpr_msb 1                        ;  msbs: dst=0 src0=1 src1=0 src2=0
	v_cvt_f16_i16_e64 v32, v19 /*v275*/
	s_set_vgpr_msb 4                        ;  msbs: dst=0 src0=0 src1=1 src2=0
	v_lshrrev_b32_e32 v33, v253, v44 /*v300*/
	s_set_vgpr_msb 0x44                     ;  msbs: dst=1 src0=0 src1=1 src2=0
	v_lshrrev_b32_e32 v19 /*v275*/, v254, v44 /*v300*/
	v_add_nc_u16 v2 /*v258*/, 0xf000, v2 /*v258*/
	v_lshlrev_b16 v27 /*v283*/, 8, v4 /*v260*/
	s_set_vgpr_msb 0x41                     ;  msbs: dst=1 src0=1 src1=0 src2=0
	v_bfe_i32 v7 /*v263*/, v7 /*v263*/, 0, 8
	s_set_vgpr_msb 0                        ;  msbs: dst=0 src0=0 src1=0 src2=0
	v_lshlrev_b32_e32 v33, 20, v33
	s_set_vgpr_msb 0x44                     ;  msbs: dst=1 src0=0 src1=1 src2=0
	v_lshlrev_b32_e32 v19 /*v275*/, 28, v19 /*v275*/
	v_ashrrev_i16 v2 /*v258*/, 8, v2 /*v258*/
	v_add_nc_u16 v27 /*v283*/, 0xf000, v27 /*v283*/
	s_set_vgpr_msb 4                        ;  msbs: dst=0 src0=0 src1=1 src2=0
	v_mul_u32_u24_e32 v16, 0x10001, v42 /*v298*/
	s_set_vgpr_msb 0                        ;  msbs: dst=0 src0=0 src1=0 src2=0
	v_and_b32_e32 v33, 0x100000, v33
	s_set_vgpr_msb 0x41                     ;  msbs: dst=1 src0=1 src1=0 src2=0
	v_cvt_f16_i16_e64 v7 /*v263*/, v7 /*v263*/
	v_cvt_f16_i16_e64 v2 /*v258*/, v2 /*v258*/
	s_set_vgpr_msb 0x44                     ;  msbs: dst=1 src0=0 src1=1 src2=0
	v_lshrrev_b16 v27 /*v283*/, 8, v27 /*v283*/
	s_set_vgpr_msb 0                        ;  msbs: dst=0 src0=0 src1=0 src2=0
	v_pack_b32_f16 v17, v17, v32
	v_add_nc_u64_e32 v[162:163], s[22:23], v[162:163]
	v_add_nc_u64_e32 v[164:165], s[22:23], v[164:165]
	v_pk_fma_f32 v[70:71], v[70:71], v[230:231], v[226:227]
	s_delay_alu instid0(VALU_DEP_4)
	v_pk_mul_f16 v17, v17, v16
	s_wait_loadcnt 0x11
	s_set_vgpr_msb 0x44                     ;  msbs: dst=1 src0=0 src1=1 src2=0
	v_ashrrev_i32_e32 v13 /*v269*/, v251, v13 /*v269*/
	v_and_b32_e32 v19 /*v275*/, 0x10000000, v19 /*v275*/
	s_set_vgpr_msb 0                        ;  msbs: dst=0 src0=0 src1=0 src2=0
	v_pk_fma_f16 v37, v17, v29, v37
	s_set_vgpr_msb 0x44                     ;  msbs: dst=1 src0=0 src1=1 src2=0
	v_and_b32_e32 v13 /*v269*/, 0xf0f0f0f, v13 /*v269*/
	s_set_vgpr_msb 17                       ;  msbs: dst=0 src0=1 src1=0 src2=1
	v_or3_b32 v32, v25 /*v281*/, v33, v19 /*v275*/
	s_set_vgpr_msb 5                        ;  msbs: dst=0 src0=1 src1=1 src2=0
	v_pack_b32_f16 v33, v2 /*v258*/, v7 /*v263*/
	s_set_vgpr_msb 0x45                     ;  msbs: dst=1 src0=1 src1=1 src2=0
	v_bitop3_b16 v2 /*v258*/, v4 /*v260*/, v27 /*v283*/, 0x1f00 bitop3:0xec
	s_set_vgpr_msb 0                        ;  msbs: dst=0 src0=0 src1=0 src2=0
	v_lshrrev_b32_e32 v32, 16, v32
	v_pk_mul_f16 v16, v33, v16
	s_set_vgpr_msb 4                        ;  msbs: dst=0 src0=0 src1=1 src2=0
	v_add_nc_u16 v33, 0xf000, v2 /*v258*/
	s_set_vgpr_msb 0x54                     ;  msbs: dst=1 src0=0 src1=1 src2=1
	v_pk_fma_f16 v2 /*v258*/, v17, v1 /*v257*/, v5 /*v261*/
	s_set_vgpr_msb 0                        ;  msbs: dst=0 src0=0 src1=0 src2=0
	v_and_b32_e32 v17, 0x1f00, v32
	s_set_vgpr_msb 4                        ;  msbs: dst=0 src0=0 src1=1 src2=0
	v_pk_fma_f16 v255, v16, v1 /*v257*/, v255
	s_set_vgpr_msb 64                       ;  msbs: dst=1 src0=0 src1=0 src2=0
	v_pk_fma_f16 v4 /*v260*/, v16, v29, v28
	v_lshrrev_b32_e32 v1 /*v257*/, 8, v33
	s_set_vgpr_msb 0                        ;  msbs: dst=0 src0=0 src1=0 src2=0
	v_bfe_i32 v28, v33, 0, 8
	s_set_vgpr_msb 64                       ;  msbs: dst=1 src0=0 src1=0 src2=0
	v_add_nc_u16 v5 /*v261*/, 0xf000, v17
	s_set_vgpr_msb 0                        ;  msbs: dst=0 src0=0 src1=0 src2=0
	v_add_nc_u64_e32 v[16:17], s[4:5], v[160:161]
	s_wait_loadcnt 0xf
	s_set_vgpr_msb 4                        ;  msbs: dst=0 src0=0 src1=1 src2=0
	v_lshrrev_b32_e32 v29, v247, v11 /*v267*/
	s_set_vgpr_msb 1                        ;  msbs: dst=0 src0=1 src1=0 src2=0
	v_bfe_i32 v33, v1 /*v257*/, 0, 8
	s_set_vgpr_msb 0x44                     ;  msbs: dst=1 src0=0 src1=1 src2=0
	v_lshrrev_b32_e32 v1 /*v257*/, v252, v11 /*v267*/
	v_cvt_f16_i16_e64 v7 /*v263*/, v28
	s_set_vgpr_msb 0                        ;  msbs: dst=0 src0=0 src1=0 src2=0
	v_lshlrev_b16 v32, 8, v32
	s_set_vgpr_msb 64                       ;  msbs: dst=1 src0=0 src1=0 src2=0
	v_lshlrev_b32_e32 v19 /*v275*/, 4, v29
	global_load_b32 v25 /*v281*/, v[16:17], off offset:2
	s_set_vgpr_msb 0x44                     ;  msbs: dst=1 src0=0 src1=1 src2=0
	v_lshlrev_b32_e32 v1 /*v257*/, 12, v1 /*v257*/
	s_set_vgpr_msb 0                        ;  msbs: dst=0 src0=0 src1=0 src2=0
	v_add_nc_u64_e32 v[28:29], s[4:5], v[158:159]
	v_cvt_f16_i16_e32 v33, v33
	s_set_vgpr_msb 0x44                     ;  msbs: dst=1 src0=0 src1=1 src2=0
	v_and_b32_e32 v19 /*v275*/, 16, v19 /*v275*/
	s_set_vgpr_msb 0                        ;  msbs: dst=0 src0=0 src1=0 src2=0
	v_add_nc_u64_e32 v[158:159], s[22:23], v[158:159]
	s_set_vgpr_msb 0x44                     ;  msbs: dst=1 src0=0 src1=1 src2=0
	v_and_b32_e32 v1 /*v257*/, 0x1000, v1 /*v257*/
	s_set_vgpr_msb 0                        ;  msbs: dst=0 src0=0 src1=0 src2=0
	v_add_nc_u64_e32 v[160:161], s[22:23], v[160:161]
	s_set_vgpr_msb 64                       ;  msbs: dst=1 src0=0 src1=0 src2=0
	global_load_b32 v27 /*v283*/, v[28:29], off
	s_wait_xcnt 0x0
	s_set_vgpr_msb 1                        ;  msbs: dst=0 src0=1 src1=0 src2=0
	v_add_nc_u16 v28, 0xf000, v32
	v_pack_b32_f16 v32, v7 /*v263*/, v33
	s_set_vgpr_msb 21                       ;  msbs: dst=0 src0=1 src1=1 src2=1
	v_or3_b32 v33, v19 /*v275*/, v13 /*v269*/, v1 /*v257*/
	v_mul_u32_u24_e32 v29, 0x10001, v8 /*v264*/
	s_set_vgpr_msb 0x44                     ;  msbs: dst=1 src0=0 src1=1 src2=0
	v_dual_lshrrev_b32 v1 /*v257*/, 8, v5 /*v261*/ :: v_dual_lshrrev_b32 v5 /*v261*/, v253, v11 /*v267*/
	v_lshrrev_b32_e32 v7 /*v263*/, v254, v11 /*v267*/
	s_set_vgpr_msb 64                       ;  msbs: dst=1 src0=0 src1=0 src2=0
	v_lshlrev_b16 v8 /*v264*/, 8, v33
	global_load_u16 v11 /*v267*/, v[18:19], off
	s_wait_xcnt 0x0
	s_set_vgpr_msb 1                        ;  msbs: dst=0 src0=1 src1=0 src2=0
	v_bfe_i32 v18, v1 /*v257*/, 0, 8
	s_set_vgpr_msb 4                        ;  msbs: dst=0 src0=0 src1=1 src2=0
	v_lshlrev_b32_e32 v19, 20, v5 /*v261*/
	s_set_vgpr_msb 0                        ;  msbs: dst=0 src0=0 src1=0 src2=0
	v_ashrrev_i16 v28, 8, v28
	s_set_vgpr_msb 0x44                     ;  msbs: dst=1 src0=0 src1=1 src2=0
	v_add_nc_u16 v5 /*v261*/, 0xf000, v8 /*v264*/
	s_set_vgpr_msb 64                       ;  msbs: dst=1 src0=0 src1=0 src2=0
	v_lshrrev_b32_e32 v19 /*v275*/, 16, v26
	s_set_vgpr_msb 0                        ;  msbs: dst=0 src0=0 src1=0 src2=0
	v_cvt_f16_i16_e32 v18, v18
	v_and_b32_e32 v19, 0x100000, v19
	v_cvt_f16_i16_e32 v28, v28
	s_set_vgpr_msb 0x44                     ;  msbs: dst=1 src0=0 src1=1 src2=0
	v_lshrrev_b16 v5 /*v261*/, 8, v5 /*v261*/
	s_set_vgpr_msb 0                        ;  msbs: dst=0 src0=0 src1=0 src2=0
	v_and_b32_e32 v26, 0xffff, v26
	s_wait_loadcnt 0x10
	s_set_vgpr_msb 0x44                     ;  msbs: dst=1 src0=0 src1=1 src2=0
	v_dual_lshrrev_b32 v8 /*v264*/, v252, v17 /*v273*/ :: v_dual_lshlrev_b32 v1 /*v257*/, 28, v7 /*v263*/
	s_set_vgpr_msb 0                        ;  msbs: dst=0 src0=0 src1=0 src2=0
	v_pack_b32_f16 v18, v28, v18
	s_set_vgpr_msb 0x44                     ;  msbs: dst=1 src0=0 src1=1 src2=0
	v_mul_u32_u24_e32 v7 /*v263*/, 0x10001, v10 /*v266*/
	s_set_vgpr_msb 0                        ;  msbs: dst=0 src0=0 src1=0 src2=0
	v_pk_mul_f16 v28, v32, v29
	s_set_vgpr_msb 4                        ;  msbs: dst=0 src0=0 src1=1 src2=0
	v_mul_u32_u24_e32 v32, 0x10001, v21 /*v277*/
	s_set_vgpr_msb 0x44                     ;  msbs: dst=1 src0=0 src1=1 src2=0
	v_and_b32_e32 v1 /*v257*/, 0x10000000, v1 /*v257*/
	s_set_vgpr_msb 0                        ;  msbs: dst=0 src0=0 src1=0 src2=0
	v_pk_mul_f16 v18, v18, v29
	s_set_vgpr_msb 4                        ;  msbs: dst=0 src0=0 src1=1 src2=0
	v_bitop3_b16 v33, v33, v5 /*v261*/, 0x1f00 bitop3:0xec
	s_set_vgpr_msb 0                        ;  msbs: dst=0 src0=0 src1=0 src2=0
	v_mul_u32_u24_e32 v26, 0x10001, v26
	v_pk_fma_f16 v37, v28, v32, v37
	s_set_vgpr_msb 17                       ;  msbs: dst=0 src0=1 src1=0 src2=1
	v_or3_b32 v19, v13 /*v269*/, v19, v1 /*v257*/
	s_set_vgpr_msb 0x54                     ;  msbs: dst=1 src0=0 src1=1 src2=1
	v_pk_fma_f16 v1 /*v257*/, v28, v7 /*v263*/, v2 /*v258*/
	s_set_vgpr_msb 0                        ;  msbs: dst=0 src0=0 src1=0 src2=0
	v_and_b32_e32 v28, 0xffff, v34
	s_set_vgpr_msb 4                        ;  msbs: dst=0 src0=0 src1=1 src2=0
	v_pk_fma_f16 v255, v18, v7 /*v263*/, v255
	s_set_vgpr_msb 0x44                     ;  msbs: dst=1 src0=0 src1=1 src2=0
	v_lshrrev_b32_e32 v7 /*v263*/, v247, v17 /*v273*/
	s_set_vgpr_msb 16                       ;  msbs: dst=0 src0=0 src1=0 src2=1
	v_lshrrev_b32_e32 v19, 16, v19
	v_pk_fma_f16 v32, v18, v32, v4 /*v260*/
	s_set_vgpr_msb 64                       ;  msbs: dst=1 src0=0 src1=0 src2=0
	v_mul_u32_u24_e32 v2 /*v258*/, 0x10001, v28
	s_set_vgpr_msb 0x44                     ;  msbs: dst=1 src0=0 src1=1 src2=0
	v_dual_ashrrev_i32 v10 /*v266*/, v251, v18 /*v274*/ :: v_dual_lshlrev_b32 v7 /*v263*/, 4, v7 /*v263*/
	s_set_vgpr_msb 0                        ;  msbs: dst=0 src0=0 src1=0 src2=0
	v_lshlrev_b16 v29, 8, v19
	v_and_b32_e32 v19, 0x1f00, v19
	s_set_vgpr_msb 0x44                     ;  msbs: dst=1 src0=0 src1=1 src2=0
	v_lshlrev_b32_e32 v8 /*v264*/, 12, v8 /*v264*/
	s_set_vgpr_msb 0                        ;  msbs: dst=0 src0=0 src1=0 src2=0
	v_add_nc_u16 v33, 0xf000, v33
	s_set_vgpr_msb 0x44                     ;  msbs: dst=1 src0=0 src1=1 src2=0
	v_and_b32_e32 v10 /*v266*/, 0xf0f0f0f, v10 /*v266*/
	s_set_vgpr_msb 64                       ;  msbs: dst=1 src0=0 src1=0 src2=0
	v_add_nc_u16 v4 /*v260*/, 0xf000, v29
	s_set_vgpr_msb 0                        ;  msbs: dst=0 src0=0 src1=0 src2=0
	v_add_nc_u64_e32 v[28:29], s[4:5], v[154:155]
	s_set_vgpr_msb 64                       ;  msbs: dst=1 src0=0 src1=0 src2=0
	v_add_nc_u16 v5 /*v261*/, 0xf000, v19
	s_set_vgpr_msb 0x44                     ;  msbs: dst=1 src0=0 src1=1 src2=0
	v_and_b32_e32 v7 /*v263*/, 16, v7 /*v263*/
	s_set_vgpr_msb 0                        ;  msbs: dst=0 src0=0 src1=0 src2=0
	v_add_nc_u64_e32 v[18:19], s[4:5], v[156:157]
	v_lshrrev_b32_e32 v34, 8, v33
	v_bfe_i32 v33, v33, 0, 8
	s_set_vgpr_msb 0x44                     ;  msbs: dst=1 src0=0 src1=1 src2=0
	v_ashrrev_i16 v4 /*v260*/, 8, v4 /*v260*/
	global_load_b32 v18 /*v274*/, v[28:29], off
	s_wait_xcnt 0x0
	s_set_vgpr_msb 4                        ;  msbs: dst=0 src0=0 src1=1 src2=0
	v_and_b32_e32 v28, 0x1000, v8 /*v264*/
	s_set_vgpr_msb 0x44                     ;  msbs: dst=1 src0=0 src1=1 src2=0
	v_lshrrev_b32_e32 v8 /*v264*/, v253, v17 /*v273*/
	s_set_vgpr_msb 0                        ;  msbs: dst=0 src0=0 src1=0 src2=0
	v_bfe_i32 v34, v34, 0, 8
	s_set_vgpr_msb 64                       ;  msbs: dst=1 src0=0 src1=0 src2=0
	global_load_b32 v13 /*v269*/, v[18:19], off offset:2
	s_wait_loadcnt 0x11
	s_set_vgpr_msb 5                        ;  msbs: dst=0 src0=1 src1=1 src2=0
	v_mul_u32_u24_e32 v29, 0x10001, v14 /*v270*/
	v_or3_b32 v28, v7 /*v263*/, v10 /*v266*/, v28
	s_set_vgpr_msb 0x44                     ;  msbs: dst=1 src0=0 src1=1 src2=0
	v_lshrrev_b32_e32 v7 /*v263*/, v254, v17 /*v273*/
	v_dual_lshrrev_b32 v5 /*v261*/, 8, v5 /*v261*/ :: v_dual_lshlrev_b32 v8 /*v264*/, 20, v8 /*v264*/
	global_load_u16 v17 /*v273*/, v[16:17], off
	s_set_vgpr_msb 0                        ;  msbs: dst=0 src0=0 src1=0 src2=0
	v_cvt_f16_i16_e32 v33, v33
	v_cvt_f16_i16_e32 v34, v34
	s_wait_xcnt 0x0
	s_set_vgpr_msb 1                        ;  msbs: dst=0 src0=1 src1=0 src2=0
	v_bfe_i32 v16, v5 /*v261*/, 0, 8
	s_set_vgpr_msb 64                       ;  msbs: dst=1 src0=0 src1=0 src2=0
	v_lshlrev_b16 v14 /*v270*/, 8, v28
	s_set_vgpr_msb 1                        ;  msbs: dst=0 src0=1 src1=0 src2=0
	v_cvt_f16_i16_e64 v17, v4 /*v260*/
	s_set_vgpr_msb 0x44                     ;  msbs: dst=1 src0=0 src1=1 src2=0
	v_lshlrev_b32_e32 v7 /*v263*/, 28, v7 /*v263*/
	s_set_vgpr_msb 0                        ;  msbs: dst=0 src0=0 src1=0 src2=0
	v_pack_b32_f16 v33, v33, v34
	v_cvt_f16_i16_e32 v16, v16
	s_set_vgpr_msb 0x44                     ;  msbs: dst=1 src0=0 src1=1 src2=0
	v_add_nc_u16 v4 /*v260*/, 0xf000, v14 /*v270*/
	v_and_b32_e32 v5 /*v261*/, 0x100000, v8 /*v264*/
	s_set_vgpr_msb 0                        ;  msbs: dst=0 src0=0 src1=0 src2=0
	v_add_nc_u64_e32 v[154:155], s[22:23], v[154:155]
	v_add_nc_u64_e32 v[156:157], s[22:23], v[156:157]
	v_pack_b32_f16 v16, v17, v16
	s_set_vgpr_msb 4                        ;  msbs: dst=0 src0=0 src1=1 src2=0
	v_lshrrev_b16 v34, 8, v4 /*v260*/
	s_set_vgpr_msb 0                        ;  msbs: dst=0 src0=0 src1=0 src2=0
	v_pk_mul_f16 v17, v33, v29
	v_pk_mul_f16 v16, v16, v29
	s_delay_alu instid0(VALU_DEP_3) | instskip(SKIP_1) | instid1(VALU_DEP_3)
	v_bitop3_b16 v28, v28, v34, 0x1f00 bitop3:0xec
	s_set_vgpr_msb 20                       ;  msbs: dst=0 src0=0 src1=1 src2=1
	v_pk_fma_f16 v29, v17, v2 /*v258*/, v1 /*v257*/
	s_set_vgpr_msb 0                        ;  msbs: dst=0 src0=0 src1=0 src2=0
	v_pk_fma_f16 v34, v17, v30, v37
	s_set_vgpr_msb 4                        ;  msbs: dst=0 src0=0 src1=1 src2=0
	v_pk_fma_f16 v37, v16, v2 /*v258*/, v255
	s_wait_loadcnt 0x10
	s_set_vgpr_msb 0x44                     ;  msbs: dst=1 src0=0 src1=1 src2=0
	v_lshrrev_b32_e32 v2 /*v258*/, v247, v9 /*v265*/
	v_and_b32_e32 v7 /*v263*/, 0x10000000, v7 /*v263*/
	s_set_vgpr_msb 4                        ;  msbs: dst=0 src0=0 src1=1 src2=0
	v_mul_u32_u24_e32 v255, 0x10001, v6 /*v262*/
	s_set_vgpr_msb 64                       ;  msbs: dst=1 src0=0 src1=0 src2=0
	global_load_u16 v6 /*v262*/, v[18:19], off
	s_wait_xcnt 0x0
	s_set_vgpr_msb 0                        ;  msbs: dst=0 src0=0 src1=0 src2=0
	v_add_nc_u64_e32 v[18:19], s[4:5], v[150:151]
	v_add_nc_u16 v28, 0xf000, v28
	s_set_vgpr_msb 0x55                     ;  msbs: dst=1 src0=1 src1=1 src2=1
	v_or3_b32 v4 /*v260*/, v10 /*v266*/, v5 /*v261*/, v7 /*v263*/
	s_set_vgpr_msb 0                        ;  msbs: dst=0 src0=0 src1=0 src2=0
	v_pk_fma_f16 v30, v16, v30, v32
	s_wait_loadcnt 0xf
	s_set_vgpr_msb 0x44                     ;  msbs: dst=1 src0=0 src1=1 src2=0
	v_dual_lshrrev_b32 v5 /*v261*/, v252, v9 /*v265*/ :: v_dual_ashrrev_i32 v3 /*v259*/, v251, v3 /*v259*/
	s_set_vgpr_msb 0                        ;  msbs: dst=0 src0=0 src1=0 src2=0
	v_lshrrev_b32_e32 v16, 8, v28
	s_set_vgpr_msb 4                        ;  msbs: dst=0 src0=0 src1=1 src2=0
	v_lshrrev_b32_e32 v33, 16, v4 /*v260*/
	s_set_vgpr_msb 64                       ;  msbs: dst=1 src0=0 src1=0 src2=0
	global_load_b32 v10 /*v266*/, v[18:19], off
	s_wait_xcnt 0x0
	s_set_vgpr_msb 4                        ;  msbs: dst=0 src0=0 src1=1 src2=0
	v_lshrrev_b32_e32 v18, v254, v9 /*v265*/
	s_set_vgpr_msb 0x44                     ;  msbs: dst=1 src0=0 src1=1 src2=0
	v_dual_lshlrev_b32 v2 /*v258*/, 4, v2 /*v258*/ :: v_dual_lshlrev_b32 v5 /*v261*/, 12, v5 /*v261*/
	s_set_vgpr_msb 0                        ;  msbs: dst=0 src0=0 src1=0 src2=0
	v_and_b32_e32 v17, 0x1f00, v33
	v_bfe_i32 v16, v16, 0, 8
	v_lshlrev_b32_e32 v18, 28, v18
	v_lshlrev_b16 v32, 8, v33
	s_set_vgpr_msb 0x44                     ;  msbs: dst=1 src0=0 src1=1 src2=0
	v_and_b32_e32 v3 /*v259*/, 0xf0f0f0f, v3 /*v259*/
	s_set_vgpr_msb 0                        ;  msbs: dst=0 src0=0 src1=0 src2=0
	v_add_nc_u16 v17, 0xf000, v17
	s_set_vgpr_msb 0x44                     ;  msbs: dst=1 src0=0 src1=1 src2=0
	v_cvt_f16_i16_e64 v1 /*v257*/, v16
	v_dual_lshrrev_b32 v8 /*v264*/, v253, v9 /*v265*/ :: v_dual_bitop2_b32 v2 /*v258*/, 16, v2 /*v258*/ bitop3:0x40
	s_set_vgpr_msb 0                        ;  msbs: dst=0 src0=0 src1=0 src2=0
	v_add_nc_u16 v32, 0xf000, v32
	v_lshrrev_b32_e32 v17, 8, v17
	s_set_vgpr_msb 0x44                     ;  msbs: dst=1 src0=0 src1=1 src2=0
	v_and_b32_e32 v5 /*v261*/, 0x1000, v5 /*v261*/
	s_set_vgpr_msb 0                        ;  msbs: dst=0 src0=0 src1=0 src2=0
	v_bfe_i32 v28, v28, 0, 8
	v_and_b32_e32 v18, 0x10000000, v18
	v_ashrrev_i16 v32, 8, v32
	s_set_vgpr_msb 64                       ;  msbs: dst=1 src0=0 src1=0 src2=0
	v_bfe_i32 v4 /*v260*/, v17, 0, 8
	s_set_vgpr_msb 0                        ;  msbs: dst=0 src0=0 src1=0 src2=0
	v_add_nc_u64_e32 v[16:17], s[4:5], v[152:153]
	s_set_vgpr_msb 21                       ;  msbs: dst=0 src0=1 src1=1 src2=1
	v_or3_b32 v19, v2 /*v258*/, v3 /*v259*/, v5 /*v261*/
	s_set_vgpr_msb 0                        ;  msbs: dst=0 src0=0 src1=0 src2=0
	v_cvt_f16_i16_e32 v28, v28
	v_cvt_f16_i16_e32 v32, v32
	s_set_vgpr_msb 0x41                     ;  msbs: dst=1 src0=1 src1=0 src2=0
	v_cvt_f16_i16_e64 v2 /*v258*/, v4 /*v260*/
	s_set_vgpr_msb 0x44                     ;  msbs: dst=1 src0=0 src1=1 src2=0
	v_lshlrev_b32_e32 v4 /*v260*/, 20, v8 /*v264*/
	s_set_vgpr_msb 64                       ;  msbs: dst=1 src0=0 src1=0 src2=0
	v_lshlrev_b16 v5 /*v261*/, 8, v19
	global_load_b32 v7 /*v263*/, v[16:17], off offset:2
	s_set_vgpr_msb 4                        ;  msbs: dst=0 src0=0 src1=1 src2=0
	v_pack_b32_f16 v28, v28, v1 /*v257*/
	v_pack_b32_f16 v32, v32, v2 /*v258*/
	s_set_vgpr_msb 0x44                     ;  msbs: dst=1 src0=0 src1=1 src2=0
	v_and_b32_e32 v1 /*v257*/, 0x100000, v4 /*v260*/
	v_add_nc_u16 v2 /*v258*/, 0xf000, v5 /*v261*/
	s_set_vgpr_msb 4                        ;  msbs: dst=0 src0=0 src1=1 src2=0
	v_mul_u32_u24_e32 v33, 0x10001, v12 /*v268*/
	s_set_vgpr_msb 0                        ;  msbs: dst=0 src0=0 src1=0 src2=0
	v_pk_mul_f16 v28, v28, v255
	v_pk_mul_f16 v32, v32, v255
	s_set_vgpr_msb 0x44                     ;  msbs: dst=1 src0=0 src1=1 src2=0
	v_mul_u32_u24_e32 v4 /*v260*/, 0x10001, v23 /*v279*/
	s_set_vgpr_msb 5                        ;  msbs: dst=0 src0=1 src1=1 src2=0
	v_lshrrev_b16 v255, 8, v2 /*v258*/
	v_or3_b32 v18, v3 /*v259*/, v1 /*v257*/, v18
	s_set_vgpr_msb 64                       ;  msbs: dst=1 src0=0 src1=0 src2=0
	v_pk_fma_f16 v1 /*v257*/, v28, v33, v29
	s_wait_loadcnt 0x10
	s_set_vgpr_msb 4                        ;  msbs: dst=0 src0=0 src1=1 src2=0
	v_lshrrev_b32_e32 v29, v252, v16 /*v272*/
	v_pk_fma_f16 v34, v28, v4 /*v260*/, v34
	s_set_vgpr_msb 0                        ;  msbs: dst=0 src0=0 src1=0 src2=0
	v_bitop3_b16 v19, v19, v255, 0x1f00 bitop3:0xec
	v_and_b32_e32 v28, 0xffff, v35
	v_pk_fma_f16 v33, v32, v33, v37
	s_set_vgpr_msb 4                        ;  msbs: dst=0 src0=0 src1=1 src2=0
	v_pk_fma_f16 v30, v32, v4 /*v260*/, v30
	s_set_vgpr_msb 0                        ;  msbs: dst=0 src0=0 src1=0 src2=0
	v_lshlrev_b32_e32 v29, 12, v29
	v_add_nc_u16 v35, 0xf000, v19
	s_set_vgpr_msb 4                        ;  msbs: dst=0 src0=0 src1=1 src2=0
	v_lshrrev_b32_e32 v19, v247, v16 /*v272*/
	s_set_vgpr_msb 0                        ;  msbs: dst=0 src0=0 src1=0 src2=0
	v_lshrrev_b32_e32 v18, 16, v18
	v_mul_u32_u24_e32 v32, 0x10001, v28
	s_set_vgpr_msb 64                       ;  msbs: dst=1 src0=0 src1=0 src2=0
	v_and_b32_e32 v4 /*v260*/, 0x1000, v29
	s_set_vgpr_msb 0x44                     ;  msbs: dst=1 src0=0 src1=1 src2=0
	v_mul_u32_u24_e32 v5 /*v261*/, 0x10001, v28 /*v284*/
	s_set_vgpr_msb 0                        ;  msbs: dst=0 src0=0 src1=0 src2=0
	v_lshlrev_b32_e32 v19, 4, v19
	v_lshlrev_b16 v28, 8, v18
	v_and_b32_e32 v18, 0x1f00, v18
	v_add_nc_u64_e32 v[150:151], s[22:23], v[150:151]
	v_add_nc_u64_e32 v[152:153], s[22:23], v[152:153]
	s_set_vgpr_msb 64                       ;  msbs: dst=1 src0=0 src1=0 src2=0
	v_and_b32_e32 v3 /*v259*/, 16, v19
	s_set_vgpr_msb 0                        ;  msbs: dst=0 src0=0 src1=0 src2=0
	v_add_nc_u16 v37, 0xf000, v28
	s_wait_loadcnt 0xf
	s_set_vgpr_msb 4                        ;  msbs: dst=0 src0=0 src1=1 src2=0
	v_ashrrev_i32_e32 v28, v251, v0 /*v256*/
	s_set_vgpr_msb 0                        ;  msbs: dst=0 src0=0 src1=0 src2=0
	v_add_nc_u16 v255, 0xf000, v18
	v_add_nc_u64_e32 v[18:19], s[4:5], v[148:149]
	s_set_vgpr_msb 64                       ;  msbs: dst=1 src0=0 src1=0 src2=0
	v_lshrrev_b32_e32 v0 /*v256*/, 8, v35
	s_set_vgpr_msb 0                        ;  msbs: dst=0 src0=0 src1=0 src2=0
	v_bfe_i32 v35, v35, 0, 8
	s_set_vgpr_msb 64                       ;  msbs: dst=1 src0=0 src1=0 src2=0
	v_and_b32_e32 v2 /*v258*/, 0xf0f0f0f, v28
	s_set_vgpr_msb 0                        ;  msbs: dst=0 src0=0 src1=0 src2=0
	v_add_nc_u64_e32 v[28:29], s[4:5], v[146:147]
	v_ashrrev_i16 v37, 8, v37
	s_set_vgpr_msb 0x41                     ;  msbs: dst=1 src0=1 src1=0 src2=0
	v_bfe_i32 v0 /*v256*/, v0 /*v256*/, 0, 8
	s_set_vgpr_msb 0                        ;  msbs: dst=0 src0=0 src1=0 src2=0
	v_add_nc_u64_e32 v[146:147], s[22:23], v[146:147]
	s_set_vgpr_msb 0x55                     ;  msbs: dst=1 src0=1 src1=1 src2=1
	v_or3_b32 v3 /*v259*/, v3 /*v259*/, v2 /*v258*/, v4 /*v260*/
	s_set_vgpr_msb 64                       ;  msbs: dst=1 src0=0 src1=0 src2=0
	global_load_b32 v4 /*v260*/, v[18:19], off offset:2
	global_load_u16 v8 /*v264*/, v[16:17], off
	s_wait_xcnt 0x0
	s_set_vgpr_msb 4                        ;  msbs: dst=0 src0=0 src1=1 src2=0
	v_dual_lshrrev_b32 v16, v253, v16 /*v272*/ :: v_dual_lshrrev_b32 v17, v254, v16 /*v272*/
	s_set_vgpr_msb 64                       ;  msbs: dst=1 src0=0 src1=0 src2=0
	global_load_b32 v9 /*v265*/, v[28:29], off
	s_wait_xcnt 0x0
	s_set_vgpr_msb 4                        ;  msbs: dst=0 src0=0 src1=1 src2=0
	v_lshlrev_b16 v29, 8, v3 /*v259*/
	v_cvt_f16_i16_e32 v28, v35
	s_set_vgpr_msb 1                        ;  msbs: dst=0 src0=1 src1=0 src2=0
	v_dual_lshlrev_b32 v16, 20, v16 :: v_dual_lshlrev_b32 v17, 28, v17
	v_lshrrev_b32_e32 v35, 8, v255
	v_add_nc_u16 v29, 0xf000, v29
	v_cvt_f16_i16_e64 v255, v0 /*v256*/
	s_delay_alu instid0(VALU_DEP_4)
	v_and_b32_e32 v16, 0x100000, v16
	v_and_b32_e32 v17, 0x10000000, v17
	s_set_vgpr_msb 0                        ;  msbs: dst=0 src0=0 src1=0 src2=0
	v_bfe_i32 v35, v35, 0, 8
	v_lshrrev_b16 v29, 8, v29
	v_cvt_f16_i16_e32 v37, v37
	v_pack_b32_f16 v28, v28, v255
	s_set_vgpr_msb 1                        ;  msbs: dst=0 src0=1 src1=0 src2=0
	v_or3_b32 v16, v2 /*v258*/, v16, v17
	s_set_vgpr_msb 0                        ;  msbs: dst=0 src0=0 src1=0 src2=0
	v_cvt_f16_i16_e32 v17, v35
	s_set_vgpr_msb 1                        ;  msbs: dst=0 src0=1 src1=0 src2=0
	v_bitop3_b16 v29, v3 /*v259*/, v29, 0x1f00 bitop3:0xec
	s_set_vgpr_msb 0x44                     ;  msbs: dst=1 src0=0 src1=1 src2=0
	v_mul_u32_u24_e32 v0 /*v256*/, 0x10001, v24 /*v280*/
	s_set_vgpr_msb 4                        ;  msbs: dst=0 src0=0 src1=1 src2=0
	v_pk_mul_f16 v28, v28, v5 /*v261*/
	s_set_vgpr_msb 64                       ;  msbs: dst=1 src0=0 src1=0 src2=0
	v_lshrrev_b32_e32 v16 /*v272*/, 16, v25
	s_set_vgpr_msb 16                       ;  msbs: dst=0 src0=0 src1=0 src2=1
	v_pack_b32_f16 v17, v37, v17
	v_add_nc_u16 v29, 0xf000, v29
	v_lshrrev_b32_e32 v16, 16, v16
	v_pk_fma_f16 v37, v28, v32, v1 /*v257*/
	s_set_vgpr_msb 0                        ;  msbs: dst=0 src0=0 src1=0 src2=0
	v_pk_fma_f16 v28, v28, v31, v34
	s_set_vgpr_msb 4                        ;  msbs: dst=0 src0=0 src1=1 src2=0
	v_pk_mul_f16 v17, v17, v5 /*v261*/
	s_set_vgpr_msb 0                        ;  msbs: dst=0 src0=0 src1=0 src2=0
	v_lshrrev_b32_e32 v255, 8, v29
	v_and_b32_e32 v35, 0x1f00, v16
	v_lshlrev_b16 v16, 8, v16
	v_bfe_i32 v29, v29, 0, 8
	v_add_nc_u64_e32 v[148:149], s[22:23], v[148:149]
	v_bfe_i32 v34, v255, 0, 8
	v_add_nc_u16 v35, 0xf000, v35
	v_add_nc_u16 v16, 0xf000, v16
	v_pk_fma_f16 v255, v17, v32, v33
	v_cvt_f16_i16_e32 v29, v29
	v_cvt_f16_i16_e32 v32, v34
	v_lshrrev_b32_e32 v35, 8, v35
	v_ashrrev_i16 v16, 8, v16
	v_pk_fma_f16 v34, v17, v31, v30
	s_wait_loadcnt 0x11
	s_set_vgpr_msb 4                        ;  msbs: dst=0 src0=0 src1=1 src2=0
	v_mul_u32_u24_e32 v30, 0x10001, v22 /*v278*/
	s_set_vgpr_msb 0                        ;  msbs: dst=0 src0=0 src1=0 src2=0
	v_pack_b32_f16 v17, v29, v32
	v_bfe_i32 v33, v35, 0, 8
	v_cvt_f16_i16_e32 v29, v16
	s_set_vgpr_msb 4                        ;  msbs: dst=0 src0=0 src1=1 src2=0
	v_mul_u32_u24_e32 v35, 0x10001, v15 /*v271*/
	s_set_vgpr_msb 64                       ;  msbs: dst=1 src0=0 src1=0 src2=0
	v_lshrrev_b32_e32 v15 /*v271*/, 16, v24
	v_pk_mul_f16 v1 /*v257*/, v17, v30
	s_set_vgpr_msb 0                        ;  msbs: dst=0 src0=0 src1=0 src2=0
	v_cvt_f16_i16_e32 v31, v33
	v_add_nc_u64_e32 v[32:33], s[4:5], v[144:145]
	v_add_nc_u64_e32 v[16:17], s[4:5], v[142:143]
	s_set_vgpr_msb 64                       ;  msbs: dst=1 src0=0 src1=0 src2=0
	global_load_u16 v2 /*v258*/, v[18:19], off
	global_load_b32 v3 /*v259*/, v[32:33], off offset:2
	s_wait_loadcnt 0x12
	s_wait_xcnt 0x1
	s_set_vgpr_msb 4                        ;  msbs: dst=0 src0=0 src1=1 src2=0
	v_dual_lshrrev_b32 v18, v247, v20 /*v276*/ :: v_dual_lshrrev_b32 v19, v252, v20 /*v276*/
	s_set_vgpr_msb 0                        ;  msbs: dst=0 src0=0 src1=0 src2=0
	v_pack_b32_f16 v29, v29, v31
	s_set_vgpr_msb 64                       ;  msbs: dst=1 src0=0 src1=0 src2=0
	global_load_b32 v12 /*v268*/, v[16:17], off
	s_wait_loadcnt 0x12
	s_wait_xcnt 0x0
	s_set_vgpr_msb 4                        ;  msbs: dst=0 src0=0 src1=1 src2=0
	v_ashrrev_i32_e32 v16, v251, v29 /*v285*/
	s_set_vgpr_msb 0                        ;  msbs: dst=0 src0=0 src1=0 src2=0
	v_dual_lshlrev_b32 v17, 4, v18 :: v_dual_lshlrev_b32 v18, 12, v19
	s_set_vgpr_msb 64                       ;  msbs: dst=1 src0=0 src1=0 src2=0
	v_pk_mul_f16 v5 /*v261*/, v29, v30
	s_set_vgpr_msb 1                        ;  msbs: dst=0 src0=1 src1=0 src2=0
	v_pk_fma_f16 v37, v1 /*v257*/, v35, v37
	s_set_vgpr_msb 0x45                     ;  msbs: dst=1 src0=1 src1=1 src2=0
	v_pk_fma_f16 v14 /*v270*/, v1 /*v257*/, v0 /*v256*/, v28
	s_set_vgpr_msb 0                        ;  msbs: dst=0 src0=0 src1=0 src2=0
	v_and_b32_e32 v16, 0xf0f0f0f, v16
	v_and_b32_e32 v17, 16, v17
	;; [unrolled: 1-line block ×3, first 2 shown]
	ds_load_b128 v[28:31], v246 offset:288
	s_set_vgpr_msb 0x44                     ;  msbs: dst=1 src0=0 src1=1 src2=0
	v_lshrrev_b32_e32 v1 /*v257*/, v254, v20 /*v276*/
	s_set_vgpr_msb 4                        ;  msbs: dst=0 src0=0 src1=1 src2=0
	v_lshrrev_b32_e32 v19, v253, v20 /*v276*/
	s_set_vgpr_msb 1                        ;  msbs: dst=0 src0=1 src1=0 src2=0
	v_pk_fma_f16 v255, v5 /*v261*/, v35, v255
	s_set_vgpr_msb 0                        ;  msbs: dst=0 src0=0 src1=0 src2=0
	v_or3_b32 v35, v17, v16, v18
	s_set_vgpr_msb 0x45                     ;  msbs: dst=1 src0=1 src1=1 src2=0
	v_pk_fma_f16 v5 /*v261*/, v5 /*v261*/, v0 /*v256*/, v34
	s_set_vgpr_msb 4                        ;  msbs: dst=0 src0=0 src1=1 src2=0
	v_lshlrev_b32_e32 v18, 28, v1 /*v257*/
	s_set_vgpr_msb 0                        ;  msbs: dst=0 src0=0 src1=0 src2=0
	v_lshlrev_b32_e32 v17, 20, v19
	s_set_vgpr_msb 64                       ;  msbs: dst=1 src0=0 src1=0 src2=0
	global_load_u16 v36 /*v292*/, v[32:33], off
	s_set_vgpr_msb 0                        ;  msbs: dst=0 src0=0 src1=0 src2=0
	v_lshlrev_b16 v19, 8, v35
	v_and_b32_e32 v24, 0xffff, v24
	v_and_b32_e32 v18, 0x10000000, v18
	;; [unrolled: 1-line block ×3, first 2 shown]
	s_set_vgpr_msb 64                       ;  msbs: dst=1 src0=0 src1=0 src2=0
	v_lshrrev_b32_e32 v20 /*v276*/, 16, v27
	s_set_vgpr_msb 0                        ;  msbs: dst=0 src0=0 src1=0 src2=0
	v_add_nc_u16 v19, 0xf000, v19
	v_mul_u32_u24_e32 v24, 0x10001, v24
	s_wait_loadcnt 0x11
	s_set_vgpr_msb 0x44                     ;  msbs: dst=1 src0=0 src1=1 src2=0
	v_lshrrev_b32_e32 v35 /*v291*/, v252, v31 /*v287*/
	s_set_vgpr_msb 0                        ;  msbs: dst=0 src0=0 src1=0 src2=0
	v_or3_b32 v34, v16, v17, v18
	v_and_b32_e32 v27, 0xffff, v27
	s_set_vgpr_msb 64                       ;  msbs: dst=1 src0=0 src1=0 src2=0
	v_lshrrev_b16 v0 /*v256*/, 8, v19
	s_set_vgpr_msb 0                        ;  msbs: dst=0 src0=0 src1=0 src2=0
	ds_load_b128 v[16:19], v246 offset:304
	s_wait_dscnt 0x1
	s_set_vgpr_msb 64                       ;  msbs: dst=1 src0=0 src1=0 src2=0
	v_dual_lshrrev_b32 v21 /*v277*/, 16, v28 :: v_dual_lshrrev_b32 v1 /*v257*/, 16, v34
	s_wait_loadcnt 0x10
	s_set_vgpr_msb 0x44                     ;  msbs: dst=1 src0=0 src1=1 src2=0
	v_ashrrev_i32_e32 v26 /*v282*/, v251, v26 /*v282*/
	v_bitop3_b16 v23 /*v279*/, v35, v0 /*v256*/, 0x1f00 bitop3:0xec
	v_lshlrev_b32_e32 v35 /*v291*/, 12, v35 /*v291*/
	s_set_vgpr_msb 0                        ;  msbs: dst=0 src0=0 src1=0 src2=0
	v_add_nc_u64_e32 v[34:35], s[4:5], v[140:141]
	s_set_vgpr_msb 0x44                     ;  msbs: dst=1 src0=0 src1=1 src2=0
	v_lshlrev_b16 v28 /*v284*/, 8, v1 /*v257*/
	v_and_b32_e32 v29 /*v285*/, 0x1f00, v1 /*v257*/
	s_set_vgpr_msb 64                       ;  msbs: dst=1 src0=0 src1=0 src2=0
	v_add_nc_u64_e32 v[0:1] /*v[256:257]*/, s[4:5], v[138:139]
	s_set_vgpr_msb 0x44                     ;  msbs: dst=1 src0=0 src1=1 src2=0
	v_add_nc_u16 v23 /*v279*/, 0xf000, v23 /*v279*/
	s_wait_xcnt 0x0
	s_set_vgpr_msb 4                        ;  msbs: dst=0 src0=0 src1=1 src2=0
	v_and_b32_e32 v32, 0xf0f0f0f, v26 /*v282*/
	s_set_vgpr_msb 0x44                     ;  msbs: dst=1 src0=0 src1=1 src2=0
	v_and_b32_e32 v26 /*v282*/, 0x1000, v35 /*v291*/
	v_add_nc_u16 v29 /*v285*/, 0xf000, v29 /*v285*/
	v_add_nc_u16 v28 /*v284*/, 0xf000, v28 /*v284*/
	v_lshrrev_b32_e32 v34 /*v290*/, 8, v23 /*v279*/
	s_set_vgpr_msb 0x41                     ;  msbs: dst=1 src0=1 src1=0 src2=0
	global_load_b32 v0 /*v256*/, v[0:1] /*v[256:257]*/, off
	s_wait_xcnt 0x0
	s_set_vgpr_msb 0x44                     ;  msbs: dst=1 src0=0 src1=1 src2=0
	v_mul_u32_u24_e32 v1 /*v257*/, 0x10001, v30 /*v286*/
	v_lshrrev_b32_e32 v30 /*v286*/, v247, v31 /*v287*/
	s_set_vgpr_msb 0x41                     ;  msbs: dst=1 src0=1 src1=0 src2=0
	v_bfe_i32 v23 /*v279*/, v23 /*v279*/, 0, 8
	v_bfe_i32 v34 /*v290*/, v34 /*v290*/, 0, 8
	s_set_vgpr_msb 0x44                     ;  msbs: dst=1 src0=0 src1=1 src2=0
	v_lshrrev_b32_e32 v29 /*v285*/, 8, v29 /*v285*/
	s_set_vgpr_msb 0                        ;  msbs: dst=0 src0=0 src1=0 src2=0
	v_and_b32_e32 v28, 0xffff, v28
	s_set_vgpr_msb 0x44                     ;  msbs: dst=1 src0=0 src1=1 src2=0
	v_lshlrev_b32_e32 v30 /*v286*/, 4, v30 /*v286*/
	s_set_vgpr_msb 0x41                     ;  msbs: dst=1 src0=1 src1=0 src2=0
	v_cvt_f16_i16_e64 v23 /*v279*/, v23 /*v279*/
	s_set_vgpr_msb 0x44                     ;  msbs: dst=1 src0=0 src1=1 src2=0
	global_load_b32 v33 /*v289*/, v[34:35], off offset:2
	v_mul_u32_u24_e32 v21 /*v277*/, 0x10001, v21 /*v277*/
	s_set_vgpr_msb 0                        ;  msbs: dst=0 src0=0 src1=0 src2=0
	v_mul_u32_u24_e32 v28, 0x10001, v28
	s_set_vgpr_msb 4                        ;  msbs: dst=0 src0=0 src1=1 src2=0
	v_and_b32_e32 v33, 16, v30 /*v286*/
	s_set_vgpr_msb 0x41                     ;  msbs: dst=1 src0=1 src1=0 src2=0
	v_cvt_f16_i16_e64 v30 /*v286*/, v34 /*v290*/
	s_set_vgpr_msb 0x44                     ;  msbs: dst=1 src0=0 src1=1 src2=0
	v_dual_lshrrev_b32 v34 /*v290*/, v253, v31 /*v287*/ :: v_dual_lshrrev_b32 v31 /*v287*/, v254, v31 /*v287*/
	s_set_vgpr_msb 64                       ;  msbs: dst=1 src0=0 src1=0 src2=0
	v_dual_lshrrev_b32 v22 /*v278*/, 16, v29 :: v_dual_lshrrev_b32 v24 /*v280*/, 16, v30
	s_set_vgpr_msb 16                       ;  msbs: dst=0 src0=0 src1=0 src2=1
	v_or3_b32 v33, v33, v32, v26 /*v282*/
	s_set_vgpr_msb 0x44                     ;  msbs: dst=1 src0=0 src1=1 src2=0
	v_ashrrev_i16 v26 /*v282*/, 8, v28 /*v284*/
	s_set_vgpr_msb 0x41                     ;  msbs: dst=1 src0=1 src1=0 src2=0
	v_bfe_i32 v28 /*v284*/, v29 /*v285*/, 0, 8
	s_set_vgpr_msb 0x45                     ;  msbs: dst=1 src0=1 src1=1 src2=0
	v_lshlrev_b32_e32 v29 /*v285*/, 20, v34 /*v290*/
	v_pack_b32_f16 v23 /*v279*/, v23 /*v279*/, v30 /*v286*/
	s_set_vgpr_msb 64                       ;  msbs: dst=1 src0=0 src1=0 src2=0
	v_lshlrev_b16 v34 /*v290*/, 8, v33
	s_set_vgpr_msb 0x44                     ;  msbs: dst=1 src0=0 src1=1 src2=0
	v_lshlrev_b32_e32 v31 /*v287*/, 28, v31 /*v287*/
	s_set_vgpr_msb 0x45                     ;  msbs: dst=1 src0=1 src1=1 src2=0
	v_cvt_f16_i16_e64 v26 /*v282*/, v26 /*v282*/
	v_cvt_f16_i16_e64 v28 /*v284*/, v28 /*v284*/
	v_pk_mul_f16 v23 /*v279*/, v23 /*v279*/, v1 /*v257*/
	v_add_nc_u16 v34 /*v290*/, 0xf000, v34 /*v290*/
	v_and_b32_e32 v29 /*v285*/, 0x100000, v29 /*v285*/
	s_set_vgpr_msb 0                        ;  msbs: dst=0 src0=0 src1=0 src2=0
	v_and_b32_e32 v29, 0xffff, v29
	s_set_vgpr_msb 0x45                     ;  msbs: dst=1 src0=1 src1=1 src2=0
	v_pack_b32_f16 v26 /*v282*/, v26 /*v282*/, v28 /*v284*/
	s_set_vgpr_msb 1                        ;  msbs: dst=0 src0=1 src1=0 src2=0
	v_pk_fma_f16 v37, v23 /*v279*/, v24, v37
	s_set_vgpr_msb 0x44                     ;  msbs: dst=1 src0=0 src1=1 src2=0
	v_lshrrev_b16 v28 /*v284*/, 8, v34 /*v290*/
	s_set_vgpr_msb 0x51                     ;  msbs: dst=1 src0=1 src1=0 src2=1
	v_pk_fma_f16 v14 /*v270*/, v23 /*v279*/, v28, v14 /*v270*/
	s_wait_loadcnt 0x11
	s_set_vgpr_msb 0x44                     ;  msbs: dst=1 src0=0 src1=1 src2=0
	v_lshrrev_b32_e32 v23 /*v279*/, v252, v25 /*v281*/
	v_and_b32_e32 v31 /*v287*/, 0x10000000, v31 /*v287*/
	s_set_vgpr_msb 0x45                     ;  msbs: dst=1 src0=1 src1=1 src2=0
	v_pk_mul_f16 v1 /*v257*/, v26 /*v282*/, v1 /*v257*/
	s_set_vgpr_msb 4                        ;  msbs: dst=0 src0=0 src1=1 src2=0
	v_bitop3_b16 v33, v33, v28 /*v284*/, 0x1f00 bitop3:0xec
	s_set_vgpr_msb 0                        ;  msbs: dst=0 src0=0 src1=0 src2=0
	v_mul_u32_u24_e32 v29, 0x10001, v29
	s_set_vgpr_msb 0x44                     ;  msbs: dst=1 src0=0 src1=1 src2=0
	v_lshlrev_b32_e32 v23 /*v279*/, 12, v23 /*v279*/
	s_set_vgpr_msb 20                       ;  msbs: dst=0 src0=0 src1=1 src2=1
	v_or3_b32 v32, v32, v29 /*v285*/, v31 /*v287*/
	s_set_vgpr_msb 1                        ;  msbs: dst=0 src0=1 src1=0 src2=0
	v_pk_fma_f16 v24, v1 /*v257*/, v24, v255
	v_add_nc_u16 v33, 0xf000, v33
	s_set_vgpr_msb 64                       ;  msbs: dst=1 src0=0 src1=0 src2=0
	v_lshrrev_b32_e32 v32 /*v288*/, 16, v31
	s_set_vgpr_msb 17                       ;  msbs: dst=0 src0=1 src1=0 src2=1
	v_pk_fma_f16 v28, v1 /*v257*/, v28, v5 /*v261*/
	v_lshrrev_b32_e32 v32, 16, v32
	s_set_vgpr_msb 0x44                     ;  msbs: dst=1 src0=0 src1=1 src2=0
	v_mul_u32_u24_e32 v1 /*v257*/, 0x10001, v15 /*v271*/
	s_set_vgpr_msb 64                       ;  msbs: dst=1 src0=0 src1=0 src2=0
	v_lshrrev_b32_e32 v5 /*v261*/, 8, v33
	s_set_vgpr_msb 0                        ;  msbs: dst=0 src0=0 src1=0 src2=0
	v_bfe_i32 v33, v33, 0, 8
	s_set_vgpr_msb 64                       ;  msbs: dst=1 src0=0 src1=0 src2=0
	global_load_u16 v29 /*v285*/, v[34:35], off
	s_set_vgpr_msb 0                        ;  msbs: dst=0 src0=0 src1=0 src2=0
	v_lshlrev_b16 v255, 8, v32
	v_and_b32_e32 v32, 0x1f00, v32
	s_set_vgpr_msb 0x41                     ;  msbs: dst=1 src0=1 src1=0 src2=0
	v_bfe_i32 v5 /*v261*/, v5 /*v261*/, 0, 8
	s_wait_xcnt 0x0
	s_set_vgpr_msb 0                        ;  msbs: dst=0 src0=0 src1=0 src2=0
	v_add_nc_u64_e32 v[34:35], s[4:5], v[134:135]
	s_set_vgpr_msb 64                       ;  msbs: dst=1 src0=0 src1=0 src2=0
	v_cvt_f16_i16_e64 v26 /*v282*/, v33
	s_set_vgpr_msb 0                        ;  msbs: dst=0 src0=0 src1=0 src2=0
	v_add_nc_u16 v255, 0xf000, v255
	s_set_vgpr_msb 64                       ;  msbs: dst=1 src0=0 src1=0 src2=0
	v_add_nc_u16 v15 /*v271*/, 0xf000, v32
	s_set_vgpr_msb 4                        ;  msbs: dst=0 src0=0 src1=1 src2=0
	v_lshrrev_b32_e32 v32, v247, v25 /*v281*/
	s_set_vgpr_msb 0x41                     ;  msbs: dst=1 src0=1 src1=0 src2=0
	v_cvt_f16_i16_e64 v5 /*v261*/, v5 /*v261*/
	s_wait_loadcnt 0x10
	s_set_vgpr_msb 0x44                     ;  msbs: dst=1 src0=0 src1=1 src2=0
	v_mul_u32_u24_e32 v11 /*v267*/, 0x10001, v11 /*v267*/
	s_set_vgpr_msb 0                        ;  msbs: dst=0 src0=0 src1=0 src2=0
	v_and_b32_e32 v30, 0xffff, v30
	s_set_vgpr_msb 0x44                     ;  msbs: dst=1 src0=0 src1=1 src2=0
	v_lshrrev_b32_e32 v15 /*v271*/, 8, v15 /*v271*/
	s_set_vgpr_msb 64                       ;  msbs: dst=1 src0=0 src1=0 src2=0
	v_lshlrev_b32_e32 v28 /*v284*/, 4, v32
	s_set_vgpr_msb 0x44                     ;  msbs: dst=1 src0=0 src1=1 src2=0
	v_ashrrev_i32_e32 v27 /*v283*/, v251, v27 /*v283*/
	s_set_vgpr_msb 0x45                     ;  msbs: dst=1 src0=1 src1=1 src2=0
	v_pack_b32_f16 v5 /*v261*/, v26 /*v282*/, v5 /*v261*/
	s_set_vgpr_msb 64                       ;  msbs: dst=1 src0=0 src1=0 src2=0
	global_load_b32 v26 /*v282*/, v[34:35], off
	s_wait_xcnt 0x0
	s_set_vgpr_msb 0                        ;  msbs: dst=0 src0=0 src1=0 src2=0
	v_ashrrev_i16 v34, 8, v255
	s_set_vgpr_msb 0x44                     ;  msbs: dst=1 src0=0 src1=1 src2=0
	v_and_b32_e32 v28 /*v284*/, 16, v28 /*v284*/
	v_and_b32_e32 v27 /*v283*/, 0xf0f0f0f, v27 /*v283*/
	s_set_vgpr_msb 1                        ;  msbs: dst=0 src0=1 src1=0 src2=0
	v_bfe_i32 v255, v15 /*v271*/, 0, 8
	s_set_vgpr_msb 0x44                     ;  msbs: dst=1 src0=0 src1=1 src2=0
	v_lshrrev_b32_e32 v15 /*v271*/, v253, v25 /*v281*/
	v_and_b32_e32 v23 /*v279*/, 0x1000, v23 /*v279*/
	v_lshrrev_b32_e32 v25 /*v281*/, v254, v25 /*v281*/
	s_set_vgpr_msb 0                        ;  msbs: dst=0 src0=0 src1=0 src2=0
	v_cvt_f16_i16_e32 v34, v34
	v_cvt_f16_i16_e64 v255, v255
	s_set_vgpr_msb 0x55                     ;  msbs: dst=1 src0=1 src1=1 src2=1
	v_lshlrev_b32_e32 v15 /*v271*/, 20, v15 /*v271*/
	v_or3_b32 v23 /*v279*/, v28 /*v284*/, v27 /*v283*/, v23 /*v279*/
	v_lshlrev_b32_e32 v25 /*v281*/, 28, v25 /*v281*/
	s_set_vgpr_msb 0                        ;  msbs: dst=0 src0=0 src1=0 src2=0
	v_add_nc_u64_e32 v[32:33], s[4:5], v[136:137]
	v_pack_b32_f16 v34, v34, v255
	s_set_vgpr_msb 4                        ;  msbs: dst=0 src0=0 src1=1 src2=0
	v_and_b32_e32 v255, 0x100000, v15 /*v271*/
	v_lshlrev_b16 v35, 8, v23 /*v279*/
	s_set_vgpr_msb 0x45                     ;  msbs: dst=1 src0=1 src1=1 src2=0
	v_and_b32_e32 v15 /*v271*/, 0x10000000, v25 /*v281*/
	v_pk_mul_f16 v5 /*v261*/, v5 /*v261*/, v11 /*v267*/
	s_set_vgpr_msb 4                        ;  msbs: dst=0 src0=0 src1=1 src2=0
	v_pk_mul_f16 v34, v34, v11 /*v267*/
	s_set_vgpr_msb 64                       ;  msbs: dst=1 src0=0 src1=0 src2=0
	s_clause 0x1
	global_load_b32 v30 /*v286*/, v[32:33], off offset:2
	global_load_u16 v28 /*v284*/, v[32:33], off
	s_set_vgpr_msb 17                       ;  msbs: dst=0 src0=1 src1=0 src2=1
	v_add_nc_u16 v35, 0xf000, v35
	v_or3_b32 v255, v27 /*v283*/, v255, v15 /*v271*/
	s_set_vgpr_msb 5                        ;  msbs: dst=0 src0=1 src1=1 src2=0
	v_pk_fma_f16 v37, v5 /*v261*/, v1 /*v257*/, v37
	s_set_vgpr_msb 0x44                     ;  msbs: dst=1 src0=0 src1=1 src2=0
	v_pk_fma_f16 v1 /*v257*/, v34, v1 /*v257*/, v24
	s_set_vgpr_msb 0                        ;  msbs: dst=0 src0=0 src1=0 src2=0
	v_and_b32_e32 v24, 0xffff, v25
	v_lshrrev_b16 v35, 8, v35
	v_lshrrev_b32_e32 v25, 16, v255
	s_set_vgpr_msb 0x55                     ;  msbs: dst=1 src0=1 src1=1 src2=1
	v_pk_fma_f16 v5 /*v261*/, v5 /*v261*/, v21 /*v277*/, v14 /*v270*/
	s_set_vgpr_msb 4                        ;  msbs: dst=0 src0=0 src1=1 src2=0
	v_pk_fma_f16 v28, v34, v21 /*v277*/, v28
	s_set_vgpr_msb 1                        ;  msbs: dst=0 src0=1 src1=0 src2=0
	v_mul_u32_u24_e32 v255, 0x10001, v24
	v_bitop3_b16 v35, v23 /*v279*/, v35, 0x1f00 bitop3:0xec
	s_set_vgpr_msb 64                       ;  msbs: dst=1 src0=0 src1=0 src2=0
	v_and_b32_e32 v14 /*v270*/, 0x1f00, v25
	s_wait_loadcnt 0x11
	s_set_vgpr_msb 0x44                     ;  msbs: dst=1 src0=0 src1=1 src2=0
	v_dual_ashrrev_i32 v18 /*v274*/, v251, v18 /*v274*/ :: v_dual_lshrrev_b32 v21 /*v277*/, v252, v13 /*v269*/
	s_set_vgpr_msb 0                        ;  msbs: dst=0 src0=0 src1=0 src2=0
	v_mul_u32_u24_e32 v30, 0x10001, v30
	v_add_nc_u16 v35, 0xf000, v35
	s_wait_xcnt 0x0
	s_set_vgpr_msb 4                        ;  msbs: dst=0 src0=0 src1=1 src2=0
	v_add_nc_u16 v33, 0xf000, v14 /*v270*/
	s_set_vgpr_msb 0x44                     ;  msbs: dst=1 src0=0 src1=1 src2=0
	v_and_b32_e32 v18 /*v274*/, 0xf0f0f0f, v18 /*v274*/
	s_set_vgpr_msb 0                        ;  msbs: dst=0 src0=0 src1=0 src2=0
	v_add_nc_u64_e32 v[134:135], s[22:23], v[134:135]
	v_add_nc_u64_e32 v[136:137], s[22:23], v[136:137]
	v_dual_lshrrev_b32 v34, 8, v35 :: v_dual_lshrrev_b32 v33, 8, v33
	s_set_vgpr_msb 64                       ;  msbs: dst=1 src0=0 src1=0 src2=0
	v_lshlrev_b16 v11 /*v267*/, 8, v25
	s_set_vgpr_msb 0                        ;  msbs: dst=0 src0=0 src1=0 src2=0
	v_add_nc_u64_e32 v[24:25], s[4:5], v[132:133]
	v_bfe_i32 v35, v35, 0, 8
	v_bfe_i32 v34, v34, 0, 8
	;; [unrolled: 1-line block ×3, first 2 shown]
	v_add_nc_u64_e32 v[132:133], s[22:23], v[132:133]
	v_add_nc_u64_e32 v[138:139], s[22:23], v[138:139]
	s_set_vgpr_msb 64                       ;  msbs: dst=1 src0=0 src1=0 src2=0
	v_cvt_f16_i16_e64 v15 /*v271*/, v35
	global_load_b32 v27 /*v283*/, v[24:25], off offset:2
	s_set_vgpr_msb 4                        ;  msbs: dst=0 src0=0 src1=1 src2=0
	v_lshrrev_b32_e32 v35, v247, v13 /*v269*/
	s_set_vgpr_msb 64                       ;  msbs: dst=1 src0=0 src1=0 src2=0
	v_cvt_f16_i16_e64 v23 /*v279*/, v34
	s_set_vgpr_msb 0                        ;  msbs: dst=0 src0=0 src1=0 src2=0
	v_cvt_f16_i16_e32 v33, v33
	v_add_nc_u64_e32 v[140:141], s[22:23], v[140:141]
	v_add_nc_u64_e32 v[142:143], s[22:23], v[142:143]
	s_set_vgpr_msb 64                       ;  msbs: dst=1 src0=0 src1=0 src2=0
	v_lshlrev_b32_e32 v25 /*v281*/, 4, v35
	s_set_vgpr_msb 0x45                     ;  msbs: dst=1 src0=1 src1=1 src2=0
	v_pack_b32_f16 v14 /*v270*/, v15 /*v271*/, v23 /*v279*/
	s_set_vgpr_msb 0x44                     ;  msbs: dst=1 src0=0 src1=1 src2=0
	v_dual_lshrrev_b32 v15 /*v271*/, v253, v13 /*v269*/ :: v_dual_lshrrev_b32 v13 /*v269*/, v254, v13 /*v269*/
	v_lshlrev_b32_e32 v21 /*v277*/, 12, v21 /*v277*/
	v_and_b32_e32 v25 /*v281*/, 16, v25 /*v281*/
	s_set_vgpr_msb 0                        ;  msbs: dst=0 src0=0 src1=0 src2=0
	v_add_nc_u64_e32 v[34:35], s[4:5], v[130:131]
	s_set_vgpr_msb 0x44                     ;  msbs: dst=1 src0=0 src1=1 src2=0
	v_dual_lshlrev_b32 v15 /*v271*/, 20, v15 /*v271*/ :: v_dual_lshlrev_b32 v13 /*v269*/, 28, v13 /*v269*/
	s_set_vgpr_msb 4                        ;  msbs: dst=0 src0=0 src1=1 src2=0
	v_and_b32_e32 v32, 0x1000, v21 /*v277*/
	s_wait_loadcnt 0x10
	s_set_vgpr_msb 0x44                     ;  msbs: dst=1 src0=0 src1=1 src2=0
	v_mul_u32_u24_e32 v6 /*v262*/, 0x10001, v6 /*v262*/
	s_set_vgpr_msb 0                        ;  msbs: dst=0 src0=0 src1=0 src2=0
	v_add_nc_u64_e32 v[130:131], s[22:23], v[130:131]
	s_set_vgpr_msb 0x44                     ;  msbs: dst=1 src0=0 src1=1 src2=0
	v_and_b32_e32 v15 /*v271*/, 0x100000, v15 /*v271*/
	s_set_vgpr_msb 0                        ;  msbs: dst=0 src0=0 src1=0 src2=0
	global_load_b32 v34, v[34:35], off
	s_set_vgpr_msb 5                        ;  msbs: dst=0 src0=1 src1=1 src2=0
	v_or3_b32 v32, v25 /*v281*/, v18 /*v274*/, v32
	s_wait_xcnt 0x0
	v_add_nc_u16 v35, 0xf000, v11 /*v267*/
	s_set_vgpr_msb 0x44                     ;  msbs: dst=1 src0=0 src1=1 src2=0
	v_mul_u32_u24_e32 v11 /*v267*/, 0x10001, v17 /*v273*/
	s_set_vgpr_msb 0                        ;  msbs: dst=0 src0=0 src1=0 src2=0
	v_add_nc_u64_e32 v[144:145], s[22:23], v[144:145]
	s_set_vgpr_msb 64                       ;  msbs: dst=1 src0=0 src1=0 src2=0
	v_lshlrev_b16 v17 /*v273*/, 8, v32
	s_set_vgpr_msb 0                        ;  msbs: dst=0 src0=0 src1=0 src2=0
	v_ashrrev_i16 v35, 8, v35
	s_wait_loadcnt 0x10
	s_set_vgpr_msb 0x44                     ;  msbs: dst=1 src0=0 src1=1 src2=0
	v_ashrrev_i32_e32 v10 /*v266*/, v251, v10 /*v266*/
	v_and_b32_e32 v13 /*v269*/, 0x10000000, v13 /*v269*/
	v_add_nc_u16 v17 /*v273*/, 0xf000, v17 /*v273*/
	s_set_vgpr_msb 0                        ;  msbs: dst=0 src0=0 src1=0 src2=0
	v_cvt_f16_i16_e32 v35, v35
	s_set_vgpr_msb 0x55                     ;  msbs: dst=1 src0=1 src1=1 src2=1
	v_and_b32_e32 v10 /*v266*/, 0xf0f0f0f, v10 /*v266*/
	v_or3_b32 v13 /*v269*/, v18 /*v274*/, v15 /*v271*/, v13 /*v269*/
	v_lshrrev_b16 v17 /*v273*/, 8, v17 /*v273*/
	s_set_vgpr_msb 0                        ;  msbs: dst=0 src0=0 src1=0 src2=0
	v_pack_b32_f16 v33, v35, v33
	s_set_vgpr_msb 5                        ;  msbs: dst=0 src0=1 src1=1 src2=0
	v_pk_mul_f16 v35, v14 /*v270*/, v11 /*v267*/
	s_set_vgpr_msb 4                        ;  msbs: dst=0 src0=0 src1=1 src2=0
	v_bitop3_b16 v32, v32, v17 /*v273*/, 0x1f00 bitop3:0xec
	v_pk_mul_f16 v33, v33, v11 /*v267*/
	s_set_vgpr_msb 0x44                     ;  msbs: dst=1 src0=0 src1=1 src2=0
	v_lshrrev_b32_e32 v11 /*v267*/, 16, v13 /*v269*/
	s_set_vgpr_msb 0                        ;  msbs: dst=0 src0=0 src1=0 src2=0
	v_pk_fma_f16 v37, v35, v255, v37
	s_set_vgpr_msb 16                       ;  msbs: dst=0 src0=0 src1=0 src2=1
	v_pk_fma_f16 v35, v35, v29, v5 /*v261*/
	v_add_nc_u16 v32, 0xf000, v32
	v_pk_fma_f16 v255, v33, v255, v1 /*v257*/
	s_set_vgpr_msb 64                       ;  msbs: dst=1 src0=0 src1=0 src2=0
	v_pk_fma_f16 v1 /*v257*/, v33, v29, v28
	s_set_vgpr_msb 4                        ;  msbs: dst=0 src0=0 src1=1 src2=0
	v_lshlrev_b16 v28, 8, v11 /*v267*/
	v_and_b32_e32 v33, 0x1f00, v11 /*v267*/
	s_set_vgpr_msb 0                        ;  msbs: dst=0 src0=0 src1=0 src2=0
	v_lshrrev_b32_e32 v29, 8, v32
	v_bfe_i32 v32, v32, 0, 8
	s_set_vgpr_msb 0x44                     ;  msbs: dst=1 src0=0 src1=1 src2=0
	v_mul_u32_u24_e32 v5 /*v261*/, 0x10001, v16 /*v272*/
	s_set_vgpr_msb 64                       ;  msbs: dst=1 src0=0 src1=0 src2=0
	v_add_nc_u16 v13 /*v269*/, 0xf000, v28
	v_add_nc_u16 v15 /*v271*/, 0xf000, v33
	v_bfe_i32 v14 /*v270*/, v29, 0, 8
	s_set_vgpr_msb 0                        ;  msbs: dst=0 src0=0 src1=0 src2=0
	v_add_nc_u64_e32 v[28:29], s[4:5], v[128:129]
	s_set_vgpr_msb 64                       ;  msbs: dst=1 src0=0 src1=0 src2=0
	v_cvt_f16_i16_e64 v16 /*v272*/, v32
	s_set_vgpr_msb 0                        ;  msbs: dst=0 src0=0 src1=0 src2=0
	v_add_nc_u64_e32 v[32:33], s[4:5], v[126:127]
	s_wait_loadcnt 0xf
	s_set_vgpr_msb 0x44                     ;  msbs: dst=1 src0=0 src1=1 src2=0
	v_lshrrev_b32_e32 v17 /*v273*/, v247, v7 /*v263*/
	global_load_u16 v18 /*v274*/, v[24:25], off
	global_load_b32 v21 /*v277*/, v[28:29], off offset:2
	s_wait_xcnt 0x1
	s_set_vgpr_msb 4                        ;  msbs: dst=0 src0=0 src1=1 src2=0
	v_lshrrev_b32_e32 v24, v252, v7 /*v263*/
	v_lshrrev_b32_e32 v25, 8, v15 /*v271*/
	s_set_vgpr_msb 64                       ;  msbs: dst=1 src0=0 src1=0 src2=0
	global_load_b32 v15 /*v271*/, v[32:33], off
	s_wait_xcnt 0x0
	s_set_vgpr_msb 4                        ;  msbs: dst=0 src0=0 src1=1 src2=0
	v_lshlrev_b32_e32 v32, 4, v17 /*v273*/
	v_ashrrev_i16 v33, 8, v13 /*v269*/
	s_set_vgpr_msb 0                        ;  msbs: dst=0 src0=0 src1=0 src2=0
	v_lshlrev_b32_e32 v24, 12, v24
	v_bfe_i32 v25, v25, 0, 8
	s_set_vgpr_msb 0x41                     ;  msbs: dst=1 src0=1 src1=0 src2=0
	v_cvt_f16_i16_e64 v14 /*v270*/, v14 /*v270*/
	s_set_vgpr_msb 0                        ;  msbs: dst=0 src0=0 src1=0 src2=0
	v_and_b32_e32 v32, 16, v32
	v_cvt_f16_i16_e32 v33, v33
	v_and_b32_e32 v24, 0x1000, v24
	v_cvt_f16_i16_e32 v25, v25
	s_set_vgpr_msb 0x44                     ;  msbs: dst=1 src0=0 src1=1 src2=0
	v_dual_lshrrev_b32 v13 /*v269*/, v253, v7 /*v263*/ :: v_dual_lshrrev_b32 v7 /*v263*/, v254, v7 /*v263*/
	v_mul_u32_u24_e32 v11 /*v267*/, 0x10001, v22 /*v278*/
	s_set_vgpr_msb 4                        ;  msbs: dst=0 src0=0 src1=1 src2=0
	v_or3_b32 v32, v32, v10 /*v266*/, v24
	s_set_vgpr_msb 5                        ;  msbs: dst=0 src0=1 src1=1 src2=0
	v_pack_b32_f16 v24, v16 /*v272*/, v14 /*v270*/
	s_set_vgpr_msb 0                        ;  msbs: dst=0 src0=0 src1=0 src2=0
	v_pack_b32_f16 v25, v33, v25
	s_set_vgpr_msb 4                        ;  msbs: dst=0 src0=0 src1=1 src2=0
	v_lshlrev_b32_e32 v33, 20, v13 /*v269*/
	s_set_vgpr_msb 0x44                     ;  msbs: dst=1 src0=0 src1=1 src2=0
	v_lshlrev_b32_e32 v7 /*v263*/, 28, v7 /*v263*/
	s_set_vgpr_msb 64                       ;  msbs: dst=1 src0=0 src1=0 src2=0
	v_lshlrev_b16 v13 /*v269*/, 8, v32
	s_set_vgpr_msb 4                        ;  msbs: dst=0 src0=0 src1=1 src2=0
	v_pk_mul_f16 v24, v24, v6 /*v262*/
	s_set_vgpr_msb 0x44                     ;  msbs: dst=1 src0=0 src1=1 src2=0
	v_pk_mul_f16 v6 /*v262*/, v25, v6 /*v262*/
	s_set_vgpr_msb 0                        ;  msbs: dst=0 src0=0 src1=0 src2=0
	v_and_b32_e32 v25, 0x100000, v33
	s_set_vgpr_msb 4                        ;  msbs: dst=0 src0=0 src1=1 src2=0
	v_and_b32_e32 v33, 0x10000000, v7 /*v263*/
	s_set_vgpr_msb 0x44                     ;  msbs: dst=1 src0=0 src1=1 src2=0
	v_add_nc_u16 v7 /*v263*/, 0xf000, v13 /*v269*/
	s_set_vgpr_msb 4                        ;  msbs: dst=0 src0=0 src1=1 src2=0
	v_pk_fma_f16 v37, v24, v5 /*v261*/, v37
	v_pk_fma_f16 v35, v24, v11 /*v267*/, v35
	s_set_vgpr_msb 5                        ;  msbs: dst=0 src0=1 src1=1 src2=0
	v_pk_fma_f16 v255, v6 /*v262*/, v5 /*v261*/, v255
	s_set_vgpr_msb 1                        ;  msbs: dst=0 src0=1 src1=0 src2=0
	v_or3_b32 v33, v10 /*v266*/, v25, v33
	v_add_nc_u64_e32 v[24:25], s[4:5], v[124:125]
	s_set_vgpr_msb 0x55                     ;  msbs: dst=1 src0=1 src1=1 src2=1
	v_lshrrev_b16 v5 /*v261*/, 8, v7 /*v263*/
	v_pk_fma_f16 v1 /*v257*/, v6 /*v262*/, v11 /*v267*/, v1 /*v257*/
	s_wait_loadcnt 0x11
	s_set_vgpr_msb 0x44                     ;  msbs: dst=1 src0=0 src1=1 src2=0
	v_lshrrev_b32_e32 v13 /*v269*/, v252, v4 /*v260*/
	s_set_vgpr_msb 64                       ;  msbs: dst=1 src0=0 src1=0 src2=0
	v_lshrrev_b32_e32 v6 /*v262*/, 16, v33
	global_load_u16 v14 /*v270*/, v[28:29], off
	s_set_vgpr_msb 0x44                     ;  msbs: dst=1 src0=0 src1=1 src2=0
	v_bitop3_b16 v5 /*v261*/, v32, v5 /*v261*/, 0x1f00 bitop3:0xec
	global_load_b32 v7 /*v263*/, v[24:25], off offset:2
	s_set_vgpr_msb 0                        ;  msbs: dst=0 src0=0 src1=0 src2=0
	v_add_nc_u64_e32 v[32:33], s[4:5], v[122:123]
	s_set_vgpr_msb 0x44                     ;  msbs: dst=1 src0=0 src1=1 src2=0
	v_lshlrev_b16 v10 /*v266*/, 8, v6 /*v262*/
	v_and_b32_e32 v6 /*v262*/, 0x1f00, v6 /*v262*/
	v_add_nc_u16 v5 /*v261*/, 0xf000, v5 /*v261*/
	s_wait_xcnt 0x1
	s_set_vgpr_msb 4                        ;  msbs: dst=0 src0=0 src1=1 src2=0
	v_lshlrev_b32_e32 v28, 12, v13 /*v269*/
	s_wait_loadcnt 0x12
	s_set_vgpr_msb 0x44                     ;  msbs: dst=1 src0=0 src1=1 src2=0
	v_mul_u32_u24_e32 v8 /*v264*/, 0x10001, v8 /*v264*/
	s_set_vgpr_msb 0                        ;  msbs: dst=0 src0=0 src1=0 src2=0
	v_add_nc_u64_e32 v[122:123], s[22:23], v[122:123]
	s_set_vgpr_msb 64                       ;  msbs: dst=1 src0=0 src1=0 src2=0
	global_load_b32 v11 /*v267*/, v[32:33], off
	s_wait_xcnt 0x0
	s_set_vgpr_msb 4                        ;  msbs: dst=0 src0=0 src1=1 src2=0
	v_add_nc_u16 v32, 0xf000, v10 /*v266*/
	s_set_vgpr_msb 0x44                     ;  msbs: dst=1 src0=0 src1=1 src2=0
	v_lshrrev_b32_e32 v10 /*v266*/, v247, v4 /*v260*/
	v_add_nc_u16 v6 /*v262*/, 0xf000, v6 /*v262*/
	s_wait_loadcnt 0x12
	v_ashrrev_i32_e32 v9 /*v265*/, v251, v9 /*v265*/
	s_set_vgpr_msb 4                        ;  msbs: dst=0 src0=0 src1=1 src2=0
	v_lshrrev_b32_e32 v33, 8, v5 /*v261*/
	s_set_vgpr_msb 1                        ;  msbs: dst=0 src0=1 src1=0 src2=0
	v_bfe_i32 v29, v5 /*v261*/, 0, 8
	s_set_vgpr_msb 0x44                     ;  msbs: dst=1 src0=0 src1=1 src2=0
	v_lshlrev_b32_e32 v10 /*v266*/, 4, v10 /*v266*/
	v_lshrrev_b32_e32 v5 /*v261*/, 8, v6 /*v262*/
	v_and_b32_e32 v6 /*v262*/, 0xf0f0f0f, v9 /*v265*/
	s_set_vgpr_msb 0                        ;  msbs: dst=0 src0=0 src1=0 src2=0
	v_and_b32_e32 v28, 0x1000, v28
	v_bfe_i32 v33, v33, 0, 8
	s_set_vgpr_msb 0x44                     ;  msbs: dst=1 src0=0 src1=1 src2=0
	v_and_b32_e32 v9 /*v265*/, 16, v10 /*v266*/
	s_set_vgpr_msb 0                        ;  msbs: dst=0 src0=0 src1=0 src2=0
	v_ashrrev_i16 v32, 8, v32
	v_cvt_f16_i16_e32 v29, v29
	v_add_nc_u64_e32 v[124:125], s[22:23], v[124:125]
	v_cvt_f16_i16_e32 v33, v33
	s_set_vgpr_msb 5                        ;  msbs: dst=0 src0=1 src1=1 src2=0
	v_or3_b32 v28, v9 /*v265*/, v6 /*v262*/, v28
	s_set_vgpr_msb 0x44                     ;  msbs: dst=1 src0=0 src1=1 src2=0
	v_lshrrev_b32_e32 v9 /*v265*/, v253, v4 /*v260*/
	s_set_vgpr_msb 0x41                     ;  msbs: dst=1 src0=1 src1=0 src2=0
	v_bfe_i32 v5 /*v261*/, v5 /*v261*/, 0, 8
	s_set_vgpr_msb 0                        ;  msbs: dst=0 src0=0 src1=0 src2=0
	v_cvt_f16_i16_e32 v32, v32
	v_pack_b32_f16 v29, v29, v33
	s_set_vgpr_msb 64                       ;  msbs: dst=1 src0=0 src1=0 src2=0
	v_lshlrev_b16 v10 /*v266*/, 8, v28
	s_set_vgpr_msb 0x44                     ;  msbs: dst=1 src0=0 src1=1 src2=0
	v_lshrrev_b32_e32 v4 /*v260*/, v254, v4 /*v260*/
	s_set_vgpr_msb 0x41                     ;  msbs: dst=1 src0=1 src1=0 src2=0
	v_cvt_f16_i16_e64 v5 /*v261*/, v5 /*v261*/
	s_set_vgpr_msb 4                        ;  msbs: dst=0 src0=0 src1=1 src2=0
	v_lshlrev_b32_e32 v33, 20, v9 /*v265*/
	v_pk_mul_f16 v29, v29, v8 /*v264*/
	s_set_vgpr_msb 0                        ;  msbs: dst=0 src0=0 src1=0 src2=0
	v_add_nc_u64_e32 v[126:127], s[22:23], v[126:127]
	s_set_vgpr_msb 0x44                     ;  msbs: dst=1 src0=0 src1=1 src2=0
	v_lshlrev_b32_e32 v4 /*v260*/, 28, v4 /*v260*/
	s_set_vgpr_msb 4                        ;  msbs: dst=0 src0=0 src1=1 src2=0
	v_pack_b32_f16 v32, v32, v5 /*v261*/
	s_set_vgpr_msb 0x44                     ;  msbs: dst=1 src0=0 src1=1 src2=0
	v_add_nc_u16 v5 /*v261*/, 0xf000, v10 /*v266*/
	s_set_vgpr_msb 0                        ;  msbs: dst=0 src0=0 src1=0 src2=0
	v_pk_fma_f16 v37, v29, v26, v37
	v_pk_fma_f16 v35, v29, v30, v35
	v_and_b32_e32 v33, 0x100000, v33
	s_set_vgpr_msb 4                        ;  msbs: dst=0 src0=0 src1=1 src2=0
	v_pk_mul_f16 v32, v32, v8 /*v264*/
	s_set_vgpr_msb 0x44                     ;  msbs: dst=1 src0=0 src1=1 src2=0
	v_lshrrev_b16 v5 /*v261*/, 8, v5 /*v261*/
	v_and_b32_e32 v4 /*v260*/, 0x10000000, v4 /*v260*/
	s_set_vgpr_msb 0                        ;  msbs: dst=0 src0=0 src1=0 src2=0
	v_add_nc_u64_e32 v[128:129], s[22:23], v[128:129]
	v_pk_fma_f16 v26, v32, v26, v255
	s_set_vgpr_msb 4                        ;  msbs: dst=0 src0=0 src1=1 src2=0
	v_bitop3_b16 v255, v28, v5 /*v261*/, 0x1f00 bitop3:0xec
	s_set_vgpr_msb 17                       ;  msbs: dst=0 src0=1 src1=0 src2=1
	v_add_nc_u64_e32 v[28:29], s[4:5], v[120:121]
	v_or3_b32 v33, v6 /*v262*/, v33, v4 /*v260*/
	s_set_vgpr_msb 16                       ;  msbs: dst=0 src0=0 src1=0 src2=1
	v_pk_fma_f16 v30, v32, v30, v1 /*v257*/
	s_set_vgpr_msb 0x44                     ;  msbs: dst=1 src0=0 src1=1 src2=0
	v_mul_u32_u24_e32 v4 /*v260*/, 0x10001, v19 /*v275*/
	s_set_vgpr_msb 0                        ;  msbs: dst=0 src0=0 src1=0 src2=0
	v_add_nc_u16 v255, 0xf000, v255
	s_set_vgpr_msb 0x44                     ;  msbs: dst=1 src0=0 src1=1 src2=0
	v_mul_u32_u24_e32 v5 /*v261*/, 0x10001, v24 /*v280*/
	s_set_vgpr_msb 64                       ;  msbs: dst=1 src0=0 src1=0 src2=0
	v_lshrrev_b32_e32 v1 /*v257*/, 16, v33
	global_load_b32 v8 /*v264*/, v[28:29], off offset:2
	s_set_vgpr_msb 0                        ;  msbs: dst=0 src0=0 src1=0 src2=0
	v_add_nc_u64_e32 v[32:33], s[4:5], v[118:119]
	s_set_vgpr_msb 0x44                     ;  msbs: dst=1 src0=0 src1=1 src2=0
	global_load_u16 v10 /*v266*/, v[24:25], off
	global_load_b32 v13 /*v269*/, v[32:33], off
	v_lshlrev_b16 v6 /*v262*/, 8, v1 /*v257*/
	v_and_b32_e32 v1 /*v257*/, 0x1f00, v1 /*v257*/
	s_set_vgpr_msb 64                       ;  msbs: dst=1 src0=0 src1=0 src2=0
	v_lshrrev_b32_e32 v9 /*v265*/, 8, v255
	s_wait_xcnt 0x0
	s_set_vgpr_msb 4                        ;  msbs: dst=0 src0=0 src1=1 src2=0
	v_bfe_i32 v32, v255, 0, 8
	s_wait_loadcnt 0x14
	v_mul_u32_u24_e32 v255, 0x10001, v2 /*v258*/
	s_wait_loadcnt 0x13
	s_set_vgpr_msb 0x44                     ;  msbs: dst=1 src0=0 src1=1 src2=0
	v_lshrrev_b32_e32 v2 /*v258*/, v252, v3 /*v259*/
	s_set_vgpr_msb 4                        ;  msbs: dst=0 src0=0 src1=1 src2=0
	v_add_nc_u16 v25, 0xf000, v1 /*v257*/
	s_set_vgpr_msb 0x44                     ;  msbs: dst=1 src0=0 src1=1 src2=0
	v_lshrrev_b32_e32 v1 /*v257*/, v247, v3 /*v259*/
	s_set_vgpr_msb 4                        ;  msbs: dst=0 src0=0 src1=1 src2=0
	v_add_nc_u16 v24, 0xf000, v6 /*v262*/
	s_wait_loadcnt 0x12
	s_set_vgpr_msb 0x44                     ;  msbs: dst=1 src0=0 src1=1 src2=0
	v_dual_ashrrev_i32 v6 /*v262*/, v251, v12 /*v268*/ :: v_dual_lshlrev_b32 v2 /*v258*/, 12, v2 /*v258*/
	s_set_vgpr_msb 0                        ;  msbs: dst=0 src0=0 src1=0 src2=0
	v_lshrrev_b32_e32 v25, 8, v25
	s_set_vgpr_msb 0x44                     ;  msbs: dst=1 src0=0 src1=1 src2=0
	v_lshlrev_b32_e32 v1 /*v257*/, 4, v1 /*v257*/
	s_set_vgpr_msb 1                        ;  msbs: dst=0 src0=1 src1=0 src2=0
	v_bfe_i32 v33, v9 /*v265*/, 0, 8
	v_ashrrev_i16 v24, 8, v24
	s_set_vgpr_msb 0x44                     ;  msbs: dst=1 src0=0 src1=1 src2=0
	v_and_b32_e32 v6 /*v262*/, 0xf0f0f0f, v6 /*v262*/
	s_set_vgpr_msb 0                        ;  msbs: dst=0 src0=0 src1=0 src2=0
	v_bfe_i32 v25, v25, 0, 8
	s_set_vgpr_msb 0x44                     ;  msbs: dst=1 src0=0 src1=1 src2=0
	v_dual_lshrrev_b32 v9 /*v265*/, v253, v3 /*v259*/ :: v_dual_bitop2_b32 v1 /*v257*/, 16, v1 /*v257*/ bitop3:0x40
	v_and_b32_e32 v2 /*v258*/, 0x1000, v2 /*v258*/
	s_set_vgpr_msb 0                        ;  msbs: dst=0 src0=0 src1=0 src2=0
	v_cvt_f16_i16_e32 v32, v32
	v_cvt_f16_i16_e32 v33, v33
	;; [unrolled: 1-line block ×4, first 2 shown]
	s_set_vgpr_msb 0x44                     ;  msbs: dst=1 src0=0 src1=1 src2=0
	v_lshrrev_b32_e32 v3 /*v259*/, v254, v3 /*v259*/
	s_set_vgpr_msb 0x55                     ;  msbs: dst=1 src0=1 src1=1 src2=1
	v_or3_b32 v1 /*v257*/, v1 /*v257*/, v6 /*v262*/, v2 /*v258*/
	s_set_vgpr_msb 0                        ;  msbs: dst=0 src0=0 src1=0 src2=0
	v_pack_b32_f16 v32, v32, v33
	s_set_vgpr_msb 4                        ;  msbs: dst=0 src0=0 src1=1 src2=0
	v_lshlrev_b32_e32 v33, 20, v9 /*v265*/
	s_set_vgpr_msb 0                        ;  msbs: dst=0 src0=0 src1=0 src2=0
	v_pack_b32_f16 v24, v24, v25
	v_add_nc_u64_e32 v[118:119], s[22:23], v[118:119]
	v_add_nc_u64_e32 v[120:121], s[22:23], v[120:121]
	s_set_vgpr_msb 64                       ;  msbs: dst=1 src0=0 src1=0 src2=0
	v_pk_mul_f16 v9 /*v265*/, v32, v255
	s_set_vgpr_msb 0                        ;  msbs: dst=0 src0=0 src1=0 src2=0
	v_and_b32_e32 v32, 0x100000, v33
	v_pk_mul_f16 v255, v24, v255
	v_add_nc_u64_e32 v[24:25], s[4:5], v[116:117]
	v_add_nc_u64_e32 v[116:117], s[22:23], v[116:117]
	s_set_vgpr_msb 5                        ;  msbs: dst=0 src0=1 src1=1 src2=0
	v_pk_fma_f16 v37, v9 /*v265*/, v4 /*v260*/, v37
	v_pk_fma_f16 v35, v9 /*v265*/, v5 /*v261*/, v35
	s_wait_loadcnt 0x10
	s_set_vgpr_msb 0x44                     ;  msbs: dst=1 src0=0 src1=1 src2=0
	v_dual_ashrrev_i32 v0 /*v256*/, v251, v0 /*v256*/ :: v_dual_lshlrev_b32 v2 /*v258*/, 28, v3 /*v259*/
	v_lshlrev_b16 v3 /*v259*/, 8, v1 /*v257*/
	s_set_vgpr_msb 4                        ;  msbs: dst=0 src0=0 src1=1 src2=0
	v_pk_fma_f16 v30, v255, v5 /*v261*/, v30
	s_set_vgpr_msb 0x44                     ;  msbs: dst=1 src0=0 src1=1 src2=0
	v_and_b32_e32 v0 /*v256*/, 0xf0f0f0f, v0 /*v256*/
	s_set_vgpr_msb 4                        ;  msbs: dst=0 src0=0 src1=1 src2=0
	v_and_b32_e32 v33, 0x10000000, v2 /*v258*/
	s_set_vgpr_msb 0x44                     ;  msbs: dst=1 src0=0 src1=1 src2=0
	v_add_nc_u16 v2 /*v258*/, 0xf000, v3 /*v259*/
	s_set_vgpr_msb 0x41                     ;  msbs: dst=1 src0=1 src1=0 src2=0
	s_delay_alu instid0(VALU_DEP_2) | instskip(SKIP_1) | instid1(VALU_DEP_2)
	v_or3_b32 v3 /*v259*/, v6 /*v262*/, v32, v33
	s_set_vgpr_msb 0x44                     ;  msbs: dst=1 src0=0 src1=1 src2=0
	v_lshrrev_b16 v2 /*v258*/, 8, v2 /*v258*/
	s_set_vgpr_msb 0                        ;  msbs: dst=0 src0=0 src1=0 src2=0
	v_add_nc_u64_e32 v[32:33], s[4:5], v[114:115]
	s_set_vgpr_msb 64                       ;  msbs: dst=1 src0=0 src1=0 src2=0
	global_load_b32 v6 /*v262*/, v[24:25], off offset:2
	s_set_vgpr_msb 0                        ;  msbs: dst=0 src0=0 src1=0 src2=0
	v_add_nc_u64_e32 v[114:115], s[22:23], v[114:115]
	s_set_vgpr_msb 0x45                     ;  msbs: dst=1 src0=1 src1=1 src2=0
	v_lshrrev_b32_e32 v3 /*v259*/, 16, v3 /*v259*/
	v_bitop3_b16 v1 /*v257*/, v1 /*v257*/, v2 /*v258*/, 0x1f00 bitop3:0xec
	s_set_vgpr_msb 64                       ;  msbs: dst=1 src0=0 src1=0 src2=0
	global_load_u16 v2 /*v258*/, v[28:29], off
	global_load_b32 v9 /*v265*/, v[32:33], off
	s_wait_xcnt 0x0
	s_set_vgpr_msb 4                        ;  msbs: dst=0 src0=0 src1=1 src2=0
	v_pk_fma_f16 v32, v255, v4 /*v260*/, v26
	s_set_vgpr_msb 0                        ;  msbs: dst=0 src0=0 src1=0 src2=0
	v_mul_u32_u24_e32 v33, 0x10001, v27
	s_set_vgpr_msb 4                        ;  msbs: dst=0 src0=0 src1=1 src2=0
	v_add_nc_u16 v27, 0xf000, v1 /*v257*/
	s_wait_loadcnt 0x12
	v_dual_lshrrev_b32 v28, v247, v33 /*v289*/ :: v_dual_lshrrev_b32 v29, v252, v33 /*v289*/
	v_and_b32_e32 v255, 0x1f00, v3 /*v259*/
	v_lshlrev_b16 v26, 8, v3 /*v259*/
	s_set_vgpr_msb 64                       ;  msbs: dst=1 src0=0 src1=0 src2=0
	v_lshrrev_b32_e32 v1 /*v257*/, 8, v27
	s_set_vgpr_msb 0                        ;  msbs: dst=0 src0=0 src1=0 src2=0
	v_bfe_i32 v27, v27, 0, 8
	v_lshlrev_b32_e32 v29, 12, v29
	v_add_nc_u16 v255, 0xf000, v255
	v_lshlrev_b32_e32 v28, 4, v28
	v_add_nc_u16 v26, 0xf000, v26
	s_set_vgpr_msb 0x41                     ;  msbs: dst=1 src0=1 src1=0 src2=0
	v_bfe_i32 v1 /*v257*/, v1 /*v257*/, 0, 8
	s_set_vgpr_msb 0                        ;  msbs: dst=0 src0=0 src1=0 src2=0
	v_and_b32_e32 v29, 0x1000, v29
	v_dual_lshrrev_b32 v255, 8, v255 :: v_dual_bitop2_b32 v28, 16, v28 bitop3:0x40
	s_set_vgpr_msb 0x44                     ;  msbs: dst=1 src0=0 src1=1 src2=0
	v_lshrrev_b32_e32 v4 /*v260*/, v254, v33 /*v289*/
	s_set_vgpr_msb 0                        ;  msbs: dst=0 src0=0 src1=0 src2=0
	v_ashrrev_i16 v26, 8, v26
	v_cvt_f16_i16_e32 v27, v27
	v_bfe_i32 v255, v255, 0, 8
	s_set_vgpr_msb 4                        ;  msbs: dst=0 src0=0 src1=1 src2=0
	v_or3_b32 v28, v28, v0 /*v256*/, v29
	s_set_vgpr_msb 1                        ;  msbs: dst=0 src0=1 src1=0 src2=0
	v_cvt_f16_i16_e64 v29, v1 /*v257*/
	s_set_vgpr_msb 0x44                     ;  msbs: dst=1 src0=0 src1=1 src2=0
	v_dual_lshrrev_b32 v1 /*v257*/, v253, v33 /*v289*/ :: v_dual_lshlrev_b32 v4 /*v260*/, 28, v4 /*v260*/
	s_set_vgpr_msb 0                        ;  msbs: dst=0 src0=0 src1=0 src2=0
	v_cvt_f16_i16_e32 v26, v26
	v_cvt_f16_i16_e64 v255, v255
	s_set_vgpr_msb 64                       ;  msbs: dst=1 src0=0 src1=0 src2=0
	v_lshlrev_b16 v5 /*v261*/, 8, v28
	s_set_vgpr_msb 0x44                     ;  msbs: dst=1 src0=0 src1=1 src2=0
	v_lshlrev_b32_e32 v1 /*v257*/, 20, v1 /*v257*/
	v_mul_u32_u24_e32 v3 /*v259*/, 0x10001, v36 /*v292*/
	v_and_b32_e32 v4 /*v260*/, 0x10000000, v4 /*v260*/
	s_set_vgpr_msb 0                        ;  msbs: dst=0 src0=0 src1=0 src2=0
	v_pack_b32_f16 v27, v27, v29
	v_pack_b32_f16 v26, v26, v255
	s_set_vgpr_msb 0x44                     ;  msbs: dst=1 src0=0 src1=1 src2=0
	v_and_b32_e32 v1 /*v257*/, 0x100000, v1 /*v257*/
	v_add_nc_u16 v5 /*v261*/, 0xf000, v5 /*v261*/
	s_set_vgpr_msb 0                        ;  msbs: dst=0 src0=0 src1=0 src2=0
	v_and_b32_e32 v29, 0xffff, v31
	s_set_vgpr_msb 4                        ;  msbs: dst=0 src0=0 src1=1 src2=0
	v_pk_mul_f16 v255, v27, v3 /*v259*/
	s_set_vgpr_msb 21                       ;  msbs: dst=0 src0=1 src1=1 src2=1
	v_or3_b32 v31, v0 /*v256*/, v1 /*v257*/, v4 /*v260*/
	s_set_vgpr_msb 0x44                     ;  msbs: dst=1 src0=0 src1=1 src2=0
	v_pk_mul_f16 v1 /*v257*/, v26, v3 /*v259*/
	s_set_vgpr_msb 0                        ;  msbs: dst=0 src0=0 src1=0 src2=0
	v_add_nc_u64_e32 v[26:27], s[4:5], v[112:113]
	s_set_vgpr_msb 0x44                     ;  msbs: dst=1 src0=0 src1=1 src2=0
	v_lshrrev_b16 v5 /*v261*/, 8, v5 /*v261*/
	s_set_vgpr_msb 64                       ;  msbs: dst=1 src0=0 src1=0 src2=0
	v_mul_u32_u24_e32 v0 /*v256*/, 0x10001, v29
	s_set_vgpr_msb 0                        ;  msbs: dst=0 src0=0 src1=0 src2=0
	v_lshrrev_b32_e32 v31, 16, v31
	v_pk_fma_f16 v37, v255, v33, v37
	s_set_vgpr_msb 1                        ;  msbs: dst=0 src0=1 src1=0 src2=0
	v_pk_fma_f16 v32, v1 /*v257*/, v33, v32
	s_set_vgpr_msb 4                        ;  msbs: dst=0 src0=0 src1=1 src2=0
	v_bitop3_b16 v28, v28, v5 /*v261*/, 0x1f00 bitop3:0xec
	s_set_vgpr_msb 64                       ;  msbs: dst=1 src0=0 src1=0 src2=0
	global_load_u16 v5 /*v261*/, v[24:25], off
	global_load_b32 v12 /*v268*/, v[26:27], off offset:2
	s_set_vgpr_msb 4                        ;  msbs: dst=0 src0=0 src1=1 src2=0
	v_pk_fma_f16 v35, v255, v0 /*v256*/, v35
	s_set_vgpr_msb 0                        ;  msbs: dst=0 src0=0 src1=0 src2=0
	v_and_b32_e32 v255, 0x1f00, v31
	v_lshlrev_b16 v31, 8, v31
	s_set_vgpr_msb 64                       ;  msbs: dst=1 src0=0 src1=0 src2=0
	v_add_nc_u16 v3 /*v259*/, 0xf000, v28
	s_set_vgpr_msb 0                        ;  msbs: dst=0 src0=0 src1=0 src2=0
	v_add_nc_u64_e32 v[28:29], s[4:5], v[110:111]
	s_set_vgpr_msb 5                        ;  msbs: dst=0 src0=1 src1=1 src2=0
	v_pk_fma_f16 v30, v1 /*v257*/, v0 /*v256*/, v30
	s_wait_xcnt 0x1
	s_set_vgpr_msb 0                        ;  msbs: dst=0 src0=0 src1=0 src2=0
	v_add_nc_u16 v24, 0xf000, v255
	s_set_vgpr_msb 4                        ;  msbs: dst=0 src0=0 src1=1 src2=0
	v_mul_u32_u24_e32 v33, 0x10001, v20 /*v276*/
	s_set_vgpr_msb 0x44                     ;  msbs: dst=1 src0=0 src1=1 src2=0
	v_lshrrev_b32_e32 v4 /*v260*/, 8, v3 /*v259*/
	s_set_vgpr_msb 1                        ;  msbs: dst=0 src0=1 src1=0 src2=0
	v_bfe_i32 v255, v3 /*v259*/, 0, 8
	s_set_vgpr_msb 0                        ;  msbs: dst=0 src0=0 src1=0 src2=0
	global_load_u16 v26, v[26:27], off
	s_set_vgpr_msb 64                       ;  msbs: dst=1 src0=0 src1=0 src2=0
	global_load_b32 v3 /*v259*/, v[28:29], off
	s_wait_xcnt 0x0
	s_set_vgpr_msb 0                        ;  msbs: dst=0 src0=0 src1=0 src2=0
	v_add_nc_u16 v28, 0xf000, v31
	v_lshrrev_b32_e32 v24, 8, v24
	v_cvt_f16_i16_e64 v29, v255
	s_wait_loadcnt 0x15
	s_set_vgpr_msb 4                        ;  msbs: dst=0 src0=0 src1=1 src2=0
	v_mul_u32_u24_e32 v31, 0x10001, v29 /*v285*/
	v_mul_u32_u24_e32 v255, 0x10001, v32 /*v288*/
	s_set_vgpr_msb 0                        ;  msbs: dst=0 src0=0 src1=0 src2=0
	v_ashrrev_i16 v28, 8, v28
	s_wait_loadcnt 0x13
	s_set_vgpr_msb 0x44                     ;  msbs: dst=1 src0=0 src1=1 src2=0
	v_lshrrev_b32_e32 v1 /*v257*/, v252, v30 /*v286*/
	s_set_vgpr_msb 1                        ;  msbs: dst=0 src0=1 src1=0 src2=0
	v_bfe_i32 v25, v4 /*v260*/, 0, 8
	s_set_vgpr_msb 0                        ;  msbs: dst=0 src0=0 src1=0 src2=0
	v_bfe_i32 v24, v24, 0, 8
	s_set_vgpr_msb 0x44                     ;  msbs: dst=1 src0=0 src1=1 src2=0
	v_ashrrev_i32_e32 v16 /*v272*/, v251, v26 /*v282*/
	s_set_vgpr_msb 0                        ;  msbs: dst=0 src0=0 src1=0 src2=0
	v_cvt_f16_i16_e32 v28, v28
	s_set_vgpr_msb 0x44                     ;  msbs: dst=1 src0=0 src1=1 src2=0
	v_lshlrev_b32_e32 v1 /*v257*/, 12, v1 /*v257*/
	s_set_vgpr_msb 0                        ;  msbs: dst=0 src0=0 src1=0 src2=0
	v_cvt_f16_i16_e32 v25, v25
	v_cvt_f16_i16_e32 v24, v24
	s_set_vgpr_msb 0x44                     ;  msbs: dst=1 src0=0 src1=1 src2=0
	v_lshrrev_b32_e32 v19 /*v275*/, v253, v30 /*v286*/
	s_wait_loadcnt 0x12
	v_mul_u32_u24_e32 v24 /*v280*/, 0x10001, v28 /*v284*/
	v_and_b32_e32 v1 /*v257*/, 0x1000, v1 /*v257*/
	s_set_vgpr_msb 0                        ;  msbs: dst=0 src0=0 src1=0 src2=0
	v_pack_b32_f16 v25, v29, v25
	s_set_vgpr_msb 4                        ;  msbs: dst=0 src0=0 src1=1 src2=0
	v_lshrrev_b32_e32 v29, v247, v30 /*v286*/
	s_set_vgpr_msb 64                       ;  msbs: dst=1 src0=0 src1=0 src2=0
	v_pack_b32_f16 v4 /*v260*/, v28, v24
	s_wait_dscnt 0x0
	v_lshrrev_b32_e32 v20 /*v276*/, 16, v19
	s_set_vgpr_msb 0                        ;  msbs: dst=0 src0=0 src1=0 src2=0
	v_and_b32_e32 v19, 0xffff, v19
	s_set_vgpr_msb 64                       ;  msbs: dst=1 src0=0 src1=0 src2=0
	v_pk_mul_f16 v0 /*v256*/, v25, v31
	s_set_vgpr_msb 0                        ;  msbs: dst=0 src0=0 src1=0 src2=0
	v_add_nc_u64_e32 v[24:25], s[4:5], v[108:109]
	s_set_vgpr_msb 64                       ;  msbs: dst=1 src0=0 src1=0 src2=0
	v_lshlrev_b32_e32 v17 /*v273*/, 4, v29
	s_set_vgpr_msb 1                        ;  msbs: dst=0 src0=1 src1=0 src2=0
	v_add_nc_u64_e32 v[28:29], s[4:5], v[106:107]
	v_pk_mul_f16 v31, v4 /*v260*/, v31
	s_set_vgpr_msb 0x44                     ;  msbs: dst=1 src0=0 src1=1 src2=0
	v_and_b32_e32 v4 /*v260*/, 0xf0f0f0f, v16 /*v272*/
	s_set_vgpr_msb 1                        ;  msbs: dst=0 src0=1 src1=0 src2=0
	v_pk_fma_f16 v37, v0 /*v256*/, v33, v37
	s_set_vgpr_msb 0x44                     ;  msbs: dst=1 src0=0 src1=1 src2=0
	v_and_b32_e32 v17 /*v273*/, 16, v17 /*v273*/
	global_load_b32 v16 /*v272*/, v[24:25], off offset:2
	s_set_vgpr_msb 1                        ;  msbs: dst=0 src0=1 src1=0 src2=0
	v_pk_fma_f16 v35, v0 /*v256*/, v255, v35
	s_set_vgpr_msb 4                        ;  msbs: dst=0 src0=0 src1=1 src2=0
	global_load_b32 v28, v[28:29], off
	s_wait_xcnt 0x0
	v_lshrrev_b32_e32 v29, v254, v30 /*v286*/
	s_set_vgpr_msb 0x55                     ;  msbs: dst=1 src0=1 src1=1 src2=1
	v_or3_b32 v0 /*v256*/, v17 /*v273*/, v4 /*v260*/, v1 /*v257*/
	s_set_vgpr_msb 0                        ;  msbs: dst=0 src0=0 src1=0 src2=0
	v_pk_fma_f16 v32, v31, v33, v32
	v_pk_fma_f16 v30, v31, v255, v30
	global_load_u16 v24, v[24:25], off
	v_lshlrev_b32_e32 v29, 28, v29
	s_wait_loadcnt 0x14
	s_set_vgpr_msb 0x44                     ;  msbs: dst=1 src0=0 src1=1 src2=0
	v_dual_lshrrev_b32 v22 /*v278*/, v247, v27 /*v283*/ :: v_dual_lshrrev_b32 v23 /*v279*/, v252, v27 /*v283*/
	v_lshlrev_b32_e32 v1 /*v257*/, 20, v19 /*v275*/
	s_set_vgpr_msb 4                        ;  msbs: dst=0 src0=0 src1=1 src2=0
	v_lshlrev_b16 v31, 8, v0 /*v256*/
	s_set_vgpr_msb 0                        ;  msbs: dst=0 src0=0 src1=0 src2=0
	v_and_b32_e32 v29, 0x10000000, v29
	s_set_vgpr_msb 0x44                     ;  msbs: dst=1 src0=0 src1=1 src2=0
	v_dual_lshlrev_b32 v22 /*v278*/, 4, v22 /*v278*/ :: v_dual_lshlrev_b32 v23 /*v279*/, 12, v23 /*v279*/
	s_set_vgpr_msb 4                        ;  msbs: dst=0 src0=0 src1=1 src2=0
	v_and_b32_e32 v33, 0x100000, v1 /*v257*/
	s_set_vgpr_msb 0                        ;  msbs: dst=0 src0=0 src1=0 src2=0
	v_add_nc_u16 v31, 0xf000, v31
	s_set_vgpr_msb 0x44                     ;  msbs: dst=1 src0=0 src1=1 src2=0
	v_dual_lshrrev_b32 v26 /*v282*/, v253, v27 /*v283*/ :: v_dual_bitop2_b32 v22 /*v278*/, 16, v22 /*v278*/ bitop3:0x40
	v_and_b32_e32 v23 /*v279*/, 0x1000, v23 /*v279*/
	s_set_vgpr_msb 1                        ;  msbs: dst=0 src0=1 src1=0 src2=0
	v_or3_b32 v29, v4 /*v260*/, v33, v29
	v_lshrrev_b16 v31, 8, v31
	v_dual_lshrrev_b32 v255, 16, v20 :: v_dual_lshrrev_b32 v33, 16, v22
	v_and_b32_e32 v20, 0xffff, v20
	s_wait_loadcnt 0x13
	s_set_vgpr_msb 0                        ;  msbs: dst=0 src0=0 src1=0 src2=0
	v_dual_lshrrev_b32 v29, 16, v29 :: v_dual_ashrrev_i32 v34, v251, v34
	s_set_vgpr_msb 1                        ;  msbs: dst=0 src0=1 src1=0 src2=0
	v_bitop3_b16 v31, v0 /*v256*/, v31, 0x1f00 bitop3:0xec
	s_set_vgpr_msb 64                       ;  msbs: dst=1 src0=0 src1=0 src2=0
	v_lshrrev_b32_e32 v17 /*v273*/, 16, v16
	s_set_vgpr_msb 0                        ;  msbs: dst=0 src0=0 src1=0 src2=0
	v_and_b32_e32 v16, 0xffff, v16
	v_lshlrev_b16 v27, 8, v29
	v_and_b32_e32 v29, 0x1f00, v29
	v_add_nc_u16 v31, 0xf000, v31
	v_and_b32_e32 v34, 0xf0f0f0f, v34
	v_mul_u32_u24_e32 v20, 0x10001, v20
	v_add_nc_u16 v27, 0xf000, v27
	v_add_nc_u16 v29, 0xf000, v29
	s_set_vgpr_msb 0x51                     ;  msbs: dst=1 src0=1 src1=0 src2=1
	v_lshrrev_b32_e32 v25 /*v281*/, 8, v31
	v_or3_b32 v22 /*v278*/, v22 /*v278*/, v34, v23 /*v279*/
	s_set_vgpr_msb 0x44                     ;  msbs: dst=1 src0=0 src1=1 src2=0
	v_lshrrev_b32_e32 v23 /*v279*/, v254, v27 /*v283*/
	s_set_vgpr_msb 0                        ;  msbs: dst=0 src0=0 src1=0 src2=0
	v_bfe_i32 v31, v31, 0, 8
	v_lshrrev_b32_e32 v29, 8, v29
	s_set_vgpr_msb 0x41                     ;  msbs: dst=1 src0=1 src1=0 src2=0
	v_bfe_i32 v25 /*v281*/, v25 /*v281*/, 0, 8
	s_set_vgpr_msb 0                        ;  msbs: dst=0 src0=0 src1=0 src2=0
	v_ashrrev_i16 v27, 8, v27
	s_set_vgpr_msb 0x44                     ;  msbs: dst=1 src0=0 src1=1 src2=0
	v_dual_lshlrev_b32 v26 /*v282*/, 20, v26 /*v282*/ :: v_dual_lshlrev_b32 v23 /*v279*/, 28, v23 /*v279*/
	s_set_vgpr_msb 0                        ;  msbs: dst=0 src0=0 src1=0 src2=0
	v_bfe_i32 v29, v29, 0, 8
	v_cvt_f16_i16_e32 v31, v31
	s_set_vgpr_msb 0x41                     ;  msbs: dst=1 src0=1 src1=0 src2=0
	v_cvt_f16_i16_e64 v25 /*v281*/, v25 /*v281*/
	s_set_vgpr_msb 0x44                     ;  msbs: dst=1 src0=0 src1=1 src2=0
	v_lshlrev_b16 v27 /*v283*/, 8, v22 /*v278*/
	s_wait_xcnt 0x0
	s_set_vgpr_msb 0                        ;  msbs: dst=0 src0=0 src1=0 src2=0
	v_cvt_f16_i16_e32 v25, v27
	v_cvt_f16_i16_e32 v27, v29
	s_set_vgpr_msb 0x44                     ;  msbs: dst=1 src0=0 src1=1 src2=0
	v_and_b32_e32 v26 /*v282*/, 0x100000, v26 /*v282*/
	v_and_b32_e32 v23 /*v279*/, 0x10000000, v23 /*v279*/
	s_set_vgpr_msb 4                        ;  msbs: dst=0 src0=0 src1=1 src2=0
	v_add_nc_u16 v29, 0xf000, v27 /*v283*/
	v_pack_b32_f16 v31, v31, v25 /*v281*/
	s_set_vgpr_msb 0                        ;  msbs: dst=0 src0=0 src1=0 src2=0
	v_pack_b32_f16 v25, v25, v27
	v_mul_u32_u24_e32 v16, 0x10001, v16
	s_set_vgpr_msb 20                       ;  msbs: dst=0 src0=0 src1=1 src2=1
	v_or3_b32 v27, v34, v26 /*v282*/, v23 /*v279*/
	s_set_vgpr_msb 0                        ;  msbs: dst=0 src0=0 src1=0 src2=0
	v_lshrrev_b16 v29, 8, v29
	s_set_vgpr_msb 4                        ;  msbs: dst=0 src0=0 src1=1 src2=0
	v_pk_mul_f16 v31, v31, v24 /*v280*/
	v_pk_mul_f16 v25, v25, v24 /*v280*/
	s_set_vgpr_msb 64                       ;  msbs: dst=1 src0=0 src1=0 src2=0
	v_dual_lshrrev_b32 v1 /*v257*/, 16, v21 :: v_dual_lshrrev_b32 v4 /*v260*/, 16, v23
	s_set_vgpr_msb 1                        ;  msbs: dst=0 src0=1 src1=0 src2=0
	v_lshrrev_b32_e32 v27, 16, v27
	v_bitop3_b16 v29, v22 /*v278*/, v29, 0x1f00 bitop3:0xec
	s_set_vgpr_msb 0                        ;  msbs: dst=0 src0=0 src1=0 src2=0
	v_pk_fma_f16 v34, v31, v20, v37
	v_pk_fma_f16 v31, v31, v16, v35
	;; [unrolled: 1-line block ×4, first 2 shown]
	v_and_b32_e32 v25, 0x1f00, v27
	v_add_nc_u16 v29, 0xf000, v29
	v_lshlrev_b16 v32, 8, v27
	v_mul_u32_u24_e32 v30, 0x10001, v255
	s_wait_loadcnt 0x11
	s_set_vgpr_msb 4                        ;  msbs: dst=0 src0=0 src1=1 src2=0
	v_dual_lshrrev_b32 v37, v247, v21 /*v277*/ :: v_dual_lshrrev_b32 v255, v252, v21 /*v277*/
	s_set_vgpr_msb 0                        ;  msbs: dst=0 src0=0 src1=0 src2=0
	v_add_nc_u16 v25, 0xf000, v25
	v_lshrrev_b32_e32 v27, 8, v29
	v_add_nc_u16 v32, 0xf000, v32
	s_wait_loadcnt 0x10
	s_set_vgpr_msb 0x44                     ;  msbs: dst=1 src0=0 src1=1 src2=0
	v_ashrrev_i32_e32 v15 /*v271*/, v251, v15 /*v271*/
	s_set_vgpr_msb 0                        ;  msbs: dst=0 src0=0 src1=0 src2=0
	v_lshlrev_b32_e32 v37, 4, v37
	v_dual_lshrrev_b32 v25, 8, v25 :: v_dual_lshlrev_b32 v255, 12, v255
	v_bfe_i32 v29, v29, 0, 8
	v_bfe_i32 v27, v27, 0, 8
	s_set_vgpr_msb 4                        ;  msbs: dst=0 src0=0 src1=1 src2=0
	v_mul_u32_u24_e32 v35, 0x10001, v18 /*v274*/
	s_set_vgpr_msb 0                        ;  msbs: dst=0 src0=0 src1=0 src2=0
	v_ashrrev_i16 v32, 8, v32
	v_and_b32_e32 v37, 16, v37
	s_set_vgpr_msb 0x44                     ;  msbs: dst=1 src0=0 src1=1 src2=0
	v_lshrrev_b32_e32 v18 /*v274*/, v253, v21 /*v277*/
	v_and_b32_e32 v15 /*v271*/, 0xf0f0f0f, v15 /*v271*/
	s_set_vgpr_msb 0                        ;  msbs: dst=0 src0=0 src1=0 src2=0
	v_and_b32_e32 v255, 0x1000, v255
	v_bfe_i32 v25, v25, 0, 8
	v_cvt_f16_i16_e32 v29, v29
	v_cvt_f16_i16_e32 v27, v27
	s_set_vgpr_msb 0x44                     ;  msbs: dst=1 src0=0 src1=1 src2=0
	v_dual_lshrrev_b32 v21 /*v277*/, v254, v21 /*v277*/ :: v_dual_lshlrev_b32 v18 /*v274*/, 20, v18 /*v274*/
	s_set_vgpr_msb 4                        ;  msbs: dst=0 src0=0 src1=1 src2=0
	v_cvt_f16_i16_e32 v32, v32
	v_or3_b32 v37, v37, v15 /*v271*/, v255
	v_cvt_f16_i16_e32 v25, v25
	s_set_vgpr_msb 0                        ;  msbs: dst=0 src0=0 src1=0 src2=0
	v_pack_b32_f16 v27, v29, v27
	s_set_vgpr_msb 4                        ;  msbs: dst=0 src0=0 src1=1 src2=0
	v_and_b32_e32 v29, 0x100000, v18 /*v274*/
	v_lshlrev_b32_e32 v255, 28, v21 /*v277*/
	s_set_vgpr_msb 64                       ;  msbs: dst=1 src0=0 src1=0 src2=0
	v_lshlrev_b16 v18 /*v274*/, 8, v37
	s_set_vgpr_msb 0                        ;  msbs: dst=0 src0=0 src1=0 src2=0
	v_pack_b32_f16 v25, v32, v25
	v_pk_mul_f16 v27, v27, v35
	s_set_vgpr_msb 4                        ;  msbs: dst=0 src0=0 src1=1 src2=0
	v_mul_u32_u24_e32 v32, 0x10001, v17 /*v273*/
	s_set_vgpr_msb 0                        ;  msbs: dst=0 src0=0 src1=0 src2=0
	v_and_b32_e32 v21, 0xffff, v21
	s_set_vgpr_msb 0x44                     ;  msbs: dst=1 src0=0 src1=1 src2=0
	v_add_nc_u16 v17 /*v273*/, 0xf000, v18 /*v274*/
	s_set_vgpr_msb 0                        ;  msbs: dst=0 src0=0 src1=0 src2=0
	v_pk_mul_f16 v25, v25, v35
	v_pk_fma_f16 v34, v27, v30, v34
	v_pk_fma_f16 v27, v27, v32, v31
	s_set_vgpr_msb 64                       ;  msbs: dst=1 src0=0 src1=0 src2=0
	v_dual_lshrrev_b32 v19 /*v275*/, 16, v17 :: v_dual_lshrrev_b32 v0 /*v256*/, 16, v18
	s_set_vgpr_msb 4                        ;  msbs: dst=0 src0=0 src1=1 src2=0
	v_lshrrev_b16 v31, 8, v17 /*v273*/
	s_set_vgpr_msb 0                        ;  msbs: dst=0 src0=0 src1=0 src2=0
	v_pk_fma_f16 v16, v25, v32, v16
	s_wait_loadcnt 0xe
	s_set_vgpr_msb 4                        ;  msbs: dst=0 src0=0 src1=1 src2=0
	v_lshrrev_b32_e32 v32, v252, v7 /*v263*/
	s_set_vgpr_msb 0                        ;  msbs: dst=0 src0=0 src1=0 src2=0
	v_and_b32_e32 v255, 0x10000000, v255
	v_pk_fma_f16 v20, v25, v30, v20
	v_bitop3_b16 v25, v37, v31, 0x1f00 bitop3:0xec
	s_set_vgpr_msb 4                        ;  msbs: dst=0 src0=0 src1=1 src2=0
	v_lshrrev_b32_e32 v31, v247, v7 /*v263*/
	s_wait_loadcnt 0xd
	v_ashrrev_i32_e32 v35, v251, v11 /*v267*/
	s_set_vgpr_msb 1                        ;  msbs: dst=0 src0=1 src1=0 src2=0
	v_or3_b32 v29, v15 /*v271*/, v29, v255
	v_lshlrev_b32_e32 v32, 12, v32
	v_add_nc_u16 v25, 0xf000, v25
	v_lshlrev_b32_e32 v31, 4, v31
	v_and_b32_e32 v35, 0xf0f0f0f, v35
	v_lshrrev_b32_e32 v29, 16, v29
	v_and_b32_e32 v32, 0x1000, v32
	s_set_vgpr_msb 4                        ;  msbs: dst=0 src0=0 src1=1 src2=0
	v_mul_u32_u24_e32 v255, 0x10001, v14 /*v270*/
	s_set_vgpr_msb 0                        ;  msbs: dst=0 src0=0 src1=0 src2=0
	v_and_b32_e32 v31, 16, v31
	v_mul_u32_u24_e32 v21, 0x10001, v21
	v_lshlrev_b16 v30, 8, v29
	v_and_b32_e32 v29, 0x1f00, v29
	v_and_b32_e32 v17, 0xffff, v17
	v_or3_b32 v31, v31, v35, v32
	v_and_b32_e32 v22, 0xffff, v22
	v_add_nc_u16 v30, 0xf000, v30
	v_add_nc_u16 v29, 0xf000, v29
	v_mul_u32_u24_e32 v17, 0x10001, v17
	s_set_vgpr_msb 64                       ;  msbs: dst=1 src0=0 src1=0 src2=0
	v_lshlrev_b16 v11 /*v267*/, 8, v31
	s_set_vgpr_msb 0                        ;  msbs: dst=0 src0=0 src1=0 src2=0
	v_and_b32_e32 v18, 0xffff, v18
	v_ashrrev_i16 v30, 8, v30
	v_lshrrev_b32_e32 v29, 8, v29
	v_and_b32_e32 v23, 0xffff, v23
	s_set_vgpr_msb 0x44                     ;  msbs: dst=1 src0=0 src1=1 src2=0
	v_add_nc_u16 v11 /*v267*/, 0xf000, v11 /*v267*/
	s_set_vgpr_msb 0                        ;  msbs: dst=0 src0=0 src1=0 src2=0
	v_mul_u32_u24_e32 v18, 0x10001, v18
	v_cvt_f16_i16_e32 v30, v30
	v_bfe_i32 v29, v29, 0, 8
	v_mul_u32_u24_e32 v19, 0x10001, v19
	s_set_vgpr_msb 0x44                     ;  msbs: dst=1 src0=0 src1=1 src2=0
	v_lshrrev_b16 v11 /*v267*/, 8, v11 /*v267*/
	s_set_vgpr_msb 0                        ;  msbs: dst=0 src0=0 src1=0 src2=0
	v_add_nc_u64_e32 v[106:107], s[22:23], v[106:107]
	v_add_nc_u64_e32 v[108:109], s[22:23], v[108:109]
	v_cvt_f16_i16_e32 v29, v29
	v_add_nc_u64_e32 v[110:111], s[22:23], v[110:111]
	v_add_nc_u64_e32 v[112:113], s[22:23], v[112:113]
	s_delay_alu instid0(VALU_DEP_3) | instskip(SKIP_3) | instid1(VALU_DEP_2)
	v_pack_b32_f16 v29, v30, v29
	s_set_vgpr_msb 4                        ;  msbs: dst=0 src0=0 src1=1 src2=0
	v_bitop3_b16 v30, v31, v11 /*v267*/, 0x1f00 bitop3:0xec
	s_set_vgpr_msb 0                        ;  msbs: dst=0 src0=0 src1=0 src2=0
	v_pk_mul_f16 v29, v29, v255
	s_delay_alu instid0(VALU_DEP_2) | instskip(SKIP_2) | instid1(VALU_DEP_4)
	v_add_nc_u16 v30, 0xf000, v30
	v_lshrrev_b32_e32 v37, 8, v25
	v_bfe_i32 v25, v25, 0, 8
	v_pk_fma_f16 v20, v29, v21, v20
	v_pk_fma_f16 v16, v29, v17, v16
	s_delay_alu instid0(VALU_DEP_4) | instskip(NEXT) | instid1(VALU_DEP_4)
	v_bfe_i32 v37, v37, 0, 8
	v_cvt_f16_i16_e32 v25, v25
	s_delay_alu instid0(VALU_DEP_2)
	v_cvt_f16_i16_e32 v32, v37
	s_set_vgpr_msb 4                        ;  msbs: dst=0 src0=0 src1=1 src2=0
	v_lshrrev_b32_e32 v37, v253, v7 /*v263*/
	s_set_vgpr_msb 0x44                     ;  msbs: dst=1 src0=0 src1=1 src2=0
	v_lshrrev_b32_e32 v7 /*v263*/, v254, v7 /*v263*/
	s_set_vgpr_msb 0                        ;  msbs: dst=0 src0=0 src1=0 src2=0
	v_pack_b32_f16 v25, v25, v32
	s_set_vgpr_msb 0x44                     ;  msbs: dst=1 src0=0 src1=1 src2=0
	s_delay_alu instid0(VALU_DEP_2) | instskip(SKIP_1) | instid1(VALU_DEP_2)
	v_lshlrev_b32_e32 v7 /*v263*/, 28, v7 /*v263*/
	s_set_vgpr_msb 0                        ;  msbs: dst=0 src0=0 src1=0 src2=0
	v_pk_mul_f16 v25, v25, v255
	s_set_vgpr_msb 4                        ;  msbs: dst=0 src0=0 src1=1 src2=0
	v_mul_u32_u24_e32 v255, 0x10001, v1 /*v257*/
	s_set_vgpr_msb 0x44                     ;  msbs: dst=1 src0=0 src1=1 src2=0
	v_and_b32_e32 v7 /*v263*/, 0x10000000, v7 /*v263*/
	s_set_vgpr_msb 0                        ;  msbs: dst=0 src0=0 src1=0 src2=0
	v_pk_fma_f16 v32, v25, v21, v34
	v_lshrrev_b32_e32 v21, 8, v30
	v_bfe_i32 v30, v30, 0, 8
	v_pk_fma_f16 v25, v25, v17, v27
	s_wait_loadcnt 0xb
	s_set_vgpr_msb 4                        ;  msbs: dst=0 src0=0 src1=1 src2=0
	v_mul_u32_u24_e32 v34, 0x10001, v10 /*v266*/
	v_bfe_i32 v17, v21, 0, 8
	v_cvt_f16_i16_e32 v29, v30
	v_lshrrev_b32_e32 v30, v247, v8 /*v264*/
	s_set_vgpr_msb 16                       ;  msbs: dst=0 src0=0 src1=0 src2=1
	v_lshlrev_b32_e32 v37, 20, v37
	v_cvt_f16_i16_e32 v17, v17
	s_delay_alu instid0(VALU_DEP_3) | instskip(NEXT) | instid1(VALU_DEP_3)
	v_lshlrev_b32_e32 v30, 4, v30
	v_and_b32_e32 v37, 0x100000, v37
	s_delay_alu instid0(VALU_DEP_3) | instskip(NEXT) | instid1(VALU_DEP_3)
	v_pack_b32_f16 v17, v29, v17
	v_and_b32_e32 v30, 16, v30
	s_delay_alu instid0(VALU_DEP_3)
	v_or3_b32 v31, v35, v37, v7 /*v263*/
	s_wait_loadcnt 0xa
	s_set_vgpr_msb 4                        ;  msbs: dst=0 src0=0 src1=1 src2=0
	v_dual_ashrrev_i32 v35, v251, v13 /*v269*/ :: v_dual_lshrrev_b32 v37, v254, v8 /*v264*/
	s_set_vgpr_msb 0                        ;  msbs: dst=0 src0=0 src1=0 src2=0
	v_pk_mul_f16 v17, v17, v34
	v_lshrrev_b32_e32 v31, 16, v31
	s_delay_alu instid0(VALU_DEP_2) | instskip(NEXT) | instid1(VALU_DEP_2)
	v_pk_fma_f16 v32, v17, v255, v32
	v_lshlrev_b16 v27, 8, v31
	v_and_b32_e32 v31, 0x1f00, v31
	s_delay_alu instid0(VALU_DEP_2) | instskip(NEXT) | instid1(VALU_DEP_2)
	v_add_nc_u16 v21, 0xf000, v27
	v_add_nc_u16 v27, 0xf000, v31
	s_set_vgpr_msb 4                        ;  msbs: dst=0 src0=0 src1=1 src2=0
	v_lshrrev_b32_e32 v31, v252, v8 /*v264*/
	s_set_vgpr_msb 0                        ;  msbs: dst=0 src0=0 src1=0 src2=0
	v_ashrrev_i16 v21, 8, v21
	v_lshrrev_b32_e32 v27, 8, v27
	s_delay_alu instid0(VALU_DEP_3)
	v_lshlrev_b32_e32 v29, 12, v31
	v_and_b32_e32 v31, 0xf0f0f0f, v35
	s_set_vgpr_msb 4                        ;  msbs: dst=0 src0=0 src1=1 src2=0
	v_lshrrev_b32_e32 v35, v253, v8 /*v264*/
	v_cvt_f16_i16_e32 v21, v21
	v_bfe_i32 v27, v27, 0, 8
	s_set_vgpr_msb 0                        ;  msbs: dst=0 src0=0 src1=0 src2=0
	v_and_b32_e32 v29, 0x1000, v29
	v_lshlrev_b32_e32 v35, 20, v35
	s_delay_alu instid0(VALU_DEP_3) | instskip(NEXT) | instid1(VALU_DEP_3)
	v_cvt_f16_i16_e32 v27, v27
	v_or3_b32 v29, v30, v31, v29
	v_lshlrev_b32_e32 v30, 28, v37
	s_delay_alu instid0(VALU_DEP_4) | instskip(NEXT) | instid1(VALU_DEP_4)
	v_and_b32_e32 v35, 0x100000, v35
	v_pack_b32_f16 v21, v21, v27
	s_delay_alu instid0(VALU_DEP_4) | instskip(NEXT) | instid1(VALU_DEP_4)
	v_lshlrev_b16 v37, 8, v29
	v_and_b32_e32 v30, 0x10000000, v30
	s_delay_alu instid0(VALU_DEP_3) | instskip(NEXT) | instid1(VALU_DEP_3)
	v_pk_mul_f16 v21, v21, v34
	v_add_nc_u16 v27, 0xf000, v37
	s_delay_alu instid0(VALU_DEP_3)
	v_or3_b32 v30, v31, v35, v30
	s_set_vgpr_msb 4                        ;  msbs: dst=0 src0=0 src1=1 src2=0
	v_mul_u32_u24_e32 v31, 0x10001, v19 /*v275*/
	s_wait_loadcnt 0x7
	v_ashrrev_i32_e32 v35, v251, v9 /*v265*/
	s_set_vgpr_msb 0                        ;  msbs: dst=0 src0=0 src1=0 src2=0
	v_pk_fma_f16 v20, v21, v255, v20
	v_lshrrev_b16 v27, 8, v27
	v_lshrrev_b32_e32 v30, 16, v30
	v_pk_fma_f16 v17, v17, v31, v25
	v_pk_fma_f16 v16, v21, v31, v16
	v_mul_u32_u24_e32 v21, 0x10001, v22
	v_bitop3_b16 v25, v29, v27, 0x1f00 bitop3:0xec
	v_lshlrev_b16 v27, 8, v30
	v_and_b32_e32 v29, 0x1f00, v30
	s_set_vgpr_msb 4                        ;  msbs: dst=0 src0=0 src1=1 src2=0
	v_lshrrev_b32_e32 v30, v252, v6 /*v262*/
	s_set_vgpr_msb 0                        ;  msbs: dst=0 src0=0 src1=0 src2=0
	v_and_b32_e32 v35, 0xf0f0f0f, v35
	v_add_nc_u16 v22, 0xf000, v25
	v_add_nc_u16 v25, 0xf000, v27
	;; [unrolled: 1-line block ×3, first 2 shown]
	s_set_vgpr_msb 4                        ;  msbs: dst=0 src0=0 src1=1 src2=0
	v_lshrrev_b32_e32 v29, v247, v6 /*v262*/
	s_set_vgpr_msb 0                        ;  msbs: dst=0 src0=0 src1=0 src2=0
	v_lshlrev_b32_e32 v30, 12, v30
	s_set_vgpr_msb 4                        ;  msbs: dst=0 src0=0 src1=1 src2=0
	v_dual_lshrrev_b32 v37, v253, v6 /*v262*/ :: v_dual_lshrrev_b32 v255, v254, v6 /*v262*/
	s_set_vgpr_msb 0                        ;  msbs: dst=0 src0=0 src1=0 src2=0
	v_dual_lshrrev_b32 v27, 8, v27 :: v_dual_lshlrev_b32 v29, 4, v29
	v_lshrrev_b32_e32 v31, 8, v22
	v_and_b32_e32 v30, 0x1000, v30
	v_bfe_i32 v22, v22, 0, 8
	s_delay_alu instid0(VALU_DEP_4)
	v_bfe_i32 v27, v27, 0, 8
	v_and_b32_e32 v29, 16, v29
	v_bfe_i32 v31, v31, 0, 8
	v_ashrrev_i16 v25, 8, v25
	v_cvt_f16_i16_e32 v22, v22
	v_cvt_f16_i16_e32 v27, v27
	v_or3_b32 v29, v29, v35, v30
	v_dual_lshlrev_b32 v30, 20, v37 :: v_dual_lshlrev_b32 v37, 28, v255
	v_cvt_f16_i16_e32 v31, v31
	v_cvt_f16_i16_e32 v25, v25
	s_delay_alu instid0(VALU_DEP_4) | instskip(NEXT) | instid1(VALU_DEP_4)
	v_lshlrev_b16 v255, 8, v29
	v_and_b32_e32 v30, 0x100000, v30
	v_and_b32_e32 v37, 0x10000000, v37
	s_set_vgpr_msb 4                        ;  msbs: dst=0 src0=0 src1=1 src2=0
	v_mul_u32_u24_e32 v34, 0x10001, v2 /*v258*/
	s_set_vgpr_msb 0                        ;  msbs: dst=0 src0=0 src1=0 src2=0
	v_pack_b32_f16 v22, v22, v31
	v_add_nc_u16 v255, 0xf000, v255
	v_pack_b32_f16 v25, v25, v27
	v_or3_b32 v30, v35, v30, v37
	s_wait_loadcnt 0x4
	v_mul_u32_u24_e32 v26, 0x10001, v26
	v_pk_mul_f16 v22, v22, v34
	v_lshrrev_b16 v31, 8, v255
	v_pk_mul_f16 v25, v25, v34
	v_lshrrev_b32_e32 v27, 16, v30
	s_delay_alu instid0(VALU_DEP_4) | instskip(NEXT) | instid1(VALU_DEP_4)
	v_pk_fma_f16 v17, v22, v18, v17
	v_bitop3_b16 v29, v29, v31, 0x1f00 bitop3:0xec
	v_pk_fma_f16 v31, v22, v21, v32
	s_delay_alu instid0(VALU_DEP_4)
	v_and_b32_e32 v30, 0x1f00, v27
	v_pk_fma_f16 v20, v25, v21, v20
	v_pk_fma_f16 v16, v25, v18, v16
	v_add_nc_u16 v22, 0xf000, v29
	s_set_vgpr_msb 4                        ;  msbs: dst=0 src0=0 src1=1 src2=0
	v_lshrrev_b32_e32 v32, v247, v12 /*v268*/
	s_set_vgpr_msb 0                        ;  msbs: dst=0 src0=0 src1=0 src2=0
	v_add_nc_u16 v29, 0xf000, v30
	s_set_vgpr_msb 4                        ;  msbs: dst=0 src0=0 src1=1 src2=0
	v_mul_u32_u24_e32 v30, 0x10001, v5 /*v261*/
	s_set_vgpr_msb 0                        ;  msbs: dst=0 src0=0 src1=0 src2=0
	v_dual_lshrrev_b32 v18, 8, v22 :: v_dual_lshlrev_b32 v32, 4, v32
	v_lshrrev_b32_e32 v25, 8, v29
	v_lshlrev_b16 v27, 8, v27
	v_bfe_i32 v22, v22, 0, 8
	s_delay_alu instid0(VALU_DEP_4)
	v_bfe_i32 v18, v18, 0, 8
	s_set_vgpr_msb 4                        ;  msbs: dst=0 src0=0 src1=1 src2=0
	v_mul_u32_u24_e32 v29, 0x10001, v0 /*v256*/
	v_bfe_i32 v25, v25, 0, 8
	s_set_vgpr_msb 0                        ;  msbs: dst=0 src0=0 src1=0 src2=0
	v_add_nc_u16 v21, 0xf000, v27
	v_cvt_f16_i16_e32 v22, v22
	v_cvt_f16_i16_e32 v18, v18
	v_mul_u32_u24_e32 v27, 0x10001, v33
	v_cvt_f16_i16_e32 v25, v25
	v_ashrrev_i16 v21, 8, v21
	s_set_vgpr_msb 4                        ;  msbs: dst=0 src0=0 src1=1 src2=0
	v_lshrrev_b32_e32 v33, v254, v12 /*v268*/
	s_set_vgpr_msb 0                        ;  msbs: dst=0 src0=0 src1=0 src2=0
	v_pack_b32_f16 v18, v22, v18
	s_set_vgpr_msb 4                        ;  msbs: dst=0 src0=0 src1=1 src2=0
	v_lshrrev_b32_e32 v22, v252, v12 /*v268*/
	s_wait_loadcnt 0x1
	s_set_vgpr_msb 0                        ;  msbs: dst=0 src0=0 src1=0 src2=0
	v_ashrrev_i32_e32 v28, v251, v28
	v_cvt_f16_i16_e32 v21, v21
	s_wait_loadcnt 0x0
	v_mul_u32_u24_e32 v24, 0x10001, v24
	v_pk_mul_f16 v18, v18, v30
	v_lshlrev_b32_e32 v22, 12, v22
	v_and_b32_e32 v28, 0xf0f0f0f, v28
	v_pack_b32_f16 v21, v21, v25
	s_set_vgpr_msb 4                        ;  msbs: dst=0 src0=0 src1=1 src2=0
	v_ashrrev_i32_e32 v25, v251, v3 /*v259*/
	s_set_vgpr_msb 0                        ;  msbs: dst=0 src0=0 src1=0 src2=0
	v_pk_fma_f16 v31, v18, v27, v31
	v_pk_fma_f16 v17, v18, v29, v17
	v_pk_mul_f16 v21, v21, v30
	v_and_b32_e32 v30, 16, v32
	s_set_vgpr_msb 4                        ;  msbs: dst=0 src0=0 src1=1 src2=0
	v_lshrrev_b32_e32 v32, v253, v12 /*v268*/
	s_set_vgpr_msb 0                        ;  msbs: dst=0 src0=0 src1=0 src2=0
	v_and_b32_e32 v25, 0xf0f0f0f, v25
	v_and_b32_e32 v22, 0x1000, v22
	v_pk_fma_f16 v20, v21, v27, v20
	v_pk_fma_f16 v16, v21, v29, v16
	v_lshlrev_b32_e32 v18, 20, v32
	v_mul_u32_u24_e32 v21, 0x10001, v23
	v_or3_b32 v22, v30, v25, v22
	v_lshlrev_b32_e32 v30, 28, v33
	s_set_vgpr_msb 4                        ;  msbs: dst=0 src0=0 src1=1 src2=0
	v_lshrrev_b32_e32 v29, v253, v16 /*v272*/
	s_set_vgpr_msb 0                        ;  msbs: dst=0 src0=0 src1=0 src2=0
	v_and_b32_e32 v18, 0x100000, v18
	v_lshlrev_b16 v27, 8, v22
	v_and_b32_e32 v30, 0x10000000, v30
	s_delay_alu instid0(VALU_DEP_2) | instskip(NEXT) | instid1(VALU_DEP_2)
	v_add_nc_u16 v23, 0xf000, v27
	v_or3_b32 v18, v25, v18, v30
	s_set_vgpr_msb 4                        ;  msbs: dst=0 src0=0 src1=1 src2=0
	v_dual_lshrrev_b32 v25, v247, v16 /*v272*/ :: v_dual_lshrrev_b32 v27, v252, v16 /*v272*/
	v_lshrrev_b32_e32 v30, v254, v16 /*v272*/
	s_set_vgpr_msb 0                        ;  msbs: dst=0 src0=0 src1=0 src2=0
	v_lshrrev_b16 v23, 8, v23
	s_delay_alu instid0(VALU_DEP_3) | instskip(SKIP_1) | instid1(VALU_DEP_3)
	v_dual_lshrrev_b32 v18, 16, v18 :: v_dual_lshlrev_b32 v25, 4, v25
	v_lshlrev_b32_e32 v27, 12, v27
	v_bitop3_b16 v22, v22, v23, 0x1f00 bitop3:0xec
	s_delay_alu instid0(VALU_DEP_3) | instskip(NEXT) | instid1(VALU_DEP_4)
	v_lshlrev_b16 v23, 8, v18
	v_and_b32_e32 v25, 16, v25
	s_delay_alu instid0(VALU_DEP_4) | instskip(SKIP_3) | instid1(VALU_DEP_4)
	v_and_b32_e32 v27, 0x1000, v27
	v_and_b32_e32 v18, 0x1f00, v18
	v_add_nc_u16 v22, 0xf000, v22
	v_add_nc_u16 v23, 0xf000, v23
	v_or3_b32 v25, v25, v28, v27
	v_dual_lshlrev_b32 v27, 20, v29 :: v_dual_lshlrev_b32 v29, 28, v30
	s_delay_alu instid0(VALU_DEP_4) | instskip(SKIP_1) | instid1(VALU_DEP_4)
	v_lshrrev_b32_e32 v30, 8, v22
	v_add_nc_u16 v18, 0xf000, v18
	v_lshlrev_b16 v32, 8, v25
	s_delay_alu instid0(VALU_DEP_4)
	v_and_b32_e32 v27, 0x100000, v27
	v_and_b32_e32 v29, 0x10000000, v29
	v_bfe_i32 v22, v22, 0, 8
	v_bfe_i32 v30, v30, 0, 8
	v_add_nc_u16 v32, 0xf000, v32
	v_lshrrev_b32_e32 v18, 8, v18
	v_or3_b32 v27, v28, v27, v29
	v_cvt_f16_i16_e32 v22, v22
	v_cvt_f16_i16_e32 v29, v30
	v_lshrrev_b16 v28, 8, v32
	v_ashrrev_i16 v23, 8, v23
	v_lshrrev_b32_e32 v27, 16, v27
	v_bfe_i32 v18, v18, 0, 8
	v_pack_b32_f16 v22, v22, v29
	v_bitop3_b16 v25, v25, v28, 0x1f00 bitop3:0xec
	v_cvt_f16_i16_e32 v23, v23
	v_and_b32_e32 v28, 0x1f00, v27
	v_lshlrev_b16 v27, 8, v27
	v_cvt_f16_i16_e32 v18, v18
	v_add_nc_u16 v25, 0xf000, v25
	v_pk_mul_f16 v22, v22, v26
	v_add_nc_u16 v28, 0xf000, v28
	v_add_nc_u16 v27, 0xf000, v27
	v_pack_b32_f16 v18, v23, v18
	v_lshrrev_b32_e32 v29, 8, v25
	v_bfe_i32 v23, v25, 0, 8
	v_lshrrev_b32_e32 v28, 8, v28
	v_ashrrev_i16 v27, 8, v27
	v_pk_mul_f16 v18, v18, v26
	v_bfe_i32 v25, v29, 0, 8
	v_cvt_f16_i16_e32 v23, v23
	v_bfe_i32 v28, v28, 0, 8
	v_cvt_f16_i16_e32 v26, v27
	v_pk_fma_f16 v17, v22, v19, v17
	v_cvt_f16_i16_e32 v25, v25
	v_pk_fma_f16 v20, v18, v21, v20
	v_cvt_f16_i16_e32 v27, v28
	v_pk_fma_f16 v28, v22, v21, v31
	s_set_vgpr_msb 4                        ;  msbs: dst=0 src0=0 src1=1 src2=0
	v_mul_u32_u24_e32 v21, 0x10001, v4 /*v260*/
	s_set_vgpr_msb 0                        ;  msbs: dst=0 src0=0 src1=0 src2=0
	v_pack_b32_f16 v23, v23, v25
	s_set_vgpr_msb 4                        ;  msbs: dst=0 src0=0 src1=1 src2=0
	v_mul_u32_u24_e32 v25, 0x10001, v20 /*v276*/
	s_set_vgpr_msb 0                        ;  msbs: dst=0 src0=0 src1=0 src2=0
	v_pack_b32_f16 v22, v26, v27
	v_pk_fma_f16 v19, v18, v19, v16
	v_pk_mul_f16 v23, v23, v24
	s_delay_alu instid0(VALU_DEP_3) | instskip(NEXT) | instid1(VALU_DEP_2)
	v_pk_mul_f16 v22, v22, v24
	v_pk_fma_f16 v16, v23, v21, v28
	v_pk_fma_f16 v18, v23, v25, v17
	s_delay_alu instid0(VALU_DEP_3)
	v_pk_fma_f16 v17, v22, v21, v20
	v_pk_fma_f16 v19, v22, v25, v19
	s_cbranch_scc1 .LBB22_44
; %bb.42:                               ;   in Loop: Header=BB22_17 Depth=1
	v_dual_mov_b32 v29, v228 :: v_dual_mov_b32 v28, v229
	s_branch .LBB22_17
.LBB22_43:
	v_mov_b64_e32 v[228:229], 0xfefffffffeffffff
	v_mov_b32_e32 v70, 0
	s_branch .LBB22_45
.LBB22_44:
	ds_store_b128 v238, v[16:19]
.LBB22_45:
	s_cmp_eq_u64 s[12:13], 0
	s_cselect_b32 s1, -1, 0
	s_cmp_lg_u32 s33, 0
	s_cselect_b32 s4, -1, 0
	s_delay_alu instid0(SALU_CYCLE_1) | instskip(NEXT) | instid1(SALU_CYCLE_1)
	s_or_b32 s1, s4, s1
	s_nor_b32 s0, s1, s0
	s_delay_alu instid0(SALU_CYCLE_1)
	s_and_saveexec_b32 s1, s0
	s_cbranch_execz .LBB22_47
; %bb.46:
	s_ashr_i32 s29, s28, 31
	v_cmp_eq_u32_e32 vcc_lo, 1, v233
	s_lshl_b64 s[4:5], s[28:29], 2
	s_delay_alu instid0(SALU_CYCLE_1) | instskip(SKIP_2) | instid1(VALU_DEP_1)
	s_add_nc_u64 s[4:5], s[12:13], s[4:5]
	s_load_b32 s0, s[4:5], 0x0
	v_cndmask_b32_e32 v0, v228, v229, vcc_lo
	v_max_num_f32_e32 v1, v0, v0
	s_wait_kmcnt 0x0
	v_max_num_f32_e64 v2, s0, s0
	s_delay_alu instid0(VALU_DEP_1) | instskip(NEXT) | instid1(VALU_DEP_1)
	v_max_num_f32_e32 v2, v2, v1
	v_sub_f32_e32 v4, s0, v2
	s_delay_alu instid0(VALU_DEP_1) | instskip(SKIP_1) | instid1(VALU_DEP_2)
	v_mul_f32_e32 v1, 0x3fb8aa3b, v4
	v_dual_sub_f32 v3, v0, v2 :: v_dual_cndmask_b32 v229, v229, v2, vcc_lo
	v_rndne_f32_e32 v8, v1
	s_delay_alu instid0(VALU_DEP_2) | instskip(SKIP_2) | instid1(VALU_DEP_4)
	v_mul_f32_e32 v0, 0x3fb8aa3b, v3
	v_fma_f32 v7, 0x3fb8aa3b, v4, -v1
	v_cmp_ngt_f32_e64 s0, 0xc2ce8ed0, v3
	v_sub_f32_e32 v1, v1, v8
	s_delay_alu instid0(VALU_DEP_4) | instskip(SKIP_1) | instid1(VALU_DEP_1)
	v_fma_f32 v5, 0x3fb8aa3b, v3, -v0
	v_rndne_f32_e32 v6, v0
	v_dual_fmac_f32 v5, 0x32a5705f, v3 :: v_dual_sub_f32 v0, v0, v6
	s_delay_alu instid0(VALU_DEP_1) | instskip(SKIP_2) | instid1(VALU_DEP_3)
	v_dual_fmac_f32 v7, 0x32a5705f, v4 :: v_dual_add_f32 v0, v0, v5
	v_cvt_i32_f32_e32 v5, v6
	v_cvt_i32_f32_e32 v6, v8
	v_exp_f32_e32 v0, v0
	v_nop
	s_delay_alu instid0(TRANS32_DEP_1) | instskip(SKIP_2) | instid1(VALU_DEP_3)
	v_ldexp_f32 v0, v0, v5
	v_add_f32_e32 v1, v1, v7
	v_lshl_add_u32 v5, v233, 3, v238
	v_cndmask_b32_e64 v7, 0, v0, s0
	s_delay_alu instid0(VALU_DEP_3) | instskip(SKIP_1) | instid1(TRANS32_DEP_1)
	v_exp_f32_e32 v1, v1
	v_cmp_ngt_f32_e64 s0, 0xc2ce8ed0, v4
	v_ldexp_f32 v6, v1, v6
	ds_load_b64 v[0:1], v5
	v_cndmask_b32_e64 v6, 0, v6, s0
	v_cmp_nlt_f32_e64 s0, 0x42b17218, v3
	s_delay_alu instid0(VALU_DEP_1) | instskip(SKIP_2) | instid1(VALU_DEP_2)
	v_cndmask_b32_e64 v3, 0x7f800000, v7, s0
	v_cmp_nlt_f32_e64 s0, 0x42b17218, v4
	v_cndmask_b32_e32 v7, v70, v71, vcc_lo
	v_cndmask_b32_e64 v4, 0x7f800000, v6, s0
	s_delay_alu instid0(VALU_DEP_4) | instskip(SKIP_1) | instid1(VALU_DEP_2)
	v_cvt_f16_f32_e32 v6, v3
	v_cmp_eq_u32_e64 s0, 0, v232
	v_and_b32_e32 v6, 0xffff, v6
	s_delay_alu instid0(VALU_DEP_2) | instskip(SKIP_1) | instid1(VALU_DEP_1)
	v_cndmask_b32_e64 v4, 0, v4, s0
	v_cmp_eq_u32_e64 s0, 0, v233
	v_dual_fmac_f32 v4, v7, v3 :: v_dual_cndmask_b32 v228, v228, v2, s0
	s_delay_alu instid0(VALU_DEP_4) | instskip(NEXT) | instid1(VALU_DEP_2)
	v_mul_u32_u24_e32 v3, 0x10001, v6
	v_dual_cndmask_b32 v71, v71, v4, vcc_lo :: v_dual_cndmask_b32 v70, v70, v4, s0
	s_wait_dscnt 0x0
	s_delay_alu instid0(VALU_DEP_2)
	v_pk_mul_f16 v0, v0, v3
	v_pk_mul_f16 v1, v1, v3
	ds_store_b64 v5, v[0:1]
.LBB22_47:
	s_or_b32 exec_lo, exec_lo, s1
	v_add_nc_u32_e32 v4, 0x500, v236
	v_add_nc_u32_e32 v7, 0x400, v236
	s_mov_b32 s0, exec_lo
	v_cmpx_eq_u32_e32 0, v233
	s_cbranch_execz .LBB22_49
; %bb.48:
	v_dual_mov_b32 v0, 0xfeffffff :: v_dual_mov_b32 v1, 0
	ds_store_2addr_b32 v7, v0, v0 offset1:32
	ds_store_2addr_b32 v4, v1, v1 offset1:32
.LBB22_49:
	s_or_b32 exec_lo, exec_lo, s0
	v_cmp_eq_u32_e64 s0, 0, v232
	s_wait_dscnt 0x0
	s_barrier_signal -1
	s_barrier_wait -1
	s_and_saveexec_b32 s1, s0
; %bb.50:
	v_lshlrev_b32_e32 v0, 2, v233
	s_delay_alu instid0(VALU_DEP_1)
	v_add_nc_u32_e32 v0, 0x400, v0
	ds_store_2addr_b32 v0, v228, v229 offset1:32
; %bb.51:
	s_or_b32 exec_lo, exec_lo, s1
	s_cmp_lt_i32 s30, s24
	s_wait_dscnt 0x0
	s_barrier_signal -1
	s_barrier_wait -1
	s_cbranch_scc1 .LBB22_53
; %bb.52:
	s_load_b32 s4, s[2:3], 0xd4
	s_cbranch_execz .LBB22_54
	s_branch .LBB22_62
.LBB22_53:
                                        ; implicit-def: $sgpr4
.LBB22_54:
	v_xor_b32_e32 v2, 8, v240
	v_xor_b32_e32 v1, 16, v240
	ds_load_b32 v0, v7
	ds_load_b64 v[12:13], v238
	s_wait_kmcnt 0x0
	s_load_b32 s4, s[2:3], 0xd4
	v_cmp_gt_i32_e32 vcc_lo, 32, v1
	v_cndmask_b32_e32 v1, v240, v1, vcc_lo
	v_cmp_gt_i32_e32 vcc_lo, 32, v2
	v_cndmask_b32_e32 v2, v240, v2, vcc_lo
	s_delay_alu instid0(VALU_DEP_1)
	v_dual_lshlrev_b32 v8, 2, v2 :: v_dual_lshlrev_b32 v5, 2, v1
	v_xor_b32_e32 v2, 4, v240
	s_wait_dscnt 0x1
	ds_bpermute_b32 v1, v5, v0
	v_max_num_f32_e32 v0, v0, v0
	v_cmp_gt_i32_e32 vcc_lo, 32, v2
	s_wait_dscnt 0x0
	v_max_num_f32_e32 v1, v1, v1
	s_delay_alu instid0(VALU_DEP_1) | instskip(SKIP_3) | instid1(VALU_DEP_1)
	v_max_num_f32_e32 v0, v0, v1
	ds_bpermute_b32 v1, v8, v0
	s_wait_dscnt 0x0
	v_dual_cndmask_b32 v2, v240, v2 :: v_dual_max_num_f32 v1, v1, v1
	v_dual_lshlrev_b32 v6, 2, v2 :: v_dual_max_num_f32 v0, v0, v1
	ds_bpermute_b32 v1, v6, v0
	s_wait_dscnt 0x0
	v_dual_max_num_f32 v1, v1, v1 :: v_dual_bitop2_b32 v2, 2, v240 bitop3:0x14
	s_delay_alu instid0(VALU_DEP_1) | instskip(NEXT) | instid1(VALU_DEP_2)
	v_cmp_gt_i32_e32 vcc_lo, 32, v2
	v_max_num_f32_e32 v0, v0, v1
	v_cndmask_b32_e32 v2, v240, v2, vcc_lo
	s_delay_alu instid0(VALU_DEP_1) | instskip(SKIP_3) | instid1(VALU_DEP_1)
	v_lshlrev_b32_e32 v9, 2, v2
	ds_bpermute_b32 v1, v9, v0
	s_wait_dscnt 0x0
	v_dual_max_num_f32 v1, v1, v1 :: v_dual_bitop2_b32 v2, 1, v240 bitop3:0x14
	v_max_num_f32_e32 v0, v0, v1
	s_delay_alu instid0(VALU_DEP_2) | instskip(SKIP_1) | instid1(VALU_DEP_1)
	v_cmp_gt_i32_e32 vcc_lo, 32, v2
	v_cndmask_b32_e32 v2, v240, v2, vcc_lo
	v_lshlrev_b32_e32 v10, 2, v2
	ds_bpermute_b32 v1, v10, v0
	s_wait_dscnt 0x0
	v_max_num_f32_e32 v1, v1, v1
	s_delay_alu instid0(VALU_DEP_1) | instskip(NEXT) | instid1(VALU_DEP_1)
	v_max_num_f32_e32 v0, v0, v1
	v_sub_f32_e32 v1, v228, v0
	s_delay_alu instid0(VALU_DEP_1) | instskip(NEXT) | instid1(VALU_DEP_1)
	v_mul_f32_e32 v2, 0x3fb8aa3b, v1
	v_fma_f32 v3, 0x3fb8aa3b, v1, -v2
	v_rndne_f32_e32 v11, v2
	s_delay_alu instid0(VALU_DEP_1) | instskip(SKIP_1) | instid1(VALU_DEP_4)
	v_sub_f32_e32 v2, v2, v11
	v_cmp_ngt_f32_e32 vcc_lo, 0xc2ce8ed0, v1
	v_fmamk_f32 v3, v1, 0x32a5705f, v3
	s_delay_alu instid0(VALU_DEP_1) | instskip(SKIP_2) | instid1(VALU_DEP_3)
	v_add_f32_e32 v2, v2, v3
	v_cvt_i32_f32_e32 v3, v11
	v_lshlrev_b32_e32 v11, 3, v232
	v_exp_f32_e32 v2, v2
	v_nop
	s_delay_alu instid0(TRANS32_DEP_1) | instskip(NEXT) | instid1(VALU_DEP_1)
	v_ldexp_f32 v2, v2, v3
	v_cndmask_b32_e32 v2, 0, v2, vcc_lo
	v_cmp_nlt_f32_e32 vcc_lo, 0x42b17218, v1
	s_delay_alu instid0(VALU_DEP_2) | instskip(NEXT) | instid1(VALU_DEP_1)
	v_cndmask_b32_e32 v2, 0x7f800000, v2, vcc_lo
	v_mul_f32_e32 v1, v70, v2
	ds_bpermute_b32 v1, v5, v1
	s_wait_dscnt 0x0
	v_fmac_f32_e32 v1, v70, v2
	ds_bpermute_b32 v3, v8, v1
	s_wait_dscnt 0x0
	v_add_f32_e32 v1, v1, v3
	ds_bpermute_b32 v3, v6, v1
	s_wait_dscnt 0x0
	v_add_f32_e32 v1, v1, v3
	ds_bpermute_b32 v3, v9, v1
	s_wait_dscnt 0x0
	v_add_f32_e32 v1, v1, v3
	v_cvt_f16_f32_e32 v3, v2
	ds_bpermute_b32 v2, v10, v1
	v_and_b32_e32 v3, 0xffff, v3
	s_delay_alu instid0(VALU_DEP_1) | instskip(NEXT) | instid1(VALU_DEP_1)
	v_mul_u32_u24_e32 v3, 0x10001, v3
	v_pk_mul_f16 v14, v12, v3
	v_pk_mul_f16 v15, v13, v3
	v_add_nc_u32_e32 v12, v234, v11
	v_lshl_add_u32 v11, v233, 2, 0x500
	ds_store_b64 v238, v[14:15]
	ds_store_b64 v12, v[14:15]
	s_and_saveexec_b32 s1, s0
	s_cbranch_execz .LBB22_56
; %bb.55:
	s_wait_dscnt 0x2
	v_add_f32_e32 v1, v1, v2
	ds_store_b32 v11, v1
.LBB22_56:
	s_or_b32 exec_lo, exec_lo, s1
	s_wait_dscnt 0x0
	s_barrier_signal -1
	s_barrier_wait -1
	ds_load_b32 v1, v4
	ds_load_u16 v2, v237
	ds_load_u16 v13, v237 offset:256
	ds_load_u16 v16, v237 offset:512
	;; [unrolled: 1-line block ×3, first 2 shown]
	s_wait_kmcnt 0x0
	s_cmp_eq_u32 s4, 1
	s_mul_i32 s2, s26, s24
	s_cselect_b32 s1, -1, 0
	s_add_co_i32 s2, s30, s2
	v_mov_b32_e32 v14, 0
	s_mul_i32 s2, s2, s25
	s_delay_alu instid0(SALU_CYCLE_1) | instskip(NEXT) | instid1(SALU_CYCLE_1)
	s_add_co_i32 s2, s2, s28
	s_mul_i32 s3, s4, s2
	s_delay_alu instid0(SALU_CYCLE_1)
	s_add_co_i32 s3, s3, s33
	s_wait_dscnt 0x4
	ds_bpermute_b32 v3, v5, v1
	s_wait_dscnt 0x4
	v_cvt_f32_f16_e32 v2, v2
	s_wait_dscnt 0x0
	v_add_f32_e32 v3, v1, v3
	ds_bpermute_b32 v15, v8, v3
	s_wait_dscnt 0x0
	v_pk_add_f32 v[2:3], v[2:3], v[14:15]
	v_cvt_f32_f16_e32 v14, v13
	ds_bpermute_b32 v15, v6, v3
	s_wait_dscnt 0x0
	v_pk_add_f32 v[2:3], v[2:3], v[14:15]
	v_cvt_f32_f16_e32 v14, v16
	ds_bpermute_b32 v15, v9, v3
	s_wait_dscnt 0x0
	v_pk_add_f32 v[2:3], v[2:3], v[14:15]
	v_cvt_f32_f16_e32 v14, v17
	ds_bpermute_b32 v15, v10, v3
	s_wait_dscnt 0x0
	v_pk_add_f32 v[2:3], v[2:3], v[14:15]
	s_delay_alu instid0(VALU_DEP_1) | instskip(SKIP_1) | instid1(VALU_DEP_2)
	v_div_scale_f32 v1, null, v3, v3, v2
	v_div_scale_f32 v15, vcc_lo, v2, v3, v2
	v_rcp_f32_e32 v13, v1
	v_nop
	s_delay_alu instid0(TRANS32_DEP_1) | instskip(NEXT) | instid1(VALU_DEP_1)
	v_fma_f32 v14, -v1, v13, 1.0
	v_fmac_f32_e32 v13, v14, v13
	s_delay_alu instid0(VALU_DEP_1) | instskip(NEXT) | instid1(VALU_DEP_1)
	v_mul_f32_e32 v14, v15, v13
	v_fma_f32 v16, -v1, v14, v15
	s_delay_alu instid0(VALU_DEP_1) | instskip(NEXT) | instid1(VALU_DEP_1)
	v_fmac_f32_e32 v14, v16, v13
	v_fma_f32 v1, -v1, v14, v15
	s_delay_alu instid0(VALU_DEP_1) | instskip(SKIP_2) | instid1(SALU_CYCLE_1)
	v_div_fmas_f32 v1, v1, v13, v14
	v_lshl_or_b32 v13, s3, 7, v235
	s_or_b32 s3, s30, 1
	s_cmp_ge_i32 s3, s24
	s_delay_alu instid0(VALU_DEP_2) | instskip(NEXT) | instid1(VALU_DEP_1)
	v_div_fixup_f32 v1, v1, v3, v2
	v_cndmask_b32_e64 v2, v2, v1, s1
	global_store_b32 v13, v2, s[16:17] scale_offset
	s_wait_storecnt 0x0
	s_barrier_signal -1
	s_barrier_wait -1
	s_cbranch_scc1 .LBB22_60
; %bb.57:
	ds_load_b32 v1, v7 offset:128
	s_wait_dscnt 0x0
	s_wait_xcnt 0x0
	ds_bpermute_b32 v2, v5, v1
	s_wait_dscnt 0x0
	v_dual_max_num_f32 v1, v1, v1 :: v_dual_max_num_f32 v2, v2, v2
	s_delay_alu instid0(VALU_DEP_1) | instskip(SKIP_3) | instid1(VALU_DEP_1)
	v_max_num_f32_e32 v1, v1, v2
	ds_bpermute_b32 v2, v8, v1
	s_wait_dscnt 0x0
	v_max_num_f32_e32 v2, v2, v2
	v_max_num_f32_e32 v1, v1, v2
	ds_bpermute_b32 v2, v6, v1
	s_wait_dscnt 0x0
	v_max_num_f32_e32 v2, v2, v2
	s_delay_alu instid0(VALU_DEP_1) | instskip(SKIP_3) | instid1(VALU_DEP_1)
	v_max_num_f32_e32 v1, v1, v2
	ds_bpermute_b32 v2, v9, v1
	s_wait_dscnt 0x0
	v_max_num_f32_e32 v2, v2, v2
	v_max_num_f32_e32 v1, v1, v2
	ds_bpermute_b32 v2, v10, v1
	s_wait_dscnt 0x0
	v_max_num_f32_e32 v2, v2, v2
	s_delay_alu instid0(VALU_DEP_1) | instskip(NEXT) | instid1(VALU_DEP_1)
	v_max_num_f32_e32 v1, v1, v2
	v_sub_f32_e32 v2, v229, v1
	s_delay_alu instid0(VALU_DEP_1) | instskip(NEXT) | instid1(VALU_DEP_1)
	v_mul_f32_e32 v7, 0x3fb8aa3b, v2
	v_fma_f32 v13, 0x3fb8aa3b, v2, -v7
	v_rndne_f32_e32 v14, v7
	s_delay_alu instid0(VALU_DEP_1) | instskip(NEXT) | instid1(VALU_DEP_3)
	v_sub_f32_e32 v7, v7, v14
	v_fmamk_f32 v13, v2, 0x32a5705f, v13
	v_cmp_ngt_f32_e32 vcc_lo, 0xc2ce8ed0, v2
	s_delay_alu instid0(VALU_DEP_2) | instskip(SKIP_4) | instid1(TRANS32_DEP_1)
	v_add_f32_e32 v7, v7, v13
	v_cvt_i32_f32_e32 v13, v14
	ds_load_b64 v[14:15], v238 offset:8
	v_exp_f32_e32 v7, v7
	v_nop
	v_ldexp_f32 v7, v7, v13
	s_delay_alu instid0(VALU_DEP_1) | instskip(SKIP_1) | instid1(VALU_DEP_2)
	v_cndmask_b32_e32 v7, 0, v7, vcc_lo
	v_cmp_nlt_f32_e32 vcc_lo, 0x42b17218, v2
	v_cndmask_b32_e32 v7, 0x7f800000, v7, vcc_lo
	s_delay_alu instid0(VALU_DEP_1)
	v_mul_f32_e32 v2, v71, v7
	ds_bpermute_b32 v2, v5, v2
	s_wait_dscnt 0x0
	v_fmac_f32_e32 v2, v71, v7
	ds_bpermute_b32 v13, v8, v2
	s_wait_dscnt 0x0
	v_add_f32_e32 v2, v2, v13
	ds_bpermute_b32 v13, v6, v2
	s_wait_dscnt 0x0
	v_add_f32_e32 v2, v2, v13
	;; [unrolled: 3-line block ×3, first 2 shown]
	v_cvt_f16_f32_e32 v13, v7
	ds_bpermute_b32 v7, v10, v2
	v_and_b32_e32 v13, 0xffff, v13
	s_delay_alu instid0(VALU_DEP_1) | instskip(NEXT) | instid1(VALU_DEP_1)
	v_mul_u32_u24_e32 v13, 0x10001, v13
	v_pk_mul_f16 v14, v14, v13
	v_pk_mul_f16 v15, v15, v13
	ds_store_b64 v238, v[14:15] offset:8
	ds_store_b64 v12, v[14:15]
	s_and_saveexec_b32 s3, s0
	s_cbranch_execz .LBB22_59
; %bb.58:
	s_wait_dscnt 0x2
	v_add_f32_e32 v2, v2, v7
	ds_store_b32 v11, v2 offset:128
.LBB22_59:
	s_or_b32 exec_lo, exec_lo, s3
	s_wait_dscnt 0x0
	s_barrier_signal -1
	s_barrier_wait -1
	ds_load_b32 v2, v4 offset:128
	ds_load_u16 v4, v237
	ds_load_u16 v11, v237 offset:256
	ds_load_u16 v14, v237 offset:512
	;; [unrolled: 1-line block ×3, first 2 shown]
	s_add_co_i32 s2, s2, s25
	v_mov_b32_e32 v12, 0
	s_mul_i32 s0, s4, s2
	s_delay_alu instid0(SALU_CYCLE_1)
	s_add_co_i32 s0, s0, s33
	s_wait_dscnt 0x4
	ds_bpermute_b32 v5, v5, v2
	s_wait_dscnt 0x4
	v_cvt_f32_f16_e32 v4, v4
	s_wait_dscnt 0x0
	v_add_f32_e32 v5, v2, v5
	ds_bpermute_b32 v13, v8, v5
	s_wait_dscnt 0x0
	v_pk_add_f32 v[4:5], v[4:5], v[12:13]
	ds_bpermute_b32 v7, v6, v5
	v_cvt_f32_f16_e32 v6, v11
	s_wait_dscnt 0x0
	s_delay_alu instid0(VALU_DEP_1)
	v_pk_add_f32 v[4:5], v[4:5], v[6:7]
	v_cvt_f32_f16_e32 v6, v14
	ds_bpermute_b32 v7, v9, v5
	s_wait_dscnt 0x0
	v_pk_add_f32 v[4:5], v[4:5], v[6:7]
	v_cvt_f32_f16_e32 v6, v15
	ds_bpermute_b32 v7, v10, v5
	s_wait_dscnt 0x0
	v_pk_add_f32 v[70:71], v[4:5], v[6:7]
	s_delay_alu instid0(VALU_DEP_1) | instskip(NEXT) | instid1(VALU_DEP_1)
	v_div_scale_f32 v2, null, v71, v71, v70
	v_rcp_f32_e32 v4, v2
	v_nop
	s_delay_alu instid0(TRANS32_DEP_1) | instskip(NEXT) | instid1(VALU_DEP_1)
	v_fma_f32 v5, -v2, v4, 1.0
	v_fmac_f32_e32 v4, v5, v4
	v_div_scale_f32 v5, vcc_lo, v70, v71, v70
	s_delay_alu instid0(VALU_DEP_1) | instskip(NEXT) | instid1(VALU_DEP_1)
	v_mul_f32_e32 v6, v5, v4
	v_fma_f32 v7, -v2, v6, v5
	s_delay_alu instid0(VALU_DEP_1) | instskip(NEXT) | instid1(VALU_DEP_1)
	v_fmac_f32_e32 v6, v7, v4
	v_fma_f32 v2, -v2, v6, v5
	s_delay_alu instid0(VALU_DEP_1) | instskip(SKIP_1) | instid1(VALU_DEP_2)
	v_div_fmas_f32 v2, v2, v4, v6
	v_lshl_or_b32 v4, s0, 7, v235
	v_div_fixup_f32 v2, v2, v71, v70
	s_delay_alu instid0(VALU_DEP_1)
	v_cndmask_b32_e64 v2, v70, v2, s1
	global_store_b32 v4, v2, s[16:17] scale_offset
	s_branch .LBB22_61
.LBB22_60:
	v_mov_b32_e32 v1, v229
.LBB22_61:
	s_delay_alu instid0(VALU_DEP_1)
	v_mov_b64_e32 v[228:229], v[0:1]
	v_mov_b32_e32 v70, v3
.LBB22_62:
	v_or_b32_e32 v0, s30, v232
	v_cmp_gt_u32_e32 vcc_lo, 2, v235
	s_wait_kmcnt 0x0
	s_cmp_lg_u32 s4, 1
	s_cselect_b32 s1, -1, 0
	v_cmp_gt_i32_e64 s0, s24, v0
	s_and_b32 s1, s1, vcc_lo
	s_delay_alu instid0(SALU_CYCLE_1) | instskip(NEXT) | instid1(SALU_CYCLE_1)
	s_and_b32 s0, s1, s0
	s_and_saveexec_b32 s1, s0
	s_cbranch_execz .LBB22_64
; %bb.63:
	v_mad_u32 v0, s26, s24, v0
	v_cmp_eq_u32_e32 vcc_lo, 1, v235
	v_cndmask_b32_e32 v1, v70, v71, vcc_lo
	s_delay_alu instid0(VALU_DEP_3) | instskip(NEXT) | instid1(VALU_DEP_1)
	v_mad_u32 v0, v0, s25, s28
	v_mad_u32 v2, s4, v0, s33
	v_cndmask_b32_e32 v0, v228, v229, vcc_lo
	global_store_b64 v2, v[0:1], s[18:19] scale_offset
.LBB22_64:
	s_sendmsg sendmsg(MSG_DEALLOC_VGPRS)
	s_endpgm
	.section	.rodata,"a",@progbits
	.p2align	6, 0x0
	.amdhsa_kernel _ZL18flash_attn_ext_vecILi128ELi2EL9ggml_type6ELS0_6ELb1EEvPKcS2_S2_S2_S2_PKiPfP15HIP_vector_typeIfLj2EEffffjfiS6_IjLj3EEiiiiiiiiiiiliiliiiiil
		.amdhsa_group_segment_fixed_size 3584
		.amdhsa_private_segment_fixed_size 0
		.amdhsa_kernarg_size 464
		.amdhsa_user_sgpr_count 4
		.amdhsa_user_sgpr_dispatch_ptr 1
		.amdhsa_user_sgpr_queue_ptr 0
		.amdhsa_user_sgpr_kernarg_segment_ptr 1
		.amdhsa_user_sgpr_dispatch_id 0
		.amdhsa_user_sgpr_kernarg_preload_length 0
		.amdhsa_user_sgpr_kernarg_preload_offset 0
		.amdhsa_user_sgpr_private_segment_size 0
		.amdhsa_wavefront_size32 1
		.amdhsa_uses_dynamic_stack 0
		.amdhsa_enable_private_segment 0
		.amdhsa_system_sgpr_workgroup_id_x 1
		.amdhsa_system_sgpr_workgroup_id_y 1
		.amdhsa_system_sgpr_workgroup_id_z 1
		.amdhsa_system_sgpr_workgroup_info 0
		.amdhsa_system_vgpr_workitem_id 2
		.amdhsa_next_free_vgpr 326
		.amdhsa_next_free_sgpr 58
		.amdhsa_named_barrier_count 0
		.amdhsa_reserve_vcc 1
		.amdhsa_float_round_mode_32 0
		.amdhsa_float_round_mode_16_64 0
		.amdhsa_float_denorm_mode_32 3
		.amdhsa_float_denorm_mode_16_64 3
		.amdhsa_fp16_overflow 0
		.amdhsa_memory_ordered 1
		.amdhsa_forward_progress 1
		.amdhsa_inst_pref_size 255
		.amdhsa_round_robin_scheduling 0
		.amdhsa_exception_fp_ieee_invalid_op 0
		.amdhsa_exception_fp_denorm_src 0
		.amdhsa_exception_fp_ieee_div_zero 0
		.amdhsa_exception_fp_ieee_overflow 0
		.amdhsa_exception_fp_ieee_underflow 0
		.amdhsa_exception_fp_ieee_inexact 0
		.amdhsa_exception_int_div_zero 0
	.end_amdhsa_kernel
	.section	.text._ZL18flash_attn_ext_vecILi128ELi2EL9ggml_type6ELS0_6ELb1EEvPKcS2_S2_S2_S2_PKiPfP15HIP_vector_typeIfLj2EEffffjfiS6_IjLj3EEiiiiiiiiiiiliiliiiiil,"axG",@progbits,_ZL18flash_attn_ext_vecILi128ELi2EL9ggml_type6ELS0_6ELb1EEvPKcS2_S2_S2_S2_PKiPfP15HIP_vector_typeIfLj2EEffffjfiS6_IjLj3EEiiiiiiiiiiiliiliiiiil,comdat
.Lfunc_end22:
	.size	_ZL18flash_attn_ext_vecILi128ELi2EL9ggml_type6ELS0_6ELb1EEvPKcS2_S2_S2_S2_PKiPfP15HIP_vector_typeIfLj2EEffffjfiS6_IjLj3EEiiiiiiiiiiiliiliiiiil, .Lfunc_end22-_ZL18flash_attn_ext_vecILi128ELi2EL9ggml_type6ELS0_6ELb1EEvPKcS2_S2_S2_S2_PKiPfP15HIP_vector_typeIfLj2EEffffjfiS6_IjLj3EEiiiiiiiiiiiliiliiiiil
                                        ; -- End function
	.set _ZL18flash_attn_ext_vecILi128ELi2EL9ggml_type6ELS0_6ELb1EEvPKcS2_S2_S2_S2_PKiPfP15HIP_vector_typeIfLj2EEffffjfiS6_IjLj3EEiiiiiiiiiiiliiliiiiil.num_vgpr, 326
	.set _ZL18flash_attn_ext_vecILi128ELi2EL9ggml_type6ELS0_6ELb1EEvPKcS2_S2_S2_S2_PKiPfP15HIP_vector_typeIfLj2EEffffjfiS6_IjLj3EEiiiiiiiiiiiliiliiiiil.num_agpr, 0
	.set _ZL18flash_attn_ext_vecILi128ELi2EL9ggml_type6ELS0_6ELb1EEvPKcS2_S2_S2_S2_PKiPfP15HIP_vector_typeIfLj2EEffffjfiS6_IjLj3EEiiiiiiiiiiiliiliiiiil.numbered_sgpr, 58
	.set _ZL18flash_attn_ext_vecILi128ELi2EL9ggml_type6ELS0_6ELb1EEvPKcS2_S2_S2_S2_PKiPfP15HIP_vector_typeIfLj2EEffffjfiS6_IjLj3EEiiiiiiiiiiiliiliiiiil.num_named_barrier, 0
	.set _ZL18flash_attn_ext_vecILi128ELi2EL9ggml_type6ELS0_6ELb1EEvPKcS2_S2_S2_S2_PKiPfP15HIP_vector_typeIfLj2EEffffjfiS6_IjLj3EEiiiiiiiiiiiliiliiiiil.private_seg_size, 0
	.set _ZL18flash_attn_ext_vecILi128ELi2EL9ggml_type6ELS0_6ELb1EEvPKcS2_S2_S2_S2_PKiPfP15HIP_vector_typeIfLj2EEffffjfiS6_IjLj3EEiiiiiiiiiiiliiliiiiil.uses_vcc, 1
	.set _ZL18flash_attn_ext_vecILi128ELi2EL9ggml_type6ELS0_6ELb1EEvPKcS2_S2_S2_S2_PKiPfP15HIP_vector_typeIfLj2EEffffjfiS6_IjLj3EEiiiiiiiiiiiliiliiiiil.uses_flat_scratch, 0
	.set _ZL18flash_attn_ext_vecILi128ELi2EL9ggml_type6ELS0_6ELb1EEvPKcS2_S2_S2_S2_PKiPfP15HIP_vector_typeIfLj2EEffffjfiS6_IjLj3EEiiiiiiiiiiiliiliiiiil.has_dyn_sized_stack, 0
	.set _ZL18flash_attn_ext_vecILi128ELi2EL9ggml_type6ELS0_6ELb1EEvPKcS2_S2_S2_S2_PKiPfP15HIP_vector_typeIfLj2EEffffjfiS6_IjLj3EEiiiiiiiiiiiliiliiiiil.has_recursion, 0
	.set _ZL18flash_attn_ext_vecILi128ELi2EL9ggml_type6ELS0_6ELb1EEvPKcS2_S2_S2_S2_PKiPfP15HIP_vector_typeIfLj2EEffffjfiS6_IjLj3EEiiiiiiiiiiiliiliiiiil.has_indirect_call, 0
	.section	.AMDGPU.csdata,"",@progbits
; Kernel info:
; codeLenInByte = 33888
; TotalNumSgprs: 60
; NumVgprs: 326
; ScratchSize: 0
; MemoryBound: 0
; FloatMode: 240
; IeeeMode: 1
; LDSByteSize: 3584 bytes/workgroup (compile time only)
; SGPRBlocks: 0
; VGPRBlocks: 20
; NumSGPRsForWavesPerEU: 60
; NumVGPRsForWavesPerEU: 326
; NamedBarCnt: 0
; Occupancy: 3
; WaveLimiterHint : 0
; COMPUTE_PGM_RSRC2:SCRATCH_EN: 0
; COMPUTE_PGM_RSRC2:USER_SGPR: 4
; COMPUTE_PGM_RSRC2:TRAP_HANDLER: 0
; COMPUTE_PGM_RSRC2:TGID_X_EN: 1
; COMPUTE_PGM_RSRC2:TGID_Y_EN: 1
; COMPUTE_PGM_RSRC2:TGID_Z_EN: 1
; COMPUTE_PGM_RSRC2:TIDIG_COMP_CNT: 2
	.section	.text._ZL18flash_attn_ext_vecILi256ELi1EL9ggml_type6ELS0_6ELb0EEvPKcS2_S2_S2_S2_PKiPfP15HIP_vector_typeIfLj2EEffffjfiS6_IjLj3EEiiiiiiiiiiiliiliiiiil,"axG",@progbits,_ZL18flash_attn_ext_vecILi256ELi1EL9ggml_type6ELS0_6ELb0EEvPKcS2_S2_S2_S2_PKiPfP15HIP_vector_typeIfLj2EEffffjfiS6_IjLj3EEiiiiiiiiiiiliiliiiiil,comdat
	.globl	_ZL18flash_attn_ext_vecILi256ELi1EL9ggml_type6ELS0_6ELb0EEvPKcS2_S2_S2_S2_PKiPfP15HIP_vector_typeIfLj2EEffffjfiS6_IjLj3EEiiiiiiiiiiiliiliiiiil ; -- Begin function _ZL18flash_attn_ext_vecILi256ELi1EL9ggml_type6ELS0_6ELb0EEvPKcS2_S2_S2_S2_PKiPfP15HIP_vector_typeIfLj2EEffffjfiS6_IjLj3EEiiiiiiiiiiiliiliiiiil
	.p2align	8
	.type	_ZL18flash_attn_ext_vecILi256ELi1EL9ggml_type6ELS0_6ELb0EEvPKcS2_S2_S2_S2_PKiPfP15HIP_vector_typeIfLj2EEffffjfiS6_IjLj3EEiiiiiiiiiiiliiliiiiil,@function
_ZL18flash_attn_ext_vecILi256ELi1EL9ggml_type6ELS0_6ELb0EEvPKcS2_S2_S2_S2_PKiPfP15HIP_vector_typeIfLj2EEffffjfiS6_IjLj3EEiiiiiiiiiiiliiliiiiil: ; @_ZL18flash_attn_ext_vecILi256ELi1EL9ggml_type6ELS0_6ELb0EEvPKcS2_S2_S2_S2_PKiPfP15HIP_vector_typeIfLj2EEffffjfiS6_IjLj3EEiiiiiiiiiiiliiliiiiil
; %bb.0:
	s_clause 0x2
	s_load_b64 s[28:29], s[0:1], 0x64
	s_load_b64 s[36:37], s[0:1], 0x80
	s_load_b64 s[42:43], s[0:1], 0xb8
	s_bfe_u32 s4, ttmp6, 0x40014
	s_lshr_b32 s3, ttmp7, 16
	s_add_co_i32 s4, s4, 1
	s_bfe_u32 s5, ttmp6, 0x40008
	s_mul_i32 s4, s3, s4
	s_getreg_b32 s50, hwreg(HW_REG_IB_STS2, 6, 4)
	s_add_co_i32 s5, s5, s4
	s_load_b128 s[24:27], s[0:1], 0x40
	v_mov_b32_e32 v170, 1.0
	s_mov_b32 s41, 0
	s_wait_kmcnt 0x0
	s_cvt_f32_u32 s2, s29
	s_sub_co_i32 s6, 0, s29
	s_delay_alu instid0(SALU_CYCLE_2) | instskip(SKIP_1) | instid1(TRANS32_DEP_1)
	v_rcp_iflag_f32_e32 v1, s2
	v_nop
	v_readfirstlane_b32 s2, v1
	s_mul_f32 s2, s2, 0x4f7ffffe
	s_delay_alu instid0(SALU_CYCLE_3) | instskip(NEXT) | instid1(SALU_CYCLE_3)
	s_cvt_u32_f32 s2, s2
	s_mul_i32 s6, s6, s2
	s_delay_alu instid0(SALU_CYCLE_1) | instskip(NEXT) | instid1(SALU_CYCLE_1)
	s_mul_hi_u32 s6, s2, s6
	s_add_co_i32 s2, s2, s6
	s_cmp_eq_u32 s50, 0
	s_cselect_b32 s3, s3, s5
	s_delay_alu instid0(SALU_CYCLE_1) | instskip(NEXT) | instid1(SALU_CYCLE_1)
	s_mul_hi_u32 s2, s3, s2
	s_mul_i32 s4, s2, s29
	s_add_co_i32 s5, s2, 1
	s_sub_co_i32 s4, s3, s4
	s_delay_alu instid0(SALU_CYCLE_1)
	s_sub_co_i32 s6, s4, s29
	s_cmp_ge_u32 s4, s29
	s_cselect_b32 s2, s5, s2
	s_cselect_b32 s4, s6, s4
	s_add_co_i32 s5, s2, 1
	s_cmp_ge_u32 s4, s29
	s_cselect_b32 s30, s5, s2
	s_abs_i32 s2, s37
	s_abs_i32 s7, s29
	s_cvt_f32_u32 s4, s2
	s_sub_co_i32 s5, 0, s2
	s_xor_b32 s6, s29, s37
	s_delay_alu instid0(SALU_CYCLE_1) | instskip(SKIP_2) | instid1(TRANS32_DEP_1)
	v_rcp_iflag_f32_e32 v1, s4
	s_ashr_i32 s6, s6, 31
	v_nop
	v_readfirstlane_b32 s4, v1
	s_mul_f32 s4, s4, 0x4f7ffffe
	s_delay_alu instid0(SALU_CYCLE_3) | instskip(NEXT) | instid1(SALU_CYCLE_3)
	s_cvt_u32_f32 s4, s4
	s_mul_i32 s5, s5, s4
	s_delay_alu instid0(SALU_CYCLE_1) | instskip(NEXT) | instid1(SALU_CYCLE_1)
	s_mul_hi_u32 s5, s4, s5
	s_add_co_i32 s4, s4, s5
	s_mul_i32 s5, s30, s29
	s_mul_hi_u32 s4, s7, s4
	s_sub_co_i32 s34, s3, s5
	s_mul_i32 s8, s4, s2
	s_add_co_i32 s5, s4, 1
	s_sub_co_i32 s3, s7, s8
	s_delay_alu instid0(SALU_CYCLE_1)
	s_sub_co_i32 s7, s3, s2
	s_cmp_ge_u32 s3, s2
	s_cselect_b32 s4, s5, s4
	s_cselect_b32 s3, s7, s3
	s_add_co_i32 s5, s4, 1
	s_cmp_ge_u32 s3, s2
	s_cselect_b32 s2, s5, s4
	s_abs_i32 s48, s42
	s_xor_b32 s2, s2, s6
	s_sub_co_i32 s5, 0, s48
	s_sub_co_i32 s31, s2, s6
	s_cvt_f32_u32 s2, s48
	s_abs_i32 s49, s31
	s_abs_i32 s40, s34
	s_cvt_f32_u32 s3, s49
	v_rcp_iflag_f32_e32 v1, s2
	s_load_b32 s2, s[0:1], 0x50
	s_sub_co_i32 s6, 0, s49
	v_rcp_iflag_f32_e32 v2, s3
	s_abs_i32 s38, s30
	v_nop
	s_delay_alu instid0(TRANS32_DEP_2) | instskip(NEXT) | instid1(TRANS32_DEP_1)
	v_readfirstlane_b32 s3, v1
	v_readfirstlane_b32 s4, v2
	s_mul_f32 s3, s3, 0x4f7ffffe
	s_mul_f32 s4, s4, 0x4f7ffffe
	s_delay_alu instid0(SALU_CYCLE_2) | instskip(NEXT) | instid1(SALU_CYCLE_2)
	s_cvt_u32_f32 s3, s3
	s_cvt_u32_f32 s4, s4
	s_delay_alu instid0(SALU_CYCLE_2) | instskip(NEXT) | instid1(SALU_CYCLE_1)
	s_mul_i32 s5, s5, s3
	s_mul_hi_u32 s5, s3, s5
	s_delay_alu instid0(SALU_CYCLE_1)
	s_mul_i32 s6, s6, s4
	s_add_co_i32 s44, s3, s5
	s_mul_hi_u32 s6, s4, s6
	s_mov_b32 s5, s25
	s_add_co_i32 s46, s4, s6
	s_cmp_le_f32 s25, 0
	s_mov_b32 s4, s24
	s_cbranch_scc1 .LBB23_2
; %bb.1:
	s_wait_kmcnt 0x0
	v_sub_co_u32 v1, s2, s34, s2
	s_and_b32 s6, s2, exec_lo
	s_cselect_b32 s6, s26, s27
	s_add_co_i32 s7, s34, 1
	v_readfirstlane_b32 s3, v1
	s_lshl_b32 s3, s3, 1
	s_delay_alu instid0(SALU_CYCLE_1) | instskip(SKIP_4) | instid1(SALU_CYCLE_3)
	s_or_b32 s3, s3, 1
	s_and_b32 s2, s2, exec_lo
	s_cselect_b32 s2, s7, s3
	s_cmp_neq_f32 s6, 1.0
	s_cvt_f32_i32 s2, s2
	s_cselect_b32 s3, s2, 1.0
	s_delay_alu instid0(SALU_CYCLE_1) | instskip(SKIP_1) | instid1(SALU_CYCLE_1)
	s_cmp_neq_f32 s3, 0
	s_cselect_b32 s2, s6, 1.0
	v_cvt_f64_f32_e64 v[2:3], |s2|
	s_delay_alu instid0(VALU_DEP_1) | instskip(SKIP_1) | instid1(VALU_DEP_1)
	v_frexp_exp_i32_f64_e32 v1, v[2:3]
	v_frexp_mant_f32_e64 v2, |s2|
	v_readfirstlane_b32 s6, v2
	s_cmp_lt_f32 s6, 0x3f2aaaab
	s_cselect_b32 vcc_lo, -1, 0
	s_delay_alu instid0(SALU_CYCLE_1) | instskip(SKIP_1) | instid1(SALU_CYCLE_1)
	s_and_b32 s7, vcc_lo, exec_lo
	s_cselect_b32 s7, 2.0, 1.0
	s_mul_f32 s6, s6, s7
	s_delay_alu instid0(SALU_CYCLE_3) | instskip(SKIP_1) | instid1(SALU_CYCLE_2)
	s_add_f32 s7, s6, 1.0
	s_add_f32 s9, s6, -1.0
	v_s_rcp_f32 s8, s7
	s_add_f32 s12, s7, -1.0
	v_subrev_co_ci_u32_e64 v1, null, 0, v1, vcc_lo
	s_delay_alu instid0(SALU_CYCLE_2) | instskip(NEXT) | instid1(TRANS32_DEP_1)
	s_sub_f32 s6, s6, s12
	s_mul_f32 s10, s9, s8
	v_cvt_f32_i32_e32 v1, v1
	s_delay_alu instid0(SALU_CYCLE_2) | instskip(NEXT) | instid1(SALU_CYCLE_3)
	s_mul_f32 s11, s7, s10
	v_dual_mov_b32 v3, s9 :: v_dual_mov_b32 v4, s11
	s_xor_b32 s13, s11, 0x80000000
	s_delay_alu instid0(SALU_CYCLE_1) | instskip(NEXT) | instid1(SALU_CYCLE_3)
	s_fmac_f32 s13, s10, s7
	s_fmac_f32 s13, s10, s6
	s_delay_alu instid0(SALU_CYCLE_3) | instskip(SKIP_2) | instid1(SALU_CYCLE_1)
	s_add_f32 s6, s11, s13
	v_mov_b32_e32 v6, s13
	s_mov_b32 s11, 0x3e76c4e1
	s_sub_f32 s7, s9, s6
	v_dual_mov_b32 v2, s6 :: v_dual_mov_b32 v7, s6
	s_delay_alu instid0(SALU_CYCLE_2) | instskip(NEXT) | instid1(VALU_DEP_1)
	v_mov_b32_e32 v5, s7
	v_pk_add_f32 v[2:3], v[2:3], v[4:5] neg_lo:[0,1] neg_hi:[0,1]
	s_delay_alu instid0(VALU_DEP_1) | instskip(NEXT) | instid1(VALU_DEP_1)
	v_pk_add_f32 v[2:3], v[2:3], v[6:7] neg_lo:[0,1] neg_hi:[0,1]
	v_readfirstlane_b32 s6, v3
	s_delay_alu instid0(VALU_DEP_2) | instskip(SKIP_1) | instid1(SALU_CYCLE_3)
	v_readfirstlane_b32 s9, v2
	s_add_f32 s6, s9, s6
	s_add_f32 s6, s7, s6
	s_delay_alu instid0(SALU_CYCLE_3) | instskip(NEXT) | instid1(SALU_CYCLE_3)
	s_mul_f32 s7, s8, s6
	s_add_f32 s6, s10, s7
	s_delay_alu instid0(SALU_CYCLE_3) | instskip(SKIP_1) | instid1(SALU_CYCLE_2)
	s_sub_f32 s8, s6, s10
	s_mul_f32 s9, s6, s6
	s_sub_f32 s10, s7, s8
	s_delay_alu instid0(SALU_CYCLE_2) | instskip(NEXT) | instid1(SALU_CYCLE_1)
	s_xor_b32 s7, s9, 0x80000000
	s_fmac_f32 s7, s6, s6
	s_delay_alu instid0(SALU_CYCLE_1) | instskip(NEXT) | instid1(SALU_CYCLE_3)
	s_add_f32 s8, s10, s10
	s_fmac_f32 s7, s6, s8
	s_delay_alu instid0(SALU_CYCLE_3) | instskip(NEXT) | instid1(SALU_CYCLE_3)
	s_add_f32 s8, s9, s7
	s_fmaak_f32 s11, s8, s11, 0x3e91f4c4
	s_sub_f32 s9, s8, s9
	s_delay_alu instid0(SALU_CYCLE_2) | instskip(NEXT) | instid1(SALU_CYCLE_2)
	s_fmaak_f32 s11, s8, s11, 0x3ecccdef
	s_sub_f32 s14, s7, s9
	s_delay_alu instid0(SALU_CYCLE_2) | instskip(NEXT) | instid1(SALU_CYCLE_3)
	s_mul_f32 s12, s8, s11
	s_xor_b32 s13, s12, 0x80000000
	s_delay_alu instid0(SALU_CYCLE_1) | instskip(NEXT) | instid1(SALU_CYCLE_3)
	s_fmac_f32 s13, s8, s11
	s_fmac_f32 s13, s14, s11
	s_delay_alu instid0(SALU_CYCLE_3) | instskip(NEXT) | instid1(SALU_CYCLE_3)
	s_add_f32 s9, s12, s13
	s_sub_f32 s7, s9, s12
	s_add_f32 s11, s9, 0x3f2aaaaa
	s_delay_alu instid0(SALU_CYCLE_2) | instskip(NEXT) | instid1(SALU_CYCLE_2)
	s_sub_f32 s7, s13, s7
	s_add_f32 s12, s11, 0xbf2aaaaa
	s_delay_alu instid0(SALU_CYCLE_2) | instskip(NEXT) | instid1(SALU_CYCLE_2)
	s_add_f32 s7, s7, 0x31739010
	s_sub_f32 s9, s9, s12
	s_delay_alu instid0(SALU_CYCLE_2) | instskip(NEXT) | instid1(SALU_CYCLE_2)
	v_mov_b64_e32 v[2:3], s[6:7]
	v_mov_b64_e32 v[4:5], s[8:9]
	s_delay_alu instid0(VALU_DEP_1) | instskip(SKIP_2) | instid1(VALU_DEP_3)
	v_pk_mul_f32 v[6:7], v[2:3], v[4:5]
	v_pk_add_f32 v[2:3], v[2:3], v[4:5]
	v_mov_b32_e32 v9, s11
	v_xor_b32_e32 v8, 0x80000000, v6
	s_delay_alu instid0(VALU_DEP_3) | instskip(NEXT) | instid1(VALU_DEP_2)
	v_mov_b32_e32 v7, v3
	v_fmac_f32_e64 v8, s8, s6
	s_delay_alu instid0(VALU_DEP_1) | instskip(NEXT) | instid1(VALU_DEP_1)
	v_fmac_f32_e64 v8, s8, s10
	v_fmac_f32_e64 v8, s14, s6
	s_delay_alu instid0(VALU_DEP_1) | instskip(NEXT) | instid1(VALU_DEP_1)
	v_pk_add_f32 v[4:5], v[6:7], v[8:9]
	v_dual_mov_b32 v2, v5 :: v_dual_sub_f32 v7, s11, v5
	v_mul_f32_e32 v12, 0x3f317218, v1
	s_delay_alu instid0(VALU_DEP_2) | instskip(NEXT) | instid1(VALU_DEP_3)
	v_pk_mul_f32 v[10:11], v[4:5], v[2:3]
	v_add_f32_e32 v3, v3, v7
	s_delay_alu instid0(VALU_DEP_3) | instskip(NEXT) | instid1(VALU_DEP_3)
	v_xor_b32_e32 v7, 0x80000000, v12
	v_xor_b32_e32 v2, 0x80000000, v10
	s_delay_alu instid0(VALU_DEP_2) | instskip(NEXT) | instid1(VALU_DEP_2)
	v_dual_sub_f32 v6, v4, v6 :: v_dual_fmac_f32 v7, 0x3f317218, v1
	v_fmac_f32_e32 v2, v4, v5
	s_delay_alu instid0(VALU_DEP_2) | instskip(NEXT) | instid1(VALU_DEP_2)
	v_sub_f32_e32 v6, v8, v6
	v_fmac_f32_e32 v2, v4, v3
	s_delay_alu instid0(VALU_DEP_1) | instskip(SKIP_3) | instid1(VALU_DEP_2)
	v_fmac_f32_e32 v2, v6, v5
	v_fmamk_f32 v4, v1, 0xb102e308, v7
	v_ldexp_f32 v5, s6, 1
	v_ldexp_f32 v1, s10, 1
	v_dual_add_f32 v13, v10, v2 :: v_dual_mov_b32 v11, v5
	s_delay_alu instid0(VALU_DEP_1) | instskip(SKIP_1) | instid1(VALU_DEP_2)
	v_pk_add_f32 v[6:7], v[12:13], v[4:5]
	v_dual_mov_b32 v8, v13 :: v_dual_mov_b32 v3, v13
	v_dual_mov_b32 v9, v7 :: v_dual_mov_b32 v5, v6
	v_mov_b32_e32 v14, v7
	s_delay_alu instid0(VALU_DEP_2) | instskip(NEXT) | instid1(VALU_DEP_1)
	v_pk_add_f32 v[8:9], v[8:9], v[10:11] neg_lo:[0,1] neg_hi:[0,1]
	v_pk_add_f32 v[2:3], v[2:3], v[8:9] neg_lo:[0,1] neg_hi:[0,1]
	s_delay_alu instid0(VALU_DEP_1) | instskip(NEXT) | instid1(VALU_DEP_1)
	v_add_f32_e32 v1, v1, v2
	v_add_f32_e32 v13, v1, v3
	s_delay_alu instid0(VALU_DEP_1) | instskip(SKIP_1) | instid1(VALU_DEP_2)
	v_pk_add_f32 v[2:3], v[6:7], v[12:13]
	v_pk_add_f32 v[8:9], v[6:7], v[12:13] neg_lo:[0,1] neg_hi:[0,1]
	v_mov_b32_e32 v9, v3
	s_delay_alu instid0(VALU_DEP_1) | instskip(SKIP_2) | instid1(VALU_DEP_3)
	v_pk_add_f32 v[10:11], v[4:5], v[8:9]
	v_pk_add_f32 v[4:5], v[4:5], v[8:9] neg_lo:[0,1] neg_hi:[0,1]
	v_dual_mov_b32 v16, v3 :: v_dual_mov_b32 v5, v6
	v_dual_mov_b32 v12, v11 :: v_dual_mov_b32 v17, v11
	s_delay_alu instid0(VALU_DEP_3) | instskip(NEXT) | instid1(VALU_DEP_2)
	v_readfirstlane_b32 s6, v4
	v_pk_add_f32 v[8:9], v[12:13], v[6:7] neg_lo:[0,1] neg_hi:[0,1]
	s_delay_alu instid0(VALU_DEP_2) | instskip(NEXT) | instid1(VALU_DEP_2)
	v_dual_mov_b32 v4, v13 :: v_dual_mov_b32 v10, s6
	v_dual_mov_b32 v15, v8 :: v_dual_mov_b32 v1, v8
	s_delay_alu instid0(VALU_DEP_1) | instskip(NEXT) | instid1(VALU_DEP_2)
	v_pk_add_f32 v[6:7], v[16:17], v[14:15] neg_lo:[0,1] neg_hi:[0,1]
	v_pk_add_f32 v[2:3], v[2:3], v[0:1] neg_lo:[0,1] neg_hi:[0,1]
	v_mov_b32_e32 v2, s6
	s_delay_alu instid0(VALU_DEP_3) | instskip(NEXT) | instid1(VALU_DEP_1)
	v_pk_add_f32 v[4:5], v[4:5], v[6:7] neg_lo:[0,1] neg_hi:[0,1]
	v_pk_add_f32 v[2:3], v[2:3], v[4:5]
	s_delay_alu instid0(VALU_DEP_1) | instskip(NEXT) | instid1(VALU_DEP_2)
	v_readfirstlane_b32 s7, v2
	v_mov_b32_e32 v6, v3
	s_delay_alu instid0(VALU_DEP_1) | instskip(NEXT) | instid1(VALU_DEP_3)
	v_pk_add_f32 v[6:7], v[2:3], v[6:7]
	v_mov_b32_e32 v2, s7
	s_delay_alu instid0(VALU_DEP_2) | instskip(SKIP_1) | instid1(VALU_DEP_2)
	v_pk_add_f32 v[8:9], v[12:13], v[6:7]
	v_mov_b32_e32 v5, v6
	v_readfirstlane_b32 s8, v8
	s_delay_alu instid0(VALU_DEP_1) | instskip(NEXT) | instid1(VALU_DEP_1)
	v_mov_b32_e32 v3, s8
	v_pk_add_f32 v[2:3], v[2:3], v[10:11] neg_lo:[0,1] neg_hi:[0,1]
	s_delay_alu instid0(VALU_DEP_1) | instskip(NEXT) | instid1(VALU_DEP_2)
	v_readfirstlane_b32 s9, v2
	v_pk_add_f32 v[2:3], v[4:5], v[2:3] neg_lo:[0,1] neg_hi:[0,1]
	s_sub_f32 s7, s7, s9
	s_delay_alu instid0(VALU_DEP_1) | instskip(NEXT) | instid1(SALU_CYCLE_2)
	v_readfirstlane_b32 s9, v2
	s_sub_f32 s6, s6, s7
	v_readfirstlane_b32 s7, v3
	s_delay_alu instid0(SALU_CYCLE_2) | instskip(NEXT) | instid1(SALU_CYCLE_3)
	s_add_f32 s6, s9, s6
	s_add_f32 s6, s6, s7
	s_delay_alu instid0(SALU_CYCLE_3) | instskip(NEXT) | instid1(SALU_CYCLE_3)
	s_add_f32 s7, s8, s6
	s_mul_f32 s9, s3, s7
	s_sub_f32 s8, s7, s8
	s_delay_alu instid0(SALU_CYCLE_2) | instskip(NEXT) | instid1(SALU_CYCLE_2)
	s_xor_b32 s10, s9, 0x80000000
	s_sub_f32 s6, s6, s8
	s_fmac_f32 s10, s3, s7
	s_delay_alu instid0(SALU_CYCLE_3) | instskip(SKIP_1) | instid1(SALU_CYCLE_2)
	s_fmac_f32 s10, s3, s6
	v_cmp_class_f32_e64 s6, s9, 0x204
	s_add_f32 s7, s9, s10
	s_and_b32 s6, s6, exec_lo
	s_delay_alu instid0(SALU_CYCLE_2) | instskip(SKIP_1) | instid1(SALU_CYCLE_1)
	s_sub_f32 s6, s7, s9
	s_cselect_b32 s7, s9, s7
	s_and_b32 s8, s7, 0x7fffffff
	s_delay_alu instid0(SALU_CYCLE_1) | instskip(SKIP_1) | instid1(SALU_CYCLE_2)
	s_sub_f32 s6, s10, s6
	s_cmp_neq_f32 s8, 0x7f800000
	s_cselect_b32 s6, s6, 0
	s_cmp_eq_f32 s7, 0x42b17218
	s_cselect_b32 s8, 0x37000000, 0
	s_delay_alu instid0(SALU_CYCLE_1) | instskip(SKIP_1) | instid1(SALU_CYCLE_2)
	s_sub_f32 s7, s7, s8
	s_add_f32 s6, s8, s6
	s_mul_f32 s9, s7, 0x3fb8aa3b
	s_delay_alu instid0(SALU_CYCLE_3) | instskip(SKIP_3) | instid1(SALU_CYCLE_1)
	s_xor_b32 s10, s9, 0x80000000
	s_rndne_f32 s11, s9
	s_fmamk_f32 s10, s7, 0x3fb8aa3b, s10
	s_cmp_nlt_f32 s7, 0xc2ce8ed0
	s_sub_f32 s9, s9, s11
	s_delay_alu instid0(SALU_CYCLE_1)
	s_fmamk_f32 s10, s7, 0x32a5705f, s10
	s_cselect_b32 vcc_lo, -1, 0
	s_cmp_ngt_f32 s7, 0x42b17218
	s_trunc_f32 s7, s3
	s_add_f32 s9, s9, s10
	s_cvt_i32_f32 s10, s11
	s_delay_alu instid0(SALU_CYCLE_2)
	v_s_exp_f32 s9, s9
	v_nop
	s_delay_alu instid0(TRANS32_DEP_1) | instid1(SALU_CYCLE_1)
	v_ldexp_f32 v1, s9, s10
	s_mul_f32 s9, s3, 0.5
	s_delay_alu instid0(VALU_DEP_1) | instskip(SKIP_3) | instid1(VALU_DEP_1)
	v_cndmask_b32_e32 v1, 0, v1, vcc_lo
	s_cselect_b32 vcc_lo, -1, 0
	s_cmp_eq_f32 s7, s3
	s_trunc_f32 s10, s9
	v_cndmask_b32_e32 v1, 0x7f800000, v1, vcc_lo
	s_cselect_b32 s11, -1, 0
	s_delay_alu instid0(SALU_CYCLE_1) | instskip(NEXT) | instid1(VALU_DEP_1)
	s_cmp_neq_f32 s10, s9
	v_fma_f32 v2, s6, v1, v1
	v_cmp_class_f32_e64 vcc_lo, v1, 0x204
	s_cselect_b32 s8, -1, 0
	s_delay_alu instid0(SALU_CYCLE_1)
	s_and_b32 s6, s11, s8
	v_cndmask_b32_e32 v1, v2, v1, vcc_lo
	s_and_b32 s8, s6, exec_lo
	s_cselect_b32 s8, s2, 1.0
	s_cmp_eq_f32 s7, s3
	v_cmp_class_f32_e64 s7, s2, 0x204
	v_bfi_b32 v1, 0x7fffffff, v1, s8
	s_cselect_b32 vcc_lo, -1, 0
	s_cmp_lt_f32 s2, 0
	s_delay_alu instid0(VALU_DEP_1) | instskip(SKIP_2) | instid1(VALU_DEP_1)
	v_cndmask_b32_e32 v2, 0x7fc00000, v1, vcc_lo
	s_cselect_b32 vcc_lo, -1, 0
	s_cmp_eq_f32 s2, 0
	v_cndmask_b32_e32 v1, v1, v2, vcc_lo
	s_cselect_b32 s8, -1, 0
	s_delay_alu instid0(SALU_CYCLE_1) | instskip(SKIP_2) | instid1(SALU_CYCLE_1)
	s_or_b32 vcc_lo, s8, s7
	s_cmp_lt_f32 s3, 0
	s_cselect_b32 s3, -1, 0
	s_xor_b32 s3, s3, s8
	s_delay_alu instid0(SALU_CYCLE_1)
	s_and_b32 s3, s3, exec_lo
	s_cselect_b32 s3, 0, 0x7f800000
	s_and_b32 s6, s6, exec_lo
	s_cselect_b32 s6, s2, 0
	s_cmp_o_f32 s2, s2
	v_mov_b32_e32 v2, s6
	s_delay_alu instid0(VALU_DEP_1) | instskip(NEXT) | instid1(VALU_DEP_1)
	v_bfi_b32 v2, 0x7fffffff, s3, v2
	v_cndmask_b32_e32 v1, v1, v2, vcc_lo
	s_cselect_b32 vcc_lo, -1, 0
	s_delay_alu instid0(VALU_DEP_1)
	v_cndmask_b32_e32 v170, 0x7fc00000, v1, vcc_lo
.LBB23_2:
	s_load_b512 s[8:23], s[0:1], 0x0
	s_wait_kmcnt 0x0
	s_bfe_u32 s2, ttmp6, 0x4000c
	v_bfe_u32 v103, v0, 10, 10
	s_add_co_i32 s2, s2, 1
	s_and_b32 s3, ttmp6, 15
	s_mul_i32 s2, ttmp9, s2
	v_and_b32_e32 v163, 0x3ff, v0
	s_add_co_i32 s3, s3, s2
	v_cmp_eq_u32_e64 s2, 0, v103
	v_mbcnt_lo_u32_b32 v165, -1, 0
	s_cmp_eq_u32 s50, 0
	s_mov_b32 s47, s41
	s_mov_b32 s39, s41
	;; [unrolled: 1-line block ×3, first 2 shown]
	s_cselect_b32 s33, ttmp9, s3
	s_and_saveexec_b32 s26, s2
	s_cbranch_execz .LBB23_11
; %bb.3:
	s_load_b96 s[52:54], s[0:1], 0x70
	v_xor_b32_e32 v7, 2, v165
	s_mov_b32 s25, s24
	s_wait_kmcnt 0x0
	s_mul_i32 s3, s30, s54
	s_mul_i32 s6, s52, s33
	;; [unrolled: 1-line block ×3, first 2 shown]
	s_add_co_i32 s3, s3, s6
	s_delay_alu instid0(SALU_CYCLE_1) | instskip(NEXT) | instid1(SALU_CYCLE_1)
	s_add_co_i32 s6, s3, s7
	s_ashr_i32 s7, s6, 31
	s_delay_alu instid0(SALU_CYCLE_1)
	s_add_nc_u64 s[6:7], s[8:9], s[6:7]
	s_mov_b32 s8, exec_lo
	global_load_b128 v[0:3], v163, s[6:7] scale_offset
	s_wait_loadcnt 0x0
	v_dual_mov_b32 v4, v3 :: v_dual_mov_b32 v5, v1
	v_dual_mul_f32 v10, s24, v0 :: v_dual_bitop2_b32 v1, 4, v165 bitop3:0x14
	v_mul_f32_e32 v11, s24, v2
	s_delay_alu instid0(VALU_DEP_3) | instskip(NEXT) | instid1(VALU_DEP_3)
	v_pk_mul_f32 v[4:5], s[4:5], v[4:5] op_sel_hi:[0,1]
	v_cmp_gt_i32_e32 vcc_lo, 32, v1
	s_delay_alu instid0(VALU_DEP_2) | instskip(SKIP_2) | instid1(VALU_DEP_2)
	v_max_num_f32_e64 v3, |v10|, |v5|
	v_cndmask_b32_e32 v1, v165, v1, vcc_lo
	v_cmp_gt_i32_e32 vcc_lo, 32, v7
	v_dual_fma_f32 v0, s24, v0, v5 :: v_dual_lshlrev_b32 v6, 2, v1
	v_cndmask_b32_e32 v7, v165, v7, vcc_lo
	v_max3_num_f32 v1, v3, |v11|, |v4|
	s_delay_alu instid0(VALU_DEP_2)
	v_dual_fmac_f32 v0, s24, v2 :: v_dual_lshlrev_b32 v8, 2, v7
	v_xor_b32_e32 v7, 1, v165
	ds_bpermute_b32 v3, v6, v1
	v_add_f32_e32 v0, v0, v4
	v_cmp_gt_i32_e32 vcc_lo, 32, v7
	ds_bpermute_b32 v2, v6, v0
	v_cndmask_b32_e32 v7, v165, v7, vcc_lo
	s_delay_alu instid0(VALU_DEP_1) | instskip(SKIP_3) | instid1(VALU_DEP_1)
	v_lshlrev_b32_e32 v7, 2, v7
	s_wait_dscnt 0x1
	v_max_num_f32_e32 v3, v3, v3
	s_wait_dscnt 0x0
	v_dual_max_num_f32 v1, v1, v3 :: v_dual_add_f32 v0, v0, v2
	ds_bpermute_b32 v3, v8, v1
	ds_bpermute_b32 v2, v8, v0
	s_wait_dscnt 0x1
	v_max_num_f32_e32 v3, v3, v3
	s_delay_alu instid0(VALU_DEP_1) | instskip(SKIP_3) | instid1(VALU_DEP_1)
	v_max_num_f32_e32 v1, v1, v3
	ds_bpermute_b32 v3, v7, v1
	s_wait_dscnt 0x0
	v_max_num_f32_e32 v3, v3, v3
	v_max_num_f32_e32 v3, v1, v3
	s_delay_alu instid0(VALU_DEP_1) | instskip(NEXT) | instid1(VALU_DEP_1)
	v_div_scale_f32 v9, null, 0x42fe0000, 0x42fe0000, v3
	v_rcp_f32_e32 v12, v9
	v_nop
	s_delay_alu instid0(TRANS32_DEP_1) | instskip(NEXT) | instid1(VALU_DEP_1)
	v_fma_f32 v1, -v9, v12, 1.0
	v_fmac_f32_e32 v12, v1, v12
	v_div_scale_f32 v13, vcc_lo, v3, 0x42fe0000, v3
	s_delay_alu instid0(VALU_DEP_1) | instskip(NEXT) | instid1(VALU_DEP_1)
	v_mul_f32_e32 v14, v13, v12
	v_fma_f32 v1, -v9, v14, v13
	s_delay_alu instid0(VALU_DEP_1) | instskip(NEXT) | instid1(VALU_DEP_1)
	v_dual_fmac_f32 v14, v1, v12 :: v_dual_add_f32 v1, v0, v2
	v_fma_f32 v0, -v9, v14, v13
	ds_bpermute_b32 v9, v7, v1
	v_div_fmas_f32 v0, v0, v12, v14
	s_delay_alu instid0(VALU_DEP_1) | instskip(SKIP_1) | instid1(VALU_DEP_1)
	v_div_fixup_f32 v0, v0, 0x42fe0000, v3
	v_dual_mov_b32 v3, 0 :: v_dual_lshlrev_b32 v2, 4, v163
	v_mov_b32_e32 v12, v3
	s_delay_alu instid0(VALU_DEP_3)
	v_cmpx_neq_f32_e32 0, v0
	s_cbranch_execz .LBB23_5
; %bb.4:
	v_div_scale_f32 v12, null, v0, v0, v10
	v_div_scale_f32 v13, null, v0, v0, v4
	;; [unrolled: 1-line block ×3, first 2 shown]
	s_delay_alu instid0(VALU_DEP_3) | instskip(NEXT) | instid1(VALU_DEP_2)
	v_rcp_f32_e32 v14, v12
	v_rcp_f32_e32 v16, v13
	v_div_scale_f32 v17, null, v0, v0, v11
	s_delay_alu instid0(VALU_DEP_2) | instskip(SKIP_1) | instid1(TRANS32_DEP_3)
	v_rcp_f32_e32 v20, v15
	v_div_scale_f32 v19, vcc_lo, v10, v0, v10
	v_fma_f32 v18, -v12, v14, 1.0
	s_delay_alu instid0(TRANS32_DEP_2) | instskip(SKIP_2) | instid1(VALU_DEP_2)
	v_fma_f32 v21, -v13, v16, 1.0
	v_rcp_f32_e32 v22, v17
	v_div_scale_f32 v26, s4, v5, v0, v5
	v_dual_fmac_f32 v14, v18, v14 :: v_dual_fmac_f32 v16, v21, v16
	v_div_scale_f32 v18, s3, v4, v0, v4
	v_fma_f32 v21, -v15, v20, 1.0
	s_delay_alu instid0(VALU_DEP_3) | instskip(NEXT) | instid1(TRANS32_DEP_1)
	v_mul_f32_e32 v24, v19, v14
	v_fma_f32 v23, -v17, v22, 1.0
	s_delay_alu instid0(VALU_DEP_4) | instskip(NEXT) | instid1(VALU_DEP_4)
	v_mul_f32_e32 v25, v18, v16
	v_fmac_f32_e32 v20, v21, v20
	s_delay_alu instid0(VALU_DEP_3) | instskip(NEXT) | instid1(VALU_DEP_3)
	v_dual_fma_f32 v21, -v12, v24, v19 :: v_dual_fmac_f32 v22, v23, v22
	v_fma_f32 v27, -v13, v25, v18
	v_div_scale_f32 v23, s5, v11, v0, v11
	s_delay_alu instid0(VALU_DEP_3) | instskip(NEXT) | instid1(VALU_DEP_1)
	v_dual_mul_f32 v28, v26, v20 :: v_dual_fmac_f32 v24, v21, v14
	v_dual_mul_f32 v21, v23, v22 :: v_dual_fma_f32 v12, -v12, v24, v19
	s_delay_alu instid0(VALU_DEP_4) | instskip(NEXT) | instid1(VALU_DEP_2)
	v_fmac_f32_e32 v25, v27, v16
	v_div_fmas_f32 v12, v12, v14, v24
	s_delay_alu instid0(VALU_DEP_2) | instskip(NEXT) | instid1(VALU_DEP_4)
	v_fma_f32 v13, -v13, v25, v18
	v_dual_fma_f32 v18, -v17, v21, v23 :: v_dual_fma_f32 v27, -v15, v28, v26
	s_mov_b32 vcc_lo, s3
	s_delay_alu instid0(VALU_DEP_3) | instskip(NEXT) | instid1(VALU_DEP_2)
	v_div_fixup_f32 v10, v12, v0, v10
	v_dual_fmac_f32 v21, v18, v22 :: v_dual_fmac_f32 v28, v27, v20
	v_div_fmas_f32 v13, v13, v16, v25
	s_mov_b32 vcc_lo, s4
	s_delay_alu instid0(VALU_DEP_2) | instskip(NEXT) | instid1(VALU_DEP_2)
	v_dual_fma_f32 v14, -v15, v28, v26 :: v_dual_fma_f32 v15, -v17, v21, v23
	v_div_fixup_f32 v4, v13, v0, v4
	v_trunc_f32_e32 v17, v10
	s_delay_alu instid0(VALU_DEP_3) | instskip(SKIP_1) | instid1(VALU_DEP_3)
	v_div_fmas_f32 v14, v14, v20, v28
	s_mov_b32 vcc_lo, s5
	v_trunc_f32_e32 v12, v4
	v_div_fmas_f32 v15, v15, v22, v21
	s_delay_alu instid0(VALU_DEP_3) | instskip(NEXT) | instid1(VALU_DEP_3)
	v_div_fixup_f32 v5, v14, v0, v5
	v_sub_f32_e32 v18, v4, v12
	s_delay_alu instid0(VALU_DEP_3) | instskip(NEXT) | instid1(VALU_DEP_3)
	v_div_fixup_f32 v11, v15, v0, v11
	v_trunc_f32_e32 v13, v5
	s_delay_alu instid0(VALU_DEP_2) | instskip(NEXT) | instid1(VALU_DEP_1)
	v_trunc_f32_e32 v14, v11
	v_dual_sub_f32 v16, v5, v13 :: v_dual_sub_f32 v15, v11, v14
	s_delay_alu instid0(VALU_DEP_1) | instskip(NEXT) | instid1(VALU_DEP_1)
	v_cmp_ge_f32_e64 s3, |v15|, 0.5
	v_cndmask_b32_e64 v15, 0, 1.0, s3
	s_delay_alu instid0(VALU_DEP_3) | instskip(NEXT) | instid1(VALU_DEP_2)
	v_cmp_ge_f32_e64 s3, |v16|, 0.5
	v_bfi_b32 v11, 0x7fffffff, v15, v11
	s_delay_alu instid0(VALU_DEP_2) | instskip(SKIP_2) | instid1(VALU_DEP_3)
	v_cndmask_b32_e64 v16, 0, 1.0, s3
	v_sub_f32_e32 v15, v10, v17
	v_cmp_ge_f32_e64 s3, |v18|, 0.5
	v_bfi_b32 v5, 0x7fffffff, v16, v5
	v_add_f32_e32 v11, v14, v11
	s_delay_alu instid0(VALU_DEP_3) | instskip(SKIP_1) | instid1(VALU_DEP_4)
	v_cndmask_b32_e64 v18, 0, 1.0, s3
	v_cmp_ge_f32_e64 s3, |v15|, 0.5
	v_add_f32_e32 v5, v13, v5
	s_delay_alu instid0(VALU_DEP_4) | instskip(NEXT) | instid1(VALU_DEP_4)
	v_cvt_i32_f32_e32 v11, v11
	v_bfi_b32 v4, 0x7fffffff, v18, v4
	s_delay_alu instid0(VALU_DEP_4) | instskip(NEXT) | instid1(VALU_DEP_4)
	v_cndmask_b32_e64 v14, 0, 1.0, s3
	v_cvt_i32_f32_e32 v5, v5
	s_delay_alu instid0(VALU_DEP_4) | instskip(NEXT) | instid1(VALU_DEP_3)
	v_and_b32_e32 v11, 0xff, v11
	v_bfi_b32 v10, 0x7fffffff, v14, v10
	v_add_f32_e32 v4, v12, v4
	s_delay_alu instid0(VALU_DEP_4) | instskip(NEXT) | instid1(VALU_DEP_3)
	v_and_b32_e32 v5, 0xff, v5
	v_dual_add_f32 v10, v17, v10 :: v_dual_lshlrev_b32 v11, 16, v11
	s_delay_alu instid0(VALU_DEP_3) | instskip(NEXT) | instid1(VALU_DEP_3)
	v_cvt_i32_f32_e32 v4, v4
	v_lshlrev_b32_e32 v5, 8, v5
	s_delay_alu instid0(VALU_DEP_3) | instskip(NEXT) | instid1(VALU_DEP_3)
	v_cvt_i32_f32_e32 v10, v10
	v_lshl_or_b32 v4, v4, 24, v11
	s_delay_alu instid0(VALU_DEP_2) | instskip(NEXT) | instid1(VALU_DEP_1)
	v_and_b32_e32 v10, 0xff, v10
	v_or3_b32 v12, v4, v5, v10
.LBB23_5:
	s_or_b32 exec_lo, exec_lo, s8
	v_dual_lshlrev_b32 v4, 2, v163 :: v_dual_bitop2_b32 v5, 7, v163 bitop3:0x40
	v_add_nc_u64_e32 v[2:3], s[6:7], v[2:3]
	s_delay_alu instid0(VALU_DEP_2)
	v_cmp_eq_u32_e64 s3, 0, v5
	ds_store_b32 v4, v12
	s_and_saveexec_b32 s4, s3
	s_cbranch_execz .LBB23_7
; %bb.6:
	s_wait_dscnt 0x1
	v_add_f32_e32 v1, v1, v9
	ds_store_b64 v163, v[0:1] offset:256
.LBB23_7:
	s_or_b32 exec_lo, exec_lo, s4
	global_load_b128 v[12:15], v[2:3], off offset:512
	v_mov_b64_e32 v[0:1], s[24:25]
	s_mov_b32 s7, exec_lo
	s_wait_loadcnt 0x0
	v_dual_mov_b32 v2, v15 :: v_dual_mov_b32 v3, v13
	s_wait_dscnt 0x1
	v_dual_mul_f32 v9, s24, v12 :: v_dual_mul_f32 v10, s24, v14
	s_delay_alu instid0(VALU_DEP_2) | instskip(NEXT) | instid1(VALU_DEP_1)
	v_pk_mul_f32 v[2:3], v[0:1], v[2:3]
	v_max_num_f32_e64 v0, |v9|, |v3|
	v_fma_f32 v5, s24, v12, v3
	s_delay_alu instid0(VALU_DEP_2) | instskip(NEXT) | instid1(VALU_DEP_2)
	v_max3_num_f32 v0, v0, |v10|, |v2|
	v_fmac_f32_e32 v5, s24, v14
	ds_bpermute_b32 v1, v6, v0
	s_wait_dscnt 0x0
	v_max_num_f32_e32 v1, v1, v1
	s_delay_alu instid0(VALU_DEP_1) | instskip(SKIP_3) | instid1(VALU_DEP_1)
	v_max_num_f32_e32 v0, v0, v1
	ds_bpermute_b32 v1, v8, v0
	s_wait_dscnt 0x0
	v_max_num_f32_e32 v1, v1, v1
	v_max_num_f32_e32 v0, v0, v1
	ds_bpermute_b32 v1, v7, v0
	s_wait_dscnt 0x0
	v_max_num_f32_e32 v1, v1, v1
	s_delay_alu instid0(VALU_DEP_1) | instskip(SKIP_2) | instid1(VALU_DEP_1)
	v_dual_add_f32 v5, v5, v2 :: v_dual_max_num_f32 v0, v0, v1
	ds_bpermute_b32 v6, v6, v5
	v_div_scale_f32 v11, null, 0x42fe0000, 0x42fe0000, v0
	v_rcp_f32_e32 v12, v11
	s_wait_dscnt 0x0
	v_add_f32_e32 v1, v5, v6
	s_delay_alu instid0(TRANS32_DEP_1) | instskip(NEXT) | instid1(VALU_DEP_1)
	v_fma_f32 v5, -v11, v12, 1.0
	v_fmac_f32_e32 v12, v5, v12
	ds_bpermute_b32 v6, v8, v1
	v_div_scale_f32 v8, vcc_lo, v0, 0x42fe0000, v0
	s_delay_alu instid0(VALU_DEP_1) | instskip(SKIP_1) | instid1(VALU_DEP_1)
	v_mul_f32_e32 v13, v8, v12
	s_wait_dscnt 0x0
	v_dual_fma_f32 v5, -v11, v13, v8 :: v_dual_add_f32 v1, v1, v6
	s_delay_alu instid0(VALU_DEP_1) | instskip(SKIP_2) | instid1(VALU_DEP_1)
	v_fmac_f32_e32 v13, v5, v12
	ds_bpermute_b32 v5, v7, v1
	v_fma_f32 v6, -v11, v13, v8
	v_div_fmas_f32 v6, v6, v12, v13
	s_delay_alu instid0(VALU_DEP_1) | instskip(SKIP_1) | instid1(VALU_DEP_2)
	v_div_fixup_f32 v0, v6, 0x42fe0000, v0
	v_mov_b32_e32 v6, 0
	v_cmpx_neq_f32_e32 0, v0
	s_cbranch_execz .LBB23_9
; %bb.8:
	v_div_scale_f32 v6, null, v0, v0, v9
	v_div_scale_f32 v7, null, v0, v0, v2
	;; [unrolled: 1-line block ×3, first 2 shown]
	s_delay_alu instid0(VALU_DEP_3) | instskip(NEXT) | instid1(VALU_DEP_2)
	v_rcp_f32_e32 v8, v6
	v_rcp_f32_e32 v12, v7
	v_div_scale_f32 v11, null, v0, v0, v3
	s_delay_alu instid0(VALU_DEP_2) | instskip(SKIP_1) | instid1(TRANS32_DEP_3)
	v_rcp_f32_e32 v18, v13
	v_div_scale_f32 v15, vcc_lo, v9, v0, v9
	v_fma_f32 v14, -v6, v8, 1.0
	s_delay_alu instid0(TRANS32_DEP_2) | instskip(SKIP_2) | instid1(VALU_DEP_3)
	v_fma_f32 v17, -v7, v12, 1.0
	v_rcp_f32_e32 v16, v11
	v_div_scale_f32 v22, s5, v3, v0, v3
	v_fmac_f32_e32 v8, v14, v8
	v_div_scale_f32 v14, s4, v2, v0, v2
	v_fma_f32 v19, -v13, v18, 1.0
	v_fmac_f32_e32 v12, v17, v12
	s_delay_alu instid0(TRANS32_DEP_1) | instskip(NEXT) | instid1(VALU_DEP_3)
	v_fma_f32 v17, -v11, v16, 1.0
	v_fmac_f32_e32 v18, v19, v18
	v_div_scale_f32 v19, s6, v10, v0, v10
	s_delay_alu instid0(VALU_DEP_4) | instskip(NEXT) | instid1(VALU_DEP_1)
	v_mul_f32_e32 v21, v14, v12
	v_dual_fmac_f32 v16, v17, v16 :: v_dual_fma_f32 v23, -v7, v21, v14
	v_mul_f32_e32 v20, v15, v8
	s_delay_alu instid0(VALU_DEP_1) | instskip(NEXT) | instid1(VALU_DEP_1)
	v_fma_f32 v17, -v6, v20, v15
	v_dual_fmac_f32 v20, v17, v8 :: v_dual_mul_f32 v17, v19, v18
	s_delay_alu instid0(VALU_DEP_4) | instskip(NEXT) | instid1(VALU_DEP_1)
	v_fmac_f32_e32 v21, v23, v12
	v_fma_f32 v7, -v7, v21, v14
	s_delay_alu instid0(VALU_DEP_3) | instskip(NEXT) | instid1(VALU_DEP_1)
	v_fma_f32 v14, -v13, v17, v19
	v_fmac_f32_e32 v17, v14, v18
	v_mul_f32_e32 v24, v22, v16
	v_fma_f32 v6, -v6, v20, v15
	s_delay_alu instid0(VALU_DEP_2) | instskip(NEXT) | instid1(VALU_DEP_2)
	v_fma_f32 v23, -v11, v24, v22
	v_div_fmas_f32 v6, v6, v8, v20
	s_mov_b32 vcc_lo, s4
	v_div_fmas_f32 v7, v7, v12, v21
	s_mov_b32 vcc_lo, s5
	s_delay_alu instid0(VALU_DEP_2) | instskip(SKIP_1) | instid1(VALU_DEP_3)
	v_div_fixup_f32 v6, v6, v0, v9
	v_fmac_f32_e32 v24, v23, v16
	v_div_fixup_f32 v2, v7, v0, v2
	s_delay_alu instid0(VALU_DEP_2) | instskip(NEXT) | instid1(VALU_DEP_2)
	v_dual_fma_f32 v8, -v11, v24, v22 :: v_dual_fma_f32 v11, -v13, v17, v19
	v_trunc_f32_e32 v9, v2
	v_trunc_f32_e32 v13, v6
	s_delay_alu instid0(VALU_DEP_3) | instskip(SKIP_1) | instid1(VALU_DEP_3)
	v_div_fmas_f32 v8, v8, v16, v24
	s_mov_b32 vcc_lo, s6
	v_sub_f32_e32 v14, v2, v9
	v_div_fmas_f32 v11, v11, v18, v17
	s_delay_alu instid0(VALU_DEP_3) | instskip(NEXT) | instid1(VALU_DEP_2)
	v_div_fixup_f32 v3, v8, v0, v3
	v_div_fixup_f32 v10, v11, v0, v10
	s_delay_alu instid0(VALU_DEP_2) | instskip(NEXT) | instid1(VALU_DEP_2)
	v_trunc_f32_e32 v7, v3
	v_trunc_f32_e32 v8, v10
	s_delay_alu instid0(VALU_DEP_1) | instskip(NEXT) | instid1(VALU_DEP_1)
	v_dual_sub_f32 v12, v3, v7 :: v_dual_sub_f32 v11, v10, v8
	v_cmp_ge_f32_e64 s4, |v11|, 0.5
	s_delay_alu instid0(VALU_DEP_1) | instskip(NEXT) | instid1(VALU_DEP_3)
	v_cndmask_b32_e64 v11, 0, 1.0, s4
	v_cmp_ge_f32_e64 s4, |v12|, 0.5
	s_delay_alu instid0(VALU_DEP_2) | instskip(NEXT) | instid1(VALU_DEP_2)
	v_bfi_b32 v10, 0x7fffffff, v11, v10
	v_cndmask_b32_e64 v12, 0, 1.0, s4
	v_sub_f32_e32 v11, v6, v13
	v_cmp_ge_f32_e64 s4, |v14|, 0.5
	s_delay_alu instid0(VALU_DEP_3) | instskip(SKIP_1) | instid1(VALU_DEP_3)
	v_bfi_b32 v3, 0x7fffffff, v12, v3
	v_add_f32_e32 v8, v8, v10
	v_cndmask_b32_e64 v14, 0, 1.0, s4
	v_cmp_ge_f32_e64 s4, |v11|, 0.5
	s_delay_alu instid0(VALU_DEP_4) | instskip(NEXT) | instid1(VALU_DEP_4)
	v_add_f32_e32 v3, v7, v3
	v_cvt_i32_f32_e32 v7, v8
	s_delay_alu instid0(VALU_DEP_4) | instskip(NEXT) | instid1(VALU_DEP_4)
	v_bfi_b32 v2, 0x7fffffff, v14, v2
	v_cndmask_b32_e64 v10, 0, 1.0, s4
	s_delay_alu instid0(VALU_DEP_4) | instskip(NEXT) | instid1(VALU_DEP_4)
	v_cvt_i32_f32_e32 v3, v3
	v_and_b32_e32 v7, 0xff, v7
	s_delay_alu instid0(VALU_DEP_4) | instskip(NEXT) | instid1(VALU_DEP_4)
	v_add_f32_e32 v2, v9, v2
	v_bfi_b32 v6, 0x7fffffff, v10, v6
	s_delay_alu instid0(VALU_DEP_4) | instskip(NEXT) | instid1(VALU_DEP_4)
	v_and_b32_e32 v3, 0xff, v3
	v_lshlrev_b32_e32 v7, 16, v7
	s_delay_alu instid0(VALU_DEP_4) | instskip(NEXT) | instid1(VALU_DEP_3)
	v_cvt_i32_f32_e32 v2, v2
	v_dual_add_f32 v6, v13, v6 :: v_dual_lshlrev_b32 v3, 8, v3
	s_delay_alu instid0(VALU_DEP_2) | instskip(NEXT) | instid1(VALU_DEP_2)
	v_lshl_or_b32 v2, v2, 24, v7
	v_cvt_i32_f32_e32 v6, v6
	s_delay_alu instid0(VALU_DEP_1) | instskip(NEXT) | instid1(VALU_DEP_1)
	v_and_b32_e32 v6, 0xff, v6
	v_or3_b32 v6, v2, v3, v6
.LBB23_9:
	s_or_b32 exec_lo, exec_lo, s7
	ds_store_b32 v4, v6 offset:128
	s_and_b32 exec_lo, exec_lo, s3
	s_cbranch_execz .LBB23_11
; %bb.10:
	s_wait_dscnt 0x1
	v_add_f32_e32 v1, v1, v5
	ds_store_b64 v163, v[0:1] offset:288
.LBB23_11:
	s_or_b32 exec_lo, exec_lo, s26
	v_dual_mov_b32 v175, 0 :: v_dual_bitop2_b32 v17, 1, v163 bitop3:0x40
	s_wait_dscnt 0x0
	s_barrier_signal -1
	s_barrier_wait -1
	s_delay_alu instid0(VALU_DEP_1)
	v_lshlrev_b32_e32 v32, 2, v17
	s_ashr_i32 s35, s34, 31
	s_ashr_i32 s3, s31, 31
	;; [unrolled: 1-line block ×3, first 2 shown]
	ds_load_2addr_b32 v[34:35], v32 offset1:2
	ds_load_2addr_b32 v[36:37], v32 offset0:4 offset1:6
	ds_load_2addr_b32 v[38:39], v32 offset0:8 offset1:10
	;; [unrolled: 1-line block ×3, first 2 shown]
	ds_load_b128 v[0:3], v175 offset:256
	ds_load_b128 v[4:7], v175 offset:272
	;; [unrolled: 1-line block ×4, first 2 shown]
	ds_load_2addr_b32 v[42:43], v32 offset0:16 offset1:18
	ds_load_2addr_b32 v[44:45], v32 offset0:20 offset1:22
	ds_load_2addr_b32 v[46:47], v32 offset0:24 offset1:26
	ds_load_2addr_b32 v[48:49], v32 offset0:28 offset1:30
	ds_load_2addr_b32 v[50:51], v32 offset0:32 offset1:34
	ds_load_2addr_b32 v[52:53], v32 offset0:36 offset1:38
	ds_load_2addr_b32 v[54:55], v32 offset0:40 offset1:42
	ds_load_2addr_b32 v[56:57], v32 offset0:44 offset1:46
	ds_load_2addr_b32 v[58:59], v32 offset0:48 offset1:50
	ds_load_2addr_b32 v[60:61], v32 offset0:52 offset1:54
	ds_load_2addr_b32 v[62:63], v32 offset0:56 offset1:58
	ds_load_2addr_b32 v[64:65], v32 offset0:60 offset1:62
	s_mul_u64 s[24:25], s[40:41], s[46:47]
	s_mul_u64 s[44:45], s[38:39], s[44:45]
	s_cmp_eq_u64 s[18:19], 0
	s_wait_dscnt 0x0
	s_barrier_signal -1
	s_barrier_wait -1
	s_cbranch_scc1 .LBB23_13
; %bb.12:
	s_load_b32 s4, s[0:1], 0xd0
	s_wait_kmcnt 0x0
	s_mul_i32 s4, s4, s30
	s_delay_alu instid0(SALU_CYCLE_1)
	s_add_co_i32 s4, s4, s33
	s_load_b32 s36, s[18:19], s4 offset:0x0 scale_offset
.LBB23_13:
	v_lshlrev_b32_e32 v16, 5, v103
	s_wait_xcnt 0x0
	s_bfe_u32 s4, ttmp6, 0x40010
	s_and_b32 s5, ttmp7, 0xffff
	s_add_co_i32 s4, s4, 1
	s_bfe_u32 s6, ttmp6, 0x40004
	s_mul_i32 s4, s5, s4
	v_dual_add_nc_u32 v171, v16, v163 :: v_dual_lshlrev_b32 v173, 2, v163
	s_add_co_i32 s6, s6, s4
	s_cmp_eq_u32 s50, 0
	s_mov_b32 s9, 0
	s_cselect_b32 s24, s5, s6
	v_lshlrev_b32_e32 v172, 1, v171
	s_lshl_b32 s37, s24, 7
	s_wait_kmcnt 0x0
	s_cmp_ge_i32 s37, s36
	s_cbranch_scc1 .LBB23_21
; %bb.14:
	s_clause 0x1
	s_load_b128 s[4:7], s[0:1], 0x98
	s_load_b64 s[26:27], s[0:1], 0x8c
	v_and_b32_e32 v18, 0x7e, v163
	v_dual_mov_b32 v33, 0 :: v_dual_bitop2_b32 v19, 30, v165 bitop3:0x40
	s_xor_b32 s8, s35, s3
	v_cmp_eq_u32_e64 s3, 0, v17
	v_dual_add_f32 v88, v15, v15 :: v_dual_bitop2_b32 v17, 4, v165 bitop3:0x14
	v_dual_mov_b32 v15, v14 :: v_dual_bitop2_b32 v22, 8, v165 bitop3:0x14
	v_xor_b32_e32 v23, 16, v165
	v_dual_lshlrev_b32 v174, 1, v16 :: v_dual_bitop2_b32 v20, 1, v165 bitop3:0x14
	v_dual_add_f32 v90, v13, v13 :: v_dual_add_f32 v94, v11, v11
	v_dual_mov_b32 v13, v12 :: v_dual_add_nc_u32 v24, 0x80, v173
	v_mov_b32_e32 v11, v10
	s_mul_i32 s41, s25, s49
	s_wait_kmcnt 0x0
	v_mul_lo_u32 v78, v16, s6
	v_xor_b32_e32 v21, 2, v165
	s_sub_co_i32 s40, s40, s41
	s_add_co_i32 s19, s25, 1
	s_sub_co_i32 s41, s40, s49
	s_cmp_ge_u32 s40, s49
	s_mul_i32 s39, s45, s48
	s_cselect_b32 s19, s19, s25
	s_cselect_b32 s25, s41, s40
	s_add_co_i32 s40, s19, 1
	s_cmp_ge_u32 s25, s49
	v_dual_add_nc_u32 v86, s6, v78 :: v_dual_bitop2_b32 v84, 12, v173 bitop3:0x40
	v_cmp_gt_i32_e32 vcc_lo, 32, v21
	s_cselect_b32 s19, s40, s19
	s_mul_i32 s18, s43, s33
	s_delay_alu instid0(VALU_DEP_2)
	v_add_nc_u32_e32 v92, s6, v86
	s_clause 0x2
	s_load_b64 s[44:45], s[0:1], 0xa8
	s_load_b64 s[42:43], s[0:1], 0xc8
	s_load_b32 s46, s[0:1], 0xd4
	s_xor_b32 s19, s19, s8
	s_sub_co_i32 s25, s38, s39
	s_sub_co_i32 s8, s19, s8
	v_dual_add_f32 v3, v3, v3 :: v_dual_add_nc_u32 v96, s6, v92
	s_mul_i32 s38, s8, s27
	s_mul_i32 s40, s8, s7
	s_sub_co_i32 s47, s25, s48
	s_delay_alu instid0(VALU_DEP_1) | instskip(SKIP_2) | instid1(VALU_DEP_3)
	v_dual_add_nc_u32 v98, s6, v96 :: v_dual_add_nc_u32 v102, v16, v18
	v_dual_cndmask_b32 v18, v165, v21, vcc_lo :: v_dual_bitop2_b32 v178, 24, v32 bitop3:0x54
	v_cmp_gt_i32_e32 vcc_lo, 32, v17
	v_dual_mov_b32 v71, v33 :: v_dual_add_nc_u32 v100, s6, v98
	v_dual_mov_b32 v77, v33 :: v_dual_add_nc_u32 v16, 2, v19
	v_mul_lo_u32 v128, v102, s26
	s_delay_alu instid0(VALU_DEP_3)
	v_add_nc_u32_e32 v104, s6, v100
	s_ashr_i32 s39, s38, 31
	s_ashr_i32 s41, s40, 31
	s_cmp_ge_u32 s25, s48
	s_mul_u64 s[4:5], s[4:5], s[30:31]
	v_dual_mov_b32 v81, v33 :: v_dual_add_nc_u32 v106, s6, v104
	v_dual_mov_b32 v83, v33 :: v_dual_ashrrev_i32 v87, 31, v86
	s_cselect_b32 s7, s47, s25
	s_delay_alu instid0(VALU_DEP_2) | instskip(SKIP_3) | instid1(VALU_DEP_3)
	v_dual_cndmask_b32 v17, v165, v17 :: v_dual_add_nc_u32 v108, s6, v106
	v_cmp_gt_i32_e32 vcc_lo, 32, v22
	v_add_nc_u32_e32 v138, s26, v128
	s_sub_co_i32 s8, s7, s48
	v_dual_mov_b32 v85, v33 :: v_dual_add_nc_u32 v110, s6, v108
	v_cndmask_b32_e32 v19, v165, v22, vcc_lo
	v_cmp_gt_i32_e32 vcc_lo, 32, v23
	s_add_nc_u64 s[4:5], s[10:11], s[4:5]
	s_delay_alu instid0(VALU_DEP_3)
	v_add_nc_u32_e32 v114, s6, v110
	s_cmp_ge_u32 s7, s48
	s_add_nc_u64 s[38:39], s[4:5], s[38:39]
	v_dual_cndmask_b32 v21, v165, v23, vcc_lo :: v_dual_bitop2_b32 v112, 12, v24 bitop3:0x40
	v_cmp_lt_i32_e32 vcc_lo, v20, v16
	v_add_nc_u32_e32 v116, s6, v114
	s_cselect_b32 s4, s8, s7
	s_wait_kmcnt 0x0
	s_mul_u64 s[44:45], s[44:45], s[30:31]
	s_xor_b32 s4, s4, s31
	v_cndmask_b32_e32 v16, v165, v20, vcc_lo
	v_dual_add_nc_u32 v118, s6, v116 :: v_dual_lshlrev_b32 v180, 2, v18
	v_lshlrev_b32_e32 v181, 2, v17
	s_sub_co_i32 s4, s4, s31
	s_add_nc_u64 s[10:11], s[12:13], s[44:45]
	s_delay_alu instid0(VALU_DEP_2)
	v_add_nc_u32_e32 v120, s6, v118
	s_ashr_i32 s5, s4, 31
	s_add_nc_u64 s[40:41], s[10:11], s[40:41]
	s_mul_u64 s[10:11], s[42:43], s[4:5]
	s_ashr_i32 s19, s18, 31
	v_add_nc_u32_e32 v122, s6, v120
	v_lshlrev_b32_e32 v184, 2, v16
	s_add_nc_u64 s[12:13], s[14:15], s[10:11]
	v_dual_lshrrev_b32 v162, 5, v24 :: v_dual_bitop2_b32 v188, 28, v173 bitop3:0x40
	s_delay_alu instid0(VALU_DEP_3)
	v_add_nc_u32_e32 v124, s6, v122
	s_lshl_b32 s8, s37, 1
	s_add_nc_u64 s[12:13], s[12:13], s[18:19]
	s_cmp_lg_u64 s[14:15], 0
	s_add_nc_u64 s[12:13], s[12:13], s[8:9]
	v_add_nc_u32_e32 v126, s6, v124
	s_mul_i32 s8, s6, s37
	v_bitop3_b32 v66, v32, 12, 24 bitop3:0xc8
	v_bitop3_b32 v68, v32, 12, 56 bitop3:0xc8
	;; [unrolled: 1-line block ×3, first 2 shown]
	v_add_nc_u32_e32 v130, s6, v126
	v_bitop3_b32 v72, v32, 12, 0x78 bitop3:0xc8
	v_bitop3_b32 v74, v32, 12, 0x98 bitop3:0xc8
	;; [unrolled: 1-line block ×4, first 2 shown]
	v_add_nc_u32_e32 v132, s6, v130
	v_bitop3_b32 v82, v32, 12, 0xf8 bitop3:0xc8
	v_dual_add_f32 v1, v1, v1 :: v_dual_bitop2_b32 v176, 8, v32 bitop3:0x54
	s_delay_alu instid0(VALU_DEP_3) | instskip(SKIP_3) | instid1(VALU_DEP_4)
	v_dual_ashrrev_i32 v79, 31, v78 :: v_dual_add_nc_u32 v134, s6, v132
	v_ashrrev_i32_e32 v129, 31, v128
	v_dual_add_f32 v5, v5, v5 :: v_dual_bitop2_b32 v177, 16, v32 bitop3:0x54
	v_bitop3_b32 v179, v32, 28, 56 bitop3:0xc8
	v_dual_mov_b32 v67, v33 :: v_dual_add_nc_u32 v136, s6, v134
	v_dual_mov_b32 v69, v33 :: v_dual_mov_b32 v73, v33
	s_delay_alu instid0(VALU_DEP_2) | instskip(SKIP_2) | instid1(VALU_DEP_3)
	v_dual_mov_b32 v75, v33 :: v_dual_add_nc_u32 v140, s6, v136
	v_dual_ashrrev_i32 v139, 31, v138 :: v_dual_mov_b32 v113, v33
	v_dual_mov_b32 v89, v88 :: v_dual_mov_b32 v91, v90
	v_dual_mov_b32 v95, v94 :: v_dual_add_nc_u32 v142, s6, v140
	v_dual_lshlrev_b32 v182, 2, v19 :: v_dual_lshlrev_b32 v183, 2, v21
	v_ashrrev_i32_e32 v93, 31, v92
	v_dual_ashrrev_i32 v97, 31, v96 :: v_dual_ashrrev_i32 v107, 31, v106
	s_delay_alu instid0(VALU_DEP_4) | instskip(SKIP_2) | instid1(VALU_DEP_3)
	v_dual_add_nc_u32 v144, s6, v142 :: v_dual_ashrrev_i32 v101, 31, v100
	v_ashrrev_i32_e32 v111, 31, v110
	v_dual_ashrrev_i32 v99, 31, v98 :: v_dual_ashrrev_i32 v105, 31, v104
	v_dual_ashrrev_i32 v115, 31, v114 :: v_dual_add_nc_u32 v146, s6, v144
	v_dual_ashrrev_i32 v117, 31, v116 :: v_dual_ashrrev_i32 v123, 31, v122
	v_dual_ashrrev_i32 v121, 31, v120 :: v_dual_ashrrev_i32 v127, 31, v126
	s_delay_alu instid0(VALU_DEP_3) | instskip(SKIP_2) | instid1(VALU_DEP_3)
	v_add_nc_u32_e32 v148, s6, v146
	v_dual_ashrrev_i32 v119, 31, v118 :: v_dual_ashrrev_i32 v133, 31, v132
	v_dual_ashrrev_i32 v135, 31, v134 :: v_dual_ashrrev_i32 v137, 31, v136
	v_dual_ashrrev_i32 v143, 31, v142 :: v_dual_add_nc_u32 v150, s6, v148
	v_ashrrev_i32_e32 v109, 31, v108
	v_dual_ashrrev_i32 v141, 31, v140 :: v_dual_ashrrev_i32 v147, 31, v146
	v_bitop3_b32 v185, v32, 28, 0x58 bitop3:0xc8
	s_delay_alu instid0(VALU_DEP_4)
	v_add_nc_u32_e32 v152, s6, v150
	v_ashrrev_i32_e32 v131, 31, v130
	v_bitop3_b32 v186, v32, 28, 0x78 bitop3:0xc8
	v_bitop3_b32 v187, v32, 28, 0x98 bitop3:0xc8
	v_bitop3_b32 v189, v32, 28, 0xb8 bitop3:0xc8
	v_add_nc_u32_e32 v154, s6, v152
	v_ashrrev_i32_e32 v125, 31, v124
	v_ashrrev_i32_e32 v149, 31, v148
	v_bitop3_b32 v190, v32, 28, 0xd8 bitop3:0xc8
	v_bitop3_b32 v191, v32, 28, 0xf8 bitop3:0xc8
	v_add_nc_u32_e32 v156, s6, v154
	v_ashrrev_i32_e32 v151, 31, v150
	v_dual_ashrrev_i32 v155, 31, v154 :: v_dual_add_f32 v7, v7, v7
	v_dual_mov_b32 v24, v33 :: v_dual_bitop2_b32 v192, 4, v163 bitop3:0x40
	s_delay_alu instid0(VALU_DEP_4) | instskip(SKIP_3) | instid1(VALU_DEP_4)
	v_add_nc_u32_e32 v158, s6, v156
	v_ashrrev_i32_e32 v145, 31, v144
	v_ashrrev_i32_e32 v153, 31, v152
	v_dual_ashrrev_i32 v157, 31, v156 :: v_dual_add_f32 v9, v9, v9
	v_dual_add_nc_u32 v160, s6, v158 :: v_dual_ashrrev_i32 v159, 31, v158
	v_dual_mov_b32 v22, v33 :: v_dual_bitop2_b32 v193, 1, v188 bitop3:0x54
	v_dual_mov_b32 v175, v33 :: v_dual_bitop2_b32 v194, 2, v188 bitop3:0x54
	s_delay_alu instid0(VALU_DEP_3)
	v_ashrrev_i32_e32 v161, 31, v160
	v_dual_mov_b32 v23, v33 :: v_dual_bitop2_b32 v195, 3, v188 bitop3:0x54
	v_dual_mov_b32 v26, 0xfeffffff :: v_dual_mov_b32 v25, v33
	v_bfe_u32 v164, v163, 3, 27
	s_cselect_b32 s25, -1, 0
	s_lshl_b32 s4, s46, 7
	s_add_nc_u64 s[14:15], s[40:41], s[8:9]
	s_mul_i32 s8, s26, s37
	s_mov_b32 s5, s9
	s_mul_i32 s10, s4, s6
	s_add_nc_u64 s[18:19], s[38:39], s[8:9]
	s_mul_i32 s8, s4, s26
	s_mov_b32 s11, s9
	s_lshl_b64 s[6:7], s[4:5], 1
.LBB23_15:                              ; =>This Inner Loop Header: Depth=1
	v_add_nc_u64_e32 v[16:17], s[18:19], v[128:129]
	s_and_b32 vcc_lo, exec_lo, s25
	s_delay_alu instid0(VALU_DEP_1)
	v_add_nc_u64_e32 v[20:21], v[16:17], v[32:33]
	s_clause 0x1
	global_load_b32 v18, v[20:21], off offset:6
	global_load_b32 v27, v[16:17], off offset:2
	s_wait_loadcnt 0x1
	v_and_b32_e32 v29, 0xf0f0f0f, v18
	s_wait_loadcnt 0x0
	v_dual_ashrrev_i32 v19, v32, v27 :: v_dual_lshrrev_b32 v18, 4, v18
	s_delay_alu instid0(VALU_DEP_1) | instskip(NEXT) | instid1(VALU_DEP_2)
	v_lshlrev_b32_e32 v28, 4, v19
	v_and_b32_e32 v18, 0xf0f0f0f, v18
	s_delay_alu instid0(VALU_DEP_2) | instskip(SKIP_1) | instid1(VALU_DEP_2)
	v_dual_lshlrev_b32 v30, 11, v19 :: v_dual_bitop2_b32 v28, 16, v28 bitop3:0x40
	v_dual_lshlrev_b32 v31, 18, v19 :: v_dual_lshlrev_b32 v19, 25, v19
	v_and_b32_e32 v30, 0x1000, v30
	s_delay_alu instid0(VALU_DEP_2) | instskip(NEXT) | instid1(VALU_DEP_3)
	v_and_b32_e32 v31, 0x100000, v31
	v_and_b32_e32 v19, 0x10000000, v19
	s_delay_alu instid0(VALU_DEP_1)
	v_or3_b32 v19, v19, v29, v31
	global_load_b32 v29, v[20:21], off offset:14
	v_or3_b32 v19, v19, v28, v30
	global_load_u16 v28, v[16:17], off
	v_ashrrev_i32_e32 v30, v176, v27
	v_dot4_i32_iu8 v19, v19, v34, 0 neg_lo:[1,1,0]
	s_delay_alu instid0(VALU_DEP_2) | instskip(SKIP_1) | instid1(VALU_DEP_3)
	v_dual_lshlrev_b32 v167, 18, v30 :: v_dual_lshlrev_b32 v31, 4, v30
	v_lshlrev_b32_e32 v166, 11, v30
	v_cvt_f32_i32_e32 v19, v19
	v_lshlrev_b32_e32 v30, 25, v30
	s_delay_alu instid0(VALU_DEP_4) | instskip(SKIP_4) | instid1(VALU_DEP_1)
	v_and_b32_e32 v167, 0x100000, v167
	v_and_b32_e32 v31, 16, v31
	;; [unrolled: 1-line block ×3, first 2 shown]
	v_fma_f32 v19, v0, v19, -v1
	v_and_b32_e32 v30, 0x10000000, v30
	v_or3_b32 v30, v167, v30, v31
	s_wait_loadcnt 0x1
	v_and_b32_e32 v29, 0xf0f0f0f, v29
	s_wait_loadcnt 0x0
	v_fma_mix_f32 v19, v19, v28, 0 op_sel_hi:[0,1,0]
	s_delay_alu instid0(VALU_DEP_2) | instskip(NEXT) | instid1(VALU_DEP_1)
	v_or3_b32 v29, v30, v166, v29
	v_dot4_i32_iu8 v29, v29, v35, 0 neg_lo:[1,1,0]
	s_delay_alu instid0(VALU_DEP_1) | instskip(NEXT) | instid1(VALU_DEP_1)
	v_cvt_f32_i32_e32 v29, v29
	v_fma_f32 v29, v0, v29, -v1
	s_delay_alu instid0(VALU_DEP_1) | instskip(SKIP_1) | instid1(VALU_DEP_1)
	v_fma_mix_f32 v19, v29, v28, v19 op_sel_hi:[0,1,0]
	v_ashrrev_i32_e32 v29, v177, v27
	v_dual_lshlrev_b32 v30, 4, v29 :: v_dual_lshlrev_b32 v31, 11, v29
	v_dual_lshlrev_b32 v166, 18, v29 :: v_dual_lshlrev_b32 v29, 25, v29
	s_delay_alu instid0(VALU_DEP_2) | instskip(NEXT) | instid1(VALU_DEP_3)
	v_and_b32_e32 v30, 16, v30
	v_and_b32_e32 v31, 0x1000, v31
	s_delay_alu instid0(VALU_DEP_3) | instskip(NEXT) | instid1(VALU_DEP_4)
	v_and_b32_e32 v166, 0x100000, v166
	v_and_b32_e32 v29, 0x10000000, v29
	s_delay_alu instid0(VALU_DEP_1) | instskip(NEXT) | instid1(VALU_DEP_1)
	v_or3_b32 v18, v29, v18, v166
	v_or3_b32 v18, v18, v30, v31
	s_delay_alu instid0(VALU_DEP_1) | instskip(NEXT) | instid1(VALU_DEP_1)
	v_dot4_i32_iu8 v18, v18, v36, 0 neg_lo:[1,1,0]
	v_cvt_f32_i32_e32 v18, v18
	s_delay_alu instid0(VALU_DEP_1) | instskip(NEXT) | instid1(VALU_DEP_1)
	v_fma_f32 v18, v0, v18, -v1
	v_fma_mix_f32 v29, v18, v28, v19 op_sel_hi:[0,1,0]
	v_add_nc_u64_e32 v[18:19], v[16:17], v[66:67]
	global_load_b32 v18, v[18:19], off offset:6
	s_wait_xcnt 0x0
	v_ashrrev_i32_e32 v19, v178, v27
	s_delay_alu instid0(VALU_DEP_1) | instskip(SKIP_1) | instid1(VALU_DEP_2)
	v_dual_lshlrev_b32 v27, 4, v19 :: v_dual_lshlrev_b32 v30, 11, v19
	v_dual_lshlrev_b32 v31, 18, v19 :: v_dual_lshlrev_b32 v19, 25, v19
	v_and_b32_e32 v27, 16, v27
	s_delay_alu instid0(VALU_DEP_3) | instskip(NEXT) | instid1(VALU_DEP_3)
	v_and_b32_e32 v30, 0x1000, v30
	v_and_b32_e32 v31, 0x100000, v31
	s_delay_alu instid0(VALU_DEP_4) | instskip(NEXT) | instid1(VALU_DEP_1)
	v_and_b32_e32 v19, 0x10000000, v19
	v_or3_b32 v19, v31, v19, v27
	s_wait_loadcnt 0x0
	v_lshrrev_b32_e32 v18, 4, v18
	s_delay_alu instid0(VALU_DEP_1) | instskip(NEXT) | instid1(VALU_DEP_1)
	v_and_b32_e32 v18, 0xf0f0f0f, v18
	v_or3_b32 v18, v19, v30, v18
	s_clause 0x1
	global_load_b32 v19, v[20:21], off offset:28
	global_load_b32 v27, v[16:17], off offset:24
	v_dot4_i32_iu8 v18, v18, v37, 0 neg_lo:[1,1,0]
	s_delay_alu instid0(VALU_DEP_1) | instskip(NEXT) | instid1(VALU_DEP_1)
	v_cvt_f32_i32_e32 v18, v18
	v_fma_f32 v18, v0, v18, -v1
	s_delay_alu instid0(VALU_DEP_1) | instskip(SKIP_4) | instid1(VALU_DEP_1)
	v_fma_mix_f32 v18, v18, v28, v29 op_sel_hi:[0,1,0]
	s_wait_loadcnt 0x1
	v_and_b32_e32 v30, 0xf0f0f0f, v19
	s_wait_loadcnt 0x0
	v_ashrrev_i32_e32 v28, v32, v27
	v_lshlrev_b32_e32 v29, 4, v28
	s_delay_alu instid0(VALU_DEP_1) | instskip(SKIP_1) | instid1(VALU_DEP_2)
	v_dual_lshlrev_b32 v31, 11, v28 :: v_dual_bitop2_b32 v29, 16, v29 bitop3:0x40
	v_dual_lshlrev_b32 v166, 18, v28 :: v_dual_lshlrev_b32 v28, 25, v28
	v_and_b32_e32 v31, 0x1000, v31
	s_delay_alu instid0(VALU_DEP_2) | instskip(NEXT) | instid1(VALU_DEP_3)
	v_and_b32_e32 v166, 0x100000, v166
	v_and_b32_e32 v28, 0x10000000, v28
	s_delay_alu instid0(VALU_DEP_1) | instskip(SKIP_1) | instid1(VALU_DEP_2)
	v_or3_b32 v28, v28, v30, v166
	v_ashrrev_i32_e32 v30, v176, v27
	v_or3_b32 v28, v28, v29, v31
	global_load_u16 v29, v[16:17], off offset:22
	v_dual_lshlrev_b32 v31, 4, v30 :: v_dual_lshlrev_b32 v166, 11, v30
	v_lshlrev_b32_e32 v167, 18, v30
	v_dot4_i32_iu8 v28, v28, v38, 0 neg_lo:[1,1,0]
	s_delay_alu instid0(VALU_DEP_3) | instskip(NEXT) | instid1(VALU_DEP_4)
	v_dual_lshlrev_b32 v30, 25, v30 :: v_dual_bitop2_b32 v31, 16, v31 bitop3:0x40
	v_and_b32_e32 v166, 0x1000, v166
	s_delay_alu instid0(VALU_DEP_4) | instskip(NEXT) | instid1(VALU_DEP_4)
	v_and_b32_e32 v167, 0x100000, v167
	v_cvt_f32_i32_e32 v28, v28
	s_delay_alu instid0(VALU_DEP_4) | instskip(NEXT) | instid1(VALU_DEP_2)
	v_and_b32_e32 v30, 0x10000000, v30
	v_fma_f32 v28, v2, v28, -v3
	s_delay_alu instid0(VALU_DEP_2) | instskip(SKIP_1) | instid1(VALU_DEP_2)
	v_or3_b32 v30, v167, v30, v31
	s_wait_loadcnt 0x0
	v_fma_mix_f32 v18, v28, v29, v18 op_sel_hi:[0,1,0]
	global_load_b32 v28, v[20:21], off offset:36
	s_wait_loadcnt 0x0
	v_and_b32_e32 v28, 0xf0f0f0f, v28
	s_delay_alu instid0(VALU_DEP_1) | instskip(NEXT) | instid1(VALU_DEP_1)
	v_or3_b32 v28, v30, v166, v28
	v_dot4_i32_iu8 v28, v28, v39, 0 neg_lo:[1,1,0]
	s_delay_alu instid0(VALU_DEP_1) | instskip(NEXT) | instid1(VALU_DEP_1)
	v_cvt_f32_i32_e32 v28, v28
	v_fma_f32 v28, v2, v28, -v3
	s_delay_alu instid0(VALU_DEP_1) | instskip(SKIP_1) | instid1(VALU_DEP_1)
	v_fma_mix_f32 v18, v28, v29, v18 op_sel_hi:[0,1,0]
	v_ashrrev_i32_e32 v28, v177, v27
	v_dual_lshrrev_b32 v19, 4, v19 :: v_dual_lshlrev_b32 v30, 4, v28
	s_delay_alu instid0(VALU_DEP_1) | instskip(NEXT) | instid1(VALU_DEP_2)
	v_and_b32_e32 v19, 0xf0f0f0f, v19
	v_dual_lshlrev_b32 v31, 11, v28 :: v_dual_bitop2_b32 v30, 16, v30 bitop3:0x40
	v_dual_lshlrev_b32 v166, 18, v28 :: v_dual_lshlrev_b32 v28, 25, v28
	s_delay_alu instid0(VALU_DEP_2) | instskip(NEXT) | instid1(VALU_DEP_2)
	v_and_b32_e32 v31, 0x1000, v31
	v_and_b32_e32 v166, 0x100000, v166
	s_delay_alu instid0(VALU_DEP_3) | instskip(NEXT) | instid1(VALU_DEP_1)
	v_and_b32_e32 v28, 0x10000000, v28
	v_or3_b32 v19, v28, v19, v166
	s_delay_alu instid0(VALU_DEP_1) | instskip(NEXT) | instid1(VALU_DEP_1)
	v_or3_b32 v19, v19, v30, v31
	v_dot4_i32_iu8 v19, v19, v40, 0 neg_lo:[1,1,0]
	s_delay_alu instid0(VALU_DEP_1) | instskip(NEXT) | instid1(VALU_DEP_1)
	v_cvt_f32_i32_e32 v19, v19
	v_fma_f32 v19, v2, v19, -v3
	s_delay_alu instid0(VALU_DEP_1) | instskip(SKIP_4) | instid1(VALU_DEP_1)
	v_fma_mix_f32 v28, v19, v29, v18 op_sel_hi:[0,1,0]
	v_add_nc_u64_e32 v[18:19], v[16:17], v[68:69]
	global_load_b32 v18, v[18:19], off offset:28
	s_wait_xcnt 0x0
	v_ashrrev_i32_e32 v19, v179, v27
	v_dual_lshlrev_b32 v27, 4, v19 :: v_dual_lshlrev_b32 v30, 11, v19
	v_dual_lshlrev_b32 v31, 18, v19 :: v_dual_lshlrev_b32 v19, 25, v19
	s_delay_alu instid0(VALU_DEP_2) | instskip(NEXT) | instid1(VALU_DEP_3)
	v_and_b32_e32 v27, 16, v27
	v_and_b32_e32 v30, 0x1000, v30
	s_delay_alu instid0(VALU_DEP_3) | instskip(NEXT) | instid1(VALU_DEP_4)
	v_and_b32_e32 v31, 0x100000, v31
	v_and_b32_e32 v19, 0x10000000, v19
	s_delay_alu instid0(VALU_DEP_1) | instskip(SKIP_2) | instid1(VALU_DEP_1)
	v_or3_b32 v19, v31, v19, v27
	s_wait_loadcnt 0x0
	v_lshrrev_b32_e32 v18, 4, v18
	v_and_b32_e32 v18, 0xf0f0f0f, v18
	s_delay_alu instid0(VALU_DEP_1) | instskip(SKIP_4) | instid1(VALU_DEP_1)
	v_or3_b32 v18, v19, v30, v18
	s_clause 0x1
	global_load_b32 v19, v[20:21], off offset:50
	global_load_b32 v27, v[16:17], off offset:46
	v_dot4_i32_iu8 v18, v18, v41, 0 neg_lo:[1,1,0]
	v_cvt_f32_i32_e32 v18, v18
	s_delay_alu instid0(VALU_DEP_1) | instskip(NEXT) | instid1(VALU_DEP_1)
	v_fma_f32 v18, v2, v18, -v3
	v_fma_mix_f32 v18, v18, v29, v28 op_sel_hi:[0,1,0]
	s_wait_loadcnt 0x1
	v_and_b32_e32 v30, 0xf0f0f0f, v19
	s_wait_loadcnt 0x0
	v_ashrrev_i32_e32 v28, v32, v27
	s_delay_alu instid0(VALU_DEP_1) | instskip(NEXT) | instid1(VALU_DEP_1)
	v_dual_lshrrev_b32 v19, 4, v19 :: v_dual_lshlrev_b32 v29, 4, v28
	v_and_b32_e32 v19, 0xf0f0f0f, v19
	s_delay_alu instid0(VALU_DEP_2) | instskip(SKIP_1) | instid1(VALU_DEP_2)
	v_dual_lshlrev_b32 v31, 11, v28 :: v_dual_bitop2_b32 v29, 16, v29 bitop3:0x40
	v_dual_lshlrev_b32 v166, 18, v28 :: v_dual_lshlrev_b32 v28, 25, v28
	v_and_b32_e32 v31, 0x1000, v31
	s_delay_alu instid0(VALU_DEP_2) | instskip(NEXT) | instid1(VALU_DEP_3)
	v_and_b32_e32 v166, 0x100000, v166
	v_and_b32_e32 v28, 0x10000000, v28
	s_delay_alu instid0(VALU_DEP_1) | instskip(SKIP_1) | instid1(VALU_DEP_2)
	v_or3_b32 v28, v28, v30, v166
	v_ashrrev_i32_e32 v30, v176, v27
	v_or3_b32 v28, v28, v29, v31
	global_load_u16 v29, v[16:17], off offset:44
	v_dual_lshlrev_b32 v31, 4, v30 :: v_dual_lshlrev_b32 v166, 11, v30
	v_dual_lshlrev_b32 v167, 18, v30 :: v_dual_lshlrev_b32 v30, 25, v30
	v_dot4_i32_iu8 v28, v28, v42, 0 neg_lo:[1,1,0]
	s_delay_alu instid0(VALU_DEP_3) | instskip(NEXT) | instid1(VALU_DEP_4)
	v_and_b32_e32 v31, 16, v31
	v_and_b32_e32 v166, 0x1000, v166
	s_delay_alu instid0(VALU_DEP_4) | instskip(SKIP_2) | instid1(VALU_DEP_2)
	v_and_b32_e32 v167, 0x100000, v167
	v_and_b32_e32 v30, 0x10000000, v30
	v_cvt_f32_i32_e32 v28, v28
	v_or3_b32 v30, v167, v30, v31
	s_delay_alu instid0(VALU_DEP_2) | instskip(SKIP_1) | instid1(VALU_DEP_1)
	v_fma_f32 v28, v4, v28, -v5
	s_wait_loadcnt 0x0
	v_fma_mix_f32 v18, v28, v29, v18 op_sel_hi:[0,1,0]
	global_load_b32 v28, v[20:21], off offset:58
	s_wait_loadcnt 0x0
	v_and_b32_e32 v28, 0xf0f0f0f, v28
	s_delay_alu instid0(VALU_DEP_1) | instskip(NEXT) | instid1(VALU_DEP_1)
	v_or3_b32 v28, v30, v166, v28
	v_dot4_i32_iu8 v28, v28, v43, 0 neg_lo:[1,1,0]
	s_delay_alu instid0(VALU_DEP_1) | instskip(NEXT) | instid1(VALU_DEP_1)
	v_cvt_f32_i32_e32 v28, v28
	v_fma_f32 v28, v4, v28, -v5
	s_delay_alu instid0(VALU_DEP_1) | instskip(SKIP_1) | instid1(VALU_DEP_1)
	v_fma_mix_f32 v18, v28, v29, v18 op_sel_hi:[0,1,0]
	v_ashrrev_i32_e32 v28, v177, v27
	v_dual_lshlrev_b32 v30, 4, v28 :: v_dual_lshlrev_b32 v31, 11, v28
	v_dual_lshlrev_b32 v166, 18, v28 :: v_dual_lshlrev_b32 v28, 25, v28
	s_delay_alu instid0(VALU_DEP_2) | instskip(NEXT) | instid1(VALU_DEP_3)
	v_and_b32_e32 v30, 16, v30
	v_and_b32_e32 v31, 0x1000, v31
	s_delay_alu instid0(VALU_DEP_3) | instskip(NEXT) | instid1(VALU_DEP_4)
	v_and_b32_e32 v166, 0x100000, v166
	v_and_b32_e32 v28, 0x10000000, v28
	s_delay_alu instid0(VALU_DEP_1) | instskip(NEXT) | instid1(VALU_DEP_1)
	v_or3_b32 v19, v28, v19, v166
	v_or3_b32 v19, v19, v30, v31
	s_delay_alu instid0(VALU_DEP_1) | instskip(NEXT) | instid1(VALU_DEP_1)
	v_dot4_i32_iu8 v19, v19, v44, 0 neg_lo:[1,1,0]
	v_cvt_f32_i32_e32 v19, v19
	s_delay_alu instid0(VALU_DEP_1) | instskip(NEXT) | instid1(VALU_DEP_1)
	v_fma_f32 v19, v4, v19, -v5
	v_fma_mix_f32 v28, v19, v29, v18 op_sel_hi:[0,1,0]
	v_add_nc_u64_e32 v[18:19], v[16:17], v[70:71]
	global_load_b32 v18, v[18:19], off offset:50
	s_wait_xcnt 0x0
	v_ashrrev_i32_e32 v19, v185, v27
	s_delay_alu instid0(VALU_DEP_1) | instskip(SKIP_1) | instid1(VALU_DEP_2)
	v_dual_lshlrev_b32 v27, 4, v19 :: v_dual_lshlrev_b32 v30, 11, v19
	v_dual_lshlrev_b32 v31, 18, v19 :: v_dual_lshlrev_b32 v19, 25, v19
	v_and_b32_e32 v27, 16, v27
	s_delay_alu instid0(VALU_DEP_3) | instskip(NEXT) | instid1(VALU_DEP_3)
	v_and_b32_e32 v30, 0x1000, v30
	v_and_b32_e32 v31, 0x100000, v31
	s_delay_alu instid0(VALU_DEP_4) | instskip(NEXT) | instid1(VALU_DEP_1)
	v_and_b32_e32 v19, 0x10000000, v19
	v_or3_b32 v19, v31, v19, v27
	s_wait_loadcnt 0x0
	v_lshrrev_b32_e32 v18, 4, v18
	s_delay_alu instid0(VALU_DEP_1) | instskip(NEXT) | instid1(VALU_DEP_1)
	v_and_b32_e32 v18, 0xf0f0f0f, v18
	v_or3_b32 v18, v19, v30, v18
	s_clause 0x1
	global_load_b32 v19, v[20:21], off offset:72
	global_load_b32 v27, v[16:17], off offset:68
	v_dot4_i32_iu8 v18, v18, v45, 0 neg_lo:[1,1,0]
	s_delay_alu instid0(VALU_DEP_1) | instskip(NEXT) | instid1(VALU_DEP_1)
	v_cvt_f32_i32_e32 v18, v18
	v_fma_f32 v18, v4, v18, -v5
	s_delay_alu instid0(VALU_DEP_1) | instskip(SKIP_4) | instid1(VALU_DEP_1)
	v_fma_mix_f32 v18, v18, v29, v28 op_sel_hi:[0,1,0]
	s_wait_loadcnt 0x1
	v_and_b32_e32 v30, 0xf0f0f0f, v19
	s_wait_loadcnt 0x0
	v_ashrrev_i32_e32 v28, v32, v27
	v_lshlrev_b32_e32 v29, 4, v28
	s_delay_alu instid0(VALU_DEP_1) | instskip(SKIP_1) | instid1(VALU_DEP_2)
	v_dual_lshlrev_b32 v31, 11, v28 :: v_dual_bitop2_b32 v29, 16, v29 bitop3:0x40
	v_dual_lshlrev_b32 v166, 18, v28 :: v_dual_lshlrev_b32 v28, 25, v28
	v_and_b32_e32 v31, 0x1000, v31
	s_delay_alu instid0(VALU_DEP_2) | instskip(NEXT) | instid1(VALU_DEP_3)
	v_and_b32_e32 v166, 0x100000, v166
	v_and_b32_e32 v28, 0x10000000, v28
	s_delay_alu instid0(VALU_DEP_1) | instskip(SKIP_1) | instid1(VALU_DEP_2)
	v_or3_b32 v28, v28, v30, v166
	v_ashrrev_i32_e32 v30, v176, v27
	v_or3_b32 v28, v28, v29, v31
	global_load_u16 v29, v[16:17], off offset:66
	v_dual_lshlrev_b32 v31, 4, v30 :: v_dual_lshlrev_b32 v166, 11, v30
	v_lshlrev_b32_e32 v167, 18, v30
	v_dot4_i32_iu8 v28, v28, v46, 0 neg_lo:[1,1,0]
	s_delay_alu instid0(VALU_DEP_3) | instskip(NEXT) | instid1(VALU_DEP_4)
	v_dual_lshlrev_b32 v30, 25, v30 :: v_dual_bitop2_b32 v31, 16, v31 bitop3:0x40
	v_and_b32_e32 v166, 0x1000, v166
	s_delay_alu instid0(VALU_DEP_4) | instskip(NEXT) | instid1(VALU_DEP_4)
	v_and_b32_e32 v167, 0x100000, v167
	v_cvt_f32_i32_e32 v28, v28
	s_delay_alu instid0(VALU_DEP_4) | instskip(NEXT) | instid1(VALU_DEP_2)
	v_and_b32_e32 v30, 0x10000000, v30
	v_fma_f32 v28, v6, v28, -v7
	s_delay_alu instid0(VALU_DEP_2) | instskip(SKIP_1) | instid1(VALU_DEP_2)
	v_or3_b32 v30, v167, v30, v31
	s_wait_loadcnt 0x0
	v_fma_mix_f32 v18, v28, v29, v18 op_sel_hi:[0,1,0]
	global_load_b32 v28, v[20:21], off offset:80
	s_wait_loadcnt 0x0
	v_and_b32_e32 v28, 0xf0f0f0f, v28
	s_delay_alu instid0(VALU_DEP_1) | instskip(NEXT) | instid1(VALU_DEP_1)
	v_or3_b32 v28, v30, v166, v28
	v_dot4_i32_iu8 v28, v28, v47, 0 neg_lo:[1,1,0]
	s_delay_alu instid0(VALU_DEP_1) | instskip(NEXT) | instid1(VALU_DEP_1)
	v_cvt_f32_i32_e32 v28, v28
	v_fma_f32 v28, v6, v28, -v7
	s_delay_alu instid0(VALU_DEP_1) | instskip(SKIP_1) | instid1(VALU_DEP_1)
	v_fma_mix_f32 v18, v28, v29, v18 op_sel_hi:[0,1,0]
	v_ashrrev_i32_e32 v28, v177, v27
	v_dual_lshrrev_b32 v19, 4, v19 :: v_dual_lshlrev_b32 v30, 4, v28
	s_delay_alu instid0(VALU_DEP_1) | instskip(NEXT) | instid1(VALU_DEP_2)
	v_and_b32_e32 v19, 0xf0f0f0f, v19
	v_dual_lshlrev_b32 v31, 11, v28 :: v_dual_bitop2_b32 v30, 16, v30 bitop3:0x40
	v_dual_lshlrev_b32 v166, 18, v28 :: v_dual_lshlrev_b32 v28, 25, v28
	s_delay_alu instid0(VALU_DEP_2) | instskip(NEXT) | instid1(VALU_DEP_2)
	v_and_b32_e32 v31, 0x1000, v31
	v_and_b32_e32 v166, 0x100000, v166
	s_delay_alu instid0(VALU_DEP_3) | instskip(NEXT) | instid1(VALU_DEP_1)
	v_and_b32_e32 v28, 0x10000000, v28
	v_or3_b32 v19, v28, v19, v166
	s_delay_alu instid0(VALU_DEP_1) | instskip(NEXT) | instid1(VALU_DEP_1)
	v_or3_b32 v19, v19, v30, v31
	v_dot4_i32_iu8 v19, v19, v48, 0 neg_lo:[1,1,0]
	s_delay_alu instid0(VALU_DEP_1) | instskip(NEXT) | instid1(VALU_DEP_1)
	v_cvt_f32_i32_e32 v19, v19
	v_fma_f32 v19, v6, v19, -v7
	s_delay_alu instid0(VALU_DEP_1) | instskip(SKIP_4) | instid1(VALU_DEP_1)
	v_fma_mix_f32 v28, v19, v29, v18 op_sel_hi:[0,1,0]
	v_add_nc_u64_e32 v[18:19], v[16:17], v[72:73]
	global_load_b32 v18, v[18:19], off offset:72
	s_wait_xcnt 0x0
	v_ashrrev_i32_e32 v19, v186, v27
	v_dual_lshlrev_b32 v27, 4, v19 :: v_dual_lshlrev_b32 v30, 11, v19
	v_dual_lshlrev_b32 v31, 18, v19 :: v_dual_lshlrev_b32 v19, 25, v19
	s_delay_alu instid0(VALU_DEP_2) | instskip(NEXT) | instid1(VALU_DEP_3)
	v_and_b32_e32 v27, 16, v27
	v_and_b32_e32 v30, 0x1000, v30
	s_delay_alu instid0(VALU_DEP_3) | instskip(NEXT) | instid1(VALU_DEP_4)
	v_and_b32_e32 v31, 0x100000, v31
	v_and_b32_e32 v19, 0x10000000, v19
	s_delay_alu instid0(VALU_DEP_1) | instskip(SKIP_2) | instid1(VALU_DEP_1)
	v_or3_b32 v19, v31, v19, v27
	s_wait_loadcnt 0x0
	v_lshrrev_b32_e32 v18, 4, v18
	v_and_b32_e32 v18, 0xf0f0f0f, v18
	s_delay_alu instid0(VALU_DEP_1) | instskip(SKIP_4) | instid1(VALU_DEP_1)
	v_or3_b32 v18, v19, v30, v18
	s_clause 0x1
	global_load_b32 v19, v[20:21], off offset:94
	global_load_b32 v27, v[16:17], off offset:90
	v_dot4_i32_iu8 v18, v18, v49, 0 neg_lo:[1,1,0]
	v_cvt_f32_i32_e32 v18, v18
	s_delay_alu instid0(VALU_DEP_1) | instskip(NEXT) | instid1(VALU_DEP_1)
	v_fma_f32 v18, v6, v18, -v7
	v_fma_mix_f32 v18, v18, v29, v28 op_sel_hi:[0,1,0]
	s_wait_loadcnt 0x1
	v_and_b32_e32 v30, 0xf0f0f0f, v19
	s_wait_loadcnt 0x0
	v_ashrrev_i32_e32 v28, v32, v27
	s_delay_alu instid0(VALU_DEP_1) | instskip(NEXT) | instid1(VALU_DEP_1)
	v_dual_lshrrev_b32 v19, 4, v19 :: v_dual_lshlrev_b32 v29, 4, v28
	v_and_b32_e32 v19, 0xf0f0f0f, v19
	s_delay_alu instid0(VALU_DEP_2) | instskip(SKIP_1) | instid1(VALU_DEP_2)
	v_dual_lshlrev_b32 v31, 11, v28 :: v_dual_bitop2_b32 v29, 16, v29 bitop3:0x40
	v_dual_lshlrev_b32 v166, 18, v28 :: v_dual_lshlrev_b32 v28, 25, v28
	v_and_b32_e32 v31, 0x1000, v31
	s_delay_alu instid0(VALU_DEP_2) | instskip(NEXT) | instid1(VALU_DEP_3)
	v_and_b32_e32 v166, 0x100000, v166
	v_and_b32_e32 v28, 0x10000000, v28
	s_delay_alu instid0(VALU_DEP_1) | instskip(SKIP_1) | instid1(VALU_DEP_2)
	v_or3_b32 v28, v28, v30, v166
	v_ashrrev_i32_e32 v30, v176, v27
	v_or3_b32 v28, v28, v29, v31
	global_load_u16 v29, v[16:17], off offset:88
	v_dual_lshlrev_b32 v31, 4, v30 :: v_dual_lshlrev_b32 v166, 11, v30
	v_dual_lshlrev_b32 v167, 18, v30 :: v_dual_lshlrev_b32 v30, 25, v30
	v_dot4_i32_iu8 v28, v28, v50, 0 neg_lo:[1,1,0]
	s_delay_alu instid0(VALU_DEP_3) | instskip(NEXT) | instid1(VALU_DEP_4)
	v_and_b32_e32 v31, 16, v31
	v_and_b32_e32 v166, 0x1000, v166
	s_delay_alu instid0(VALU_DEP_4) | instskip(SKIP_2) | instid1(VALU_DEP_2)
	v_and_b32_e32 v167, 0x100000, v167
	v_and_b32_e32 v30, 0x10000000, v30
	v_cvt_f32_i32_e32 v28, v28
	v_or3_b32 v30, v167, v30, v31
	s_delay_alu instid0(VALU_DEP_2) | instskip(SKIP_1) | instid1(VALU_DEP_1)
	v_fma_f32 v28, v8, v28, -v9
	s_wait_loadcnt 0x0
	v_fma_mix_f32 v18, v28, v29, v18 op_sel_hi:[0,1,0]
	global_load_b32 v28, v[20:21], off offset:102
	s_wait_loadcnt 0x0
	v_and_b32_e32 v28, 0xf0f0f0f, v28
	s_delay_alu instid0(VALU_DEP_1) | instskip(NEXT) | instid1(VALU_DEP_1)
	v_or3_b32 v28, v30, v166, v28
	v_dot4_i32_iu8 v28, v28, v51, 0 neg_lo:[1,1,0]
	s_delay_alu instid0(VALU_DEP_1) | instskip(NEXT) | instid1(VALU_DEP_1)
	v_cvt_f32_i32_e32 v28, v28
	v_fma_f32 v28, v8, v28, -v9
	s_delay_alu instid0(VALU_DEP_1) | instskip(SKIP_1) | instid1(VALU_DEP_1)
	v_fma_mix_f32 v18, v28, v29, v18 op_sel_hi:[0,1,0]
	v_ashrrev_i32_e32 v28, v177, v27
	v_dual_lshlrev_b32 v30, 4, v28 :: v_dual_lshlrev_b32 v31, 11, v28
	v_dual_lshlrev_b32 v166, 18, v28 :: v_dual_lshlrev_b32 v28, 25, v28
	s_delay_alu instid0(VALU_DEP_2) | instskip(NEXT) | instid1(VALU_DEP_3)
	v_and_b32_e32 v30, 16, v30
	v_and_b32_e32 v31, 0x1000, v31
	s_delay_alu instid0(VALU_DEP_3) | instskip(NEXT) | instid1(VALU_DEP_4)
	v_and_b32_e32 v166, 0x100000, v166
	v_and_b32_e32 v28, 0x10000000, v28
	s_delay_alu instid0(VALU_DEP_1) | instskip(NEXT) | instid1(VALU_DEP_1)
	v_or3_b32 v19, v28, v19, v166
	v_or3_b32 v19, v19, v30, v31
	s_delay_alu instid0(VALU_DEP_1) | instskip(NEXT) | instid1(VALU_DEP_1)
	v_dot4_i32_iu8 v19, v19, v52, 0 neg_lo:[1,1,0]
	v_cvt_f32_i32_e32 v19, v19
	s_delay_alu instid0(VALU_DEP_1) | instskip(NEXT) | instid1(VALU_DEP_1)
	v_fma_f32 v19, v8, v19, -v9
	v_fma_mix_f32 v28, v19, v29, v18 op_sel_hi:[0,1,0]
	v_add_nc_u64_e32 v[18:19], v[16:17], v[74:75]
	global_load_b32 v18, v[18:19], off offset:94
	s_wait_xcnt 0x0
	v_ashrrev_i32_e32 v19, v187, v27
	s_delay_alu instid0(VALU_DEP_1) | instskip(SKIP_1) | instid1(VALU_DEP_2)
	v_dual_lshlrev_b32 v27, 4, v19 :: v_dual_lshlrev_b32 v30, 11, v19
	v_dual_lshlrev_b32 v31, 18, v19 :: v_dual_lshlrev_b32 v19, 25, v19
	v_and_b32_e32 v27, 16, v27
	s_delay_alu instid0(VALU_DEP_3) | instskip(NEXT) | instid1(VALU_DEP_3)
	v_and_b32_e32 v30, 0x1000, v30
	v_and_b32_e32 v31, 0x100000, v31
	s_delay_alu instid0(VALU_DEP_4) | instskip(NEXT) | instid1(VALU_DEP_1)
	v_and_b32_e32 v19, 0x10000000, v19
	v_or3_b32 v19, v31, v19, v27
	s_wait_loadcnt 0x0
	v_lshrrev_b32_e32 v18, 4, v18
	s_delay_alu instid0(VALU_DEP_1) | instskip(NEXT) | instid1(VALU_DEP_1)
	v_and_b32_e32 v18, 0xf0f0f0f, v18
	v_or3_b32 v18, v19, v30, v18
	s_clause 0x1
	global_load_b32 v27, v[20:21], off offset:116
	global_load_b32 v30, v[16:17], off offset:112
	v_dot4_i32_iu8 v18, v18, v53, 0 neg_lo:[1,1,0]
	s_delay_alu instid0(VALU_DEP_1) | instskip(NEXT) | instid1(VALU_DEP_1)
	v_cvt_f32_i32_e32 v18, v18
	v_fma_f32 v18, v8, v18, -v9
	s_delay_alu instid0(VALU_DEP_1) | instskip(SKIP_4) | instid1(VALU_DEP_1)
	v_fma_mix_f32 v19, v18, v29, v28 op_sel_hi:[0,1,0]
	s_wait_loadcnt 0x1
	v_and_b32_e32 v29, 0xf0f0f0f, v27
	s_wait_loadcnt 0x0
	v_ashrrev_i32_e32 v18, v32, v30
	v_lshlrev_b32_e32 v28, 4, v18
	s_delay_alu instid0(VALU_DEP_1) | instskip(SKIP_1) | instid1(VALU_DEP_2)
	v_dual_lshlrev_b32 v31, 11, v18 :: v_dual_bitop2_b32 v28, 16, v28 bitop3:0x40
	v_dual_lshlrev_b32 v166, 18, v18 :: v_dual_lshlrev_b32 v18, 25, v18
	v_and_b32_e32 v31, 0x1000, v31
	s_delay_alu instid0(VALU_DEP_2) | instskip(NEXT) | instid1(VALU_DEP_3)
	v_and_b32_e32 v166, 0x100000, v166
	v_and_b32_e32 v18, 0x10000000, v18
	s_delay_alu instid0(VALU_DEP_1) | instskip(SKIP_3) | instid1(VALU_DEP_2)
	v_or3_b32 v18, v18, v29, v166
	global_load_b32 v29, v[20:21], off offset:124
	v_or3_b32 v18, v18, v28, v31
	v_ashrrev_i32_e32 v31, v176, v30
	v_dot4_i32_iu8 v28, v18, v54, 0 neg_lo:[1,1,0]
	global_load_u16 v18, v[16:17], off offset:110
	v_dual_lshlrev_b32 v166, 4, v31 :: v_dual_lshlrev_b32 v167, 11, v31
	v_dual_lshlrev_b32 v168, 18, v31 :: v_dual_lshlrev_b32 v31, 25, v31
	v_cvt_f32_i32_e32 v28, v28
	s_delay_alu instid0(VALU_DEP_3) | instskip(NEXT) | instid1(VALU_DEP_4)
	v_and_b32_e32 v166, 16, v166
	v_and_b32_e32 v167, 0x1000, v167
	s_delay_alu instid0(VALU_DEP_4) | instskip(SKIP_1) | instid1(VALU_DEP_1)
	v_and_b32_e32 v168, 0x100000, v168
	v_and_b32_e32 v31, 0x10000000, v31
	v_or3_b32 v31, v168, v31, v166
	s_wait_loadcnt 0x1
	v_and_b32_e32 v29, 0xf0f0f0f, v29
	s_delay_alu instid0(VALU_DEP_1) | instskip(SKIP_2) | instid1(VALU_DEP_2)
	v_or3_b32 v29, v31, v167, v29
	s_wait_loadcnt 0x0
	v_cvt_f32_f16_e32 v18, v18
	v_dot4_i32_iu8 v29, v29, v55, 0 neg_lo:[1,1,0]
	s_delay_alu instid0(VALU_DEP_1) | instskip(NEXT) | instid1(VALU_DEP_1)
	v_cvt_f32_i32_e32 v29, v29
	v_pk_fma_f32 v[28:29], v[10:11], v[28:29], v[94:95] neg_lo:[0,0,1] neg_hi:[0,0,1]
	s_delay_alu instid0(VALU_DEP_1) | instskip(NEXT) | instid1(VALU_DEP_1)
	v_pk_mul_f32 v[28:29], v[28:29], v[18:19] op_sel_hi:[1,0]
	v_add_f32_e32 v19, v19, v28
	s_delay_alu instid0(VALU_DEP_1) | instskip(SKIP_1) | instid1(VALU_DEP_2)
	v_dual_add_f32 v31, v19, v29 :: v_dual_lshrrev_b32 v19, 4, v27
	v_ashrrev_i32_e32 v27, v177, v30
	v_and_b32_e32 v19, 0xf0f0f0f, v19
	s_delay_alu instid0(VALU_DEP_2) | instskip(SKIP_1) | instid1(VALU_DEP_2)
	v_dual_lshlrev_b32 v28, 4, v27 :: v_dual_lshlrev_b32 v29, 11, v27
	v_dual_lshlrev_b32 v166, 18, v27 :: v_dual_lshlrev_b32 v27, 25, v27
	v_and_b32_e32 v28, 16, v28
	s_delay_alu instid0(VALU_DEP_3) | instskip(NEXT) | instid1(VALU_DEP_3)
	v_and_b32_e32 v29, 0x1000, v29
	v_and_b32_e32 v166, 0x100000, v166
	s_delay_alu instid0(VALU_DEP_4) | instskip(NEXT) | instid1(VALU_DEP_1)
	v_and_b32_e32 v27, 0x10000000, v27
	v_or3_b32 v19, v27, v19, v166
	s_delay_alu instid0(VALU_DEP_1) | instskip(SKIP_1) | instid1(VALU_DEP_2)
	v_or3_b32 v19, v19, v28, v29
	v_add_nc_u64_e32 v[28:29], v[16:17], v[76:77]
	v_dot4_i32_iu8 v19, v19, v56, 0 neg_lo:[1,1,0]
	global_load_b32 v27, v[28:29], off offset:116
	s_wait_xcnt 0x0
	v_ashrrev_i32_e32 v28, v189, v30
	s_delay_alu instid0(VALU_DEP_1) | instskip(SKIP_1) | instid1(VALU_DEP_2)
	v_dual_lshlrev_b32 v166, 18, v28 :: v_dual_lshlrev_b32 v29, 4, v28
	v_dual_lshlrev_b32 v30, 11, v28 :: v_dual_lshlrev_b32 v28, 25, v28
	v_and_b32_e32 v166, 0x100000, v166
	s_delay_alu instid0(VALU_DEP_3) | instskip(NEXT) | instid1(VALU_DEP_3)
	v_and_b32_e32 v29, 16, v29
	v_and_b32_e32 v30, 0x1000, v30
	s_delay_alu instid0(VALU_DEP_4) | instskip(NEXT) | instid1(VALU_DEP_1)
	v_and_b32_e32 v28, 0x10000000, v28
	v_or3_b32 v28, v166, v28, v29
	s_wait_loadcnt 0x0
	v_lshrrev_b32_e32 v27, 4, v27
	s_delay_alu instid0(VALU_DEP_1) | instskip(NEXT) | instid1(VALU_DEP_1)
	v_and_b32_e32 v27, 0xf0f0f0f, v27
	v_or3_b32 v27, v28, v30, v27
	v_cvt_f32_i32_e32 v28, v19
	s_delay_alu instid0(VALU_DEP_2) | instskip(NEXT) | instid1(VALU_DEP_1)
	v_dot4_i32_iu8 v27, v27, v57, 0 neg_lo:[1,1,0]
	v_cvt_f32_i32_e32 v29, v27
	s_clause 0x1
	global_load_b32 v27, v[20:21], off offset:138
	global_load_b32 v30, v[16:17], off offset:134
	v_pk_fma_f32 v[28:29], v[10:11], v[28:29], v[94:95] neg_lo:[0,0,1] neg_hi:[0,0,1]
	s_delay_alu instid0(VALU_DEP_1) | instskip(NEXT) | instid1(VALU_DEP_1)
	v_pk_mul_f32 v[18:19], v[28:29], v[18:19] op_sel_hi:[1,0]
	v_add_f32_e32 v18, v18, v31
	s_delay_alu instid0(VALU_DEP_1) | instskip(SKIP_4) | instid1(VALU_DEP_1)
	v_add_f32_e32 v19, v18, v19
	s_wait_loadcnt 0x1
	v_and_b32_e32 v29, 0xf0f0f0f, v27
	s_wait_loadcnt 0x0
	v_ashrrev_i32_e32 v18, v32, v30
	v_dual_lshlrev_b32 v28, 4, v18 :: v_dual_lshlrev_b32 v31, 11, v18
	v_dual_lshlrev_b32 v166, 18, v18 :: v_dual_lshlrev_b32 v18, 25, v18
	s_delay_alu instid0(VALU_DEP_2) | instskip(NEXT) | instid1(VALU_DEP_3)
	v_and_b32_e32 v28, 16, v28
	v_and_b32_e32 v31, 0x1000, v31
	s_delay_alu instid0(VALU_DEP_3) | instskip(NEXT) | instid1(VALU_DEP_4)
	v_and_b32_e32 v166, 0x100000, v166
	v_and_b32_e32 v18, 0x10000000, v18
	s_delay_alu instid0(VALU_DEP_1) | instskip(SKIP_3) | instid1(VALU_DEP_2)
	v_or3_b32 v18, v18, v29, v166
	global_load_b32 v29, v[20:21], off offset:146
	v_or3_b32 v18, v18, v28, v31
	v_ashrrev_i32_e32 v31, v176, v30
	v_dot4_i32_iu8 v28, v18, v58, 0 neg_lo:[1,1,0]
	global_load_u16 v18, v[16:17], off offset:132
	v_dual_lshlrev_b32 v166, 4, v31 :: v_dual_lshlrev_b32 v167, 11, v31
	v_dual_lshlrev_b32 v168, 18, v31 :: v_dual_lshlrev_b32 v31, 25, v31
	v_cvt_f32_i32_e32 v28, v28
	s_delay_alu instid0(VALU_DEP_3) | instskip(NEXT) | instid1(VALU_DEP_4)
	v_and_b32_e32 v166, 16, v166
	v_and_b32_e32 v167, 0x1000, v167
	s_delay_alu instid0(VALU_DEP_4) | instskip(SKIP_1) | instid1(VALU_DEP_1)
	v_and_b32_e32 v168, 0x100000, v168
	v_and_b32_e32 v31, 0x10000000, v31
	v_or3_b32 v31, v168, v31, v166
	s_wait_loadcnt 0x1
	v_and_b32_e32 v29, 0xf0f0f0f, v29
	s_delay_alu instid0(VALU_DEP_1) | instskip(SKIP_2) | instid1(VALU_DEP_2)
	v_or3_b32 v29, v31, v167, v29
	s_wait_loadcnt 0x0
	v_cvt_f32_f16_e32 v18, v18
	v_dot4_i32_iu8 v29, v29, v59, 0 neg_lo:[1,1,0]
	s_delay_alu instid0(VALU_DEP_1) | instskip(NEXT) | instid1(VALU_DEP_1)
	v_cvt_f32_i32_e32 v29, v29
	v_pk_fma_f32 v[28:29], v[12:13], v[28:29], v[90:91] neg_lo:[0,0,1] neg_hi:[0,0,1]
	s_delay_alu instid0(VALU_DEP_1) | instskip(NEXT) | instid1(VALU_DEP_1)
	v_pk_mul_f32 v[28:29], v[28:29], v[18:19] op_sel_hi:[1,0]
	v_add_f32_e32 v19, v19, v28
	s_delay_alu instid0(VALU_DEP_1) | instskip(SKIP_1) | instid1(VALU_DEP_2)
	v_dual_add_f32 v31, v19, v29 :: v_dual_lshrrev_b32 v19, 4, v27
	v_ashrrev_i32_e32 v27, v177, v30
	v_and_b32_e32 v19, 0xf0f0f0f, v19
	s_delay_alu instid0(VALU_DEP_2) | instskip(SKIP_1) | instid1(VALU_DEP_2)
	v_dual_lshlrev_b32 v28, 4, v27 :: v_dual_lshlrev_b32 v29, 11, v27
	v_dual_lshlrev_b32 v166, 18, v27 :: v_dual_lshlrev_b32 v27, 25, v27
	v_and_b32_e32 v28, 16, v28
	s_delay_alu instid0(VALU_DEP_3) | instskip(NEXT) | instid1(VALU_DEP_3)
	v_and_b32_e32 v29, 0x1000, v29
	v_and_b32_e32 v166, 0x100000, v166
	s_delay_alu instid0(VALU_DEP_4) | instskip(NEXT) | instid1(VALU_DEP_1)
	v_and_b32_e32 v27, 0x10000000, v27
	v_or3_b32 v19, v27, v19, v166
	s_delay_alu instid0(VALU_DEP_1) | instskip(SKIP_1) | instid1(VALU_DEP_2)
	v_or3_b32 v19, v19, v28, v29
	v_add_nc_u64_e32 v[28:29], v[16:17], v[80:81]
	v_dot4_i32_iu8 v19, v19, v60, 0 neg_lo:[1,1,0]
	global_load_b32 v27, v[28:29], off offset:138
	s_wait_xcnt 0x0
	v_ashrrev_i32_e32 v28, v190, v30
	s_delay_alu instid0(VALU_DEP_1) | instskip(SKIP_1) | instid1(VALU_DEP_2)
	v_dual_lshlrev_b32 v166, 18, v28 :: v_dual_lshlrev_b32 v29, 4, v28
	v_dual_lshlrev_b32 v30, 11, v28 :: v_dual_lshlrev_b32 v28, 25, v28
	v_and_b32_e32 v166, 0x100000, v166
	s_delay_alu instid0(VALU_DEP_3) | instskip(NEXT) | instid1(VALU_DEP_3)
	v_and_b32_e32 v29, 16, v29
	v_and_b32_e32 v30, 0x1000, v30
	s_delay_alu instid0(VALU_DEP_4) | instskip(NEXT) | instid1(VALU_DEP_1)
	v_and_b32_e32 v28, 0x10000000, v28
	v_or3_b32 v28, v166, v28, v29
	s_wait_loadcnt 0x0
	v_lshrrev_b32_e32 v27, 4, v27
	s_delay_alu instid0(VALU_DEP_1) | instskip(NEXT) | instid1(VALU_DEP_1)
	v_and_b32_e32 v27, 0xf0f0f0f, v27
	v_or3_b32 v27, v28, v30, v27
	v_cvt_f32_i32_e32 v28, v19
	s_delay_alu instid0(VALU_DEP_2) | instskip(NEXT) | instid1(VALU_DEP_1)
	v_dot4_i32_iu8 v27, v27, v61, 0 neg_lo:[1,1,0]
	v_cvt_f32_i32_e32 v29, v27
	s_delay_alu instid0(VALU_DEP_1) | instskip(NEXT) | instid1(VALU_DEP_1)
	v_pk_fma_f32 v[28:29], v[12:13], v[28:29], v[90:91] neg_lo:[0,0,1] neg_hi:[0,0,1]
	v_pk_mul_f32 v[18:19], v[28:29], v[18:19] op_sel_hi:[1,0]
	s_delay_alu instid0(VALU_DEP_1) | instskip(NEXT) | instid1(VALU_DEP_1)
	v_add_f32_e32 v18, v18, v31
	v_add_f32_e32 v27, v18, v19
	s_clause 0x2
	global_load_b32 v28, v[20:21], off offset:160
	global_load_b32 v19, v[16:17], off offset:156
	;; [unrolled: 1-line block ×3, first 2 shown]
	s_wait_loadcnt 0x2
	v_and_b32_e32 v30, 0xf0f0f0f, v28
	s_wait_loadcnt 0x1
	v_ashrrev_i32_e32 v18, v32, v19
	s_wait_xcnt 0x0
	v_ashrrev_i32_e32 v21, v176, v19
	s_wait_loadcnt 0x0
	v_and_b32_e32 v20, 0xf0f0f0f, v20
	v_dual_lshlrev_b32 v29, 4, v18 :: v_dual_lshlrev_b32 v31, 11, v18
	v_dual_lshlrev_b32 v166, 18, v18 :: v_dual_lshlrev_b32 v18, 25, v18
	s_delay_alu instid0(VALU_DEP_2) | instskip(NEXT) | instid1(VALU_DEP_3)
	v_and_b32_e32 v29, 16, v29
	v_and_b32_e32 v31, 0x1000, v31
	s_delay_alu instid0(VALU_DEP_3) | instskip(NEXT) | instid1(VALU_DEP_4)
	v_and_b32_e32 v166, 0x100000, v166
	v_and_b32_e32 v18, 0x10000000, v18
	s_delay_alu instid0(VALU_DEP_1) | instskip(SKIP_1) | instid1(VALU_DEP_2)
	v_or3_b32 v18, v18, v30, v166
	v_lshlrev_b32_e32 v30, 4, v21
	v_or3_b32 v18, v18, v29, v31
	s_delay_alu instid0(VALU_DEP_2) | instskip(SKIP_1) | instid1(VALU_DEP_3)
	v_dual_lshlrev_b32 v31, 11, v21 :: v_dual_bitop2_b32 v30, 16, v30 bitop3:0x40
	v_dual_lshlrev_b32 v166, 18, v21 :: v_dual_lshlrev_b32 v21, 25, v21
	v_dot4_i32_iu8 v29, v18, v62, 0 neg_lo:[1,1,0]
	global_load_u16 v18, v[16:17], off offset:154
	s_wait_xcnt 0x0
	v_add_nc_u64_e32 v[16:17], v[16:17], v[82:83]
	v_and_b32_e32 v166, 0x100000, v166
	v_and_b32_e32 v21, 0x10000000, v21
	v_and_b32_e32 v31, 0x1000, v31
	global_load_b32 v16, v[16:17], off offset:160
	v_or3_b32 v21, v166, v21, v30
	s_wait_xcnt 0x0
	v_ashrrev_i32_e32 v17, v191, v19
	s_delay_alu instid0(VALU_DEP_2) | instskip(NEXT) | instid1(VALU_DEP_1)
	v_or3_b32 v20, v21, v31, v20
	v_dot4_i32_iu8 v20, v20, v63, 0 neg_lo:[1,1,0]
	s_delay_alu instid0(VALU_DEP_1) | instskip(SKIP_1) | instid1(VALU_DEP_1)
	v_cvt_f32_i32_e32 v21, v20
	v_cvt_f32_i32_e32 v20, v29
	v_pk_fma_f32 v[20:21], v[14:15], v[20:21], v[88:89] neg_lo:[0,0,1] neg_hi:[0,0,1]
	s_wait_loadcnt 0x1
	v_cvt_f32_f16_e32 v18, v18
	s_delay_alu instid0(VALU_DEP_1) | instskip(SKIP_2) | instid1(VALU_DEP_2)
	v_pk_mul_f32 v[20:21], v[20:21], v[18:19] op_sel_hi:[1,0]
	s_wait_loadcnt 0x0
	v_lshrrev_b32_e32 v16, 4, v16
	v_dual_add_f32 v20, v27, v20 :: v_dual_ashrrev_i32 v27, v177, v19
	v_lshlrev_b32_e32 v19, 4, v17
	s_delay_alu instid0(VALU_DEP_3) | instskip(NEXT) | instid1(VALU_DEP_3)
	v_and_b32_e32 v16, 0xf0f0f0f, v16
	v_dual_add_f32 v20, v20, v21 :: v_dual_lshrrev_b32 v21, 4, v28
	s_delay_alu instid0(VALU_DEP_4) | instskip(SKIP_1) | instid1(VALU_DEP_3)
	v_dual_lshlrev_b32 v28, 4, v27 :: v_dual_lshlrev_b32 v29, 11, v27
	v_dual_lshlrev_b32 v30, 18, v27 :: v_dual_lshlrev_b32 v27, 25, v27
	v_and_b32_e32 v21, 0xf0f0f0f, v21
	s_delay_alu instid0(VALU_DEP_3) | instskip(NEXT) | instid1(VALU_DEP_4)
	v_and_b32_e32 v28, 16, v28
	v_and_b32_e32 v29, 0x1000, v29
	s_delay_alu instid0(VALU_DEP_4) | instskip(SKIP_2) | instid1(VALU_DEP_2)
	v_and_b32_e32 v30, 0x100000, v30
	v_and_b32_e32 v27, 0x10000000, v27
	;; [unrolled: 1-line block ×3, first 2 shown]
	v_or3_b32 v21, v27, v21, v30
	v_lshlrev_b32_e32 v27, 11, v17
	s_delay_alu instid0(VALU_DEP_2) | instskip(SKIP_1) | instid1(VALU_DEP_3)
	v_or3_b32 v21, v21, v28, v29
	v_dual_lshlrev_b32 v28, 18, v17 :: v_dual_lshlrev_b32 v17, 25, v17
	v_and_b32_e32 v27, 0x1000, v27
	s_delay_alu instid0(VALU_DEP_3) | instskip(NEXT) | instid1(VALU_DEP_3)
	v_dot4_i32_iu8 v21, v21, v64, 0 neg_lo:[1,1,0]
	v_and_b32_e32 v28, 0x100000, v28
	s_delay_alu instid0(VALU_DEP_4) | instskip(NEXT) | instid1(VALU_DEP_1)
	v_and_b32_e32 v17, 0x10000000, v17
	v_or3_b32 v17, v28, v17, v19
	s_delay_alu instid0(VALU_DEP_1) | instskip(NEXT) | instid1(VALU_DEP_1)
	v_or3_b32 v16, v17, v27, v16
	v_dot4_i32_iu8 v16, v16, v65, 0 neg_lo:[1,1,0]
	s_delay_alu instid0(VALU_DEP_1) | instskip(SKIP_1) | instid1(VALU_DEP_1)
	v_cvt_f32_i32_e32 v17, v16
	v_cvt_f32_i32_e32 v16, v21
	v_pk_fma_f32 v[16:17], v[14:15], v[16:17], v[88:89] neg_lo:[0,0,1] neg_hi:[0,0,1]
	s_delay_alu instid0(VALU_DEP_1) | instskip(NEXT) | instid1(VALU_DEP_1)
	v_pk_mul_f32 v[16:17], v[16:17], v[18:19] op_sel_hi:[1,0]
	v_add_f32_e32 v16, v16, v20
	s_delay_alu instid0(VALU_DEP_1)
	v_add_f32_e32 v16, v16, v17
	ds_bpermute_b32 v17, v184, v16
	s_wait_dscnt 0x0
	v_add_f32_e32 v20, v16, v17
	s_cbranch_vccz .LBB23_17
; %bb.16:                               ;   in Loop: Header=BB23_15 Depth=1
	global_load_u16 v16, v102, s[12:13] scale_offset
	s_wait_loadcnt 0x0
	v_fma_mix_f32 v20, v170, v16, v20 op_sel_hi:[0,1,0]
.LBB23_17:                              ;   in Loop: Header=BB23_15 Depth=1
	v_add_nc_u64_e32 v[16:17], s[18:19], v[138:139]
	s_and_not1_b32 vcc_lo, exec_lo, s25
	s_delay_alu instid0(VALU_DEP_1)
	v_add_nc_u64_e32 v[18:19], v[16:17], v[32:33]
	s_clause 0x1
	global_load_b32 v21, v[18:19], off offset:6
	global_load_b32 v27, v[16:17], off offset:2
	s_wait_loadcnt 0x1
	v_and_b32_e32 v30, 0xf0f0f0f, v21
	s_wait_loadcnt 0x0
	v_dual_ashrrev_i32 v28, v32, v27 :: v_dual_lshrrev_b32 v21, 4, v21
	s_delay_alu instid0(VALU_DEP_1) | instskip(NEXT) | instid1(VALU_DEP_1)
	v_lshlrev_b32_e32 v29, 4, v28
	v_dual_lshlrev_b32 v31, 11, v28 :: v_dual_bitop2_b32 v29, 16, v29 bitop3:0x40
	v_dual_lshlrev_b32 v166, 18, v28 :: v_dual_lshlrev_b32 v28, 25, v28
	s_delay_alu instid0(VALU_DEP_2) | instskip(NEXT) | instid1(VALU_DEP_2)
	v_and_b32_e32 v31, 0x1000, v31
	v_and_b32_e32 v166, 0x100000, v166
	s_delay_alu instid0(VALU_DEP_3) | instskip(NEXT) | instid1(VALU_DEP_1)
	v_and_b32_e32 v28, 0x10000000, v28
	v_or3_b32 v28, v28, v30, v166
	global_load_u16 v30, v[16:17], off
	v_or3_b32 v28, v28, v29, v31
	global_load_b32 v29, v[18:19], off offset:14
	v_ashrrev_i32_e32 v31, v176, v27
	v_dot4_i32_iu8 v28, v28, v34, 0 neg_lo:[1,1,0]
	s_delay_alu instid0(VALU_DEP_2) | instskip(NEXT) | instid1(VALU_DEP_2)
	v_lshlrev_b32_e32 v166, 4, v31
	v_cvt_f32_i32_e32 v28, v28
	s_delay_alu instid0(VALU_DEP_2) | instskip(NEXT) | instid1(VALU_DEP_2)
	v_dual_lshlrev_b32 v167, 11, v31 :: v_dual_bitop2_b32 v166, 16, v166 bitop3:0x40
	v_dual_lshlrev_b32 v168, 18, v31 :: v_dual_fma_f32 v28, v0, v28, -v1
	v_lshlrev_b32_e32 v31, 25, v31
	s_delay_alu instid0(VALU_DEP_3) | instskip(NEXT) | instid1(VALU_DEP_3)
	v_and_b32_e32 v167, 0x1000, v167
	v_and_b32_e32 v168, 0x100000, v168
	s_delay_alu instid0(VALU_DEP_3) | instskip(NEXT) | instid1(VALU_DEP_1)
	v_and_b32_e32 v31, 0x10000000, v31
	v_or3_b32 v31, v168, v31, v166
	s_wait_loadcnt 0x1
	v_fma_mix_f32 v28, v28, v30, 0 op_sel_hi:[0,1,0]
	s_wait_loadcnt 0x0
	v_and_b32_e32 v29, 0xf0f0f0f, v29
	s_delay_alu instid0(VALU_DEP_1) | instskip(NEXT) | instid1(VALU_DEP_1)
	v_or3_b32 v29, v31, v167, v29
	v_dot4_i32_iu8 v29, v29, v35, 0 neg_lo:[1,1,0]
	s_delay_alu instid0(VALU_DEP_1) | instskip(NEXT) | instid1(VALU_DEP_1)
	v_cvt_f32_i32_e32 v29, v29
	v_fma_f32 v29, v0, v29, -v1
	s_delay_alu instid0(VALU_DEP_1) | instskip(SKIP_2) | instid1(VALU_DEP_2)
	v_fma_mix_f32 v28, v29, v30, v28 op_sel_hi:[0,1,0]
	v_ashrrev_i32_e32 v29, v177, v27
	v_and_b32_e32 v21, 0xf0f0f0f, v21
	v_dual_ashrrev_i32 v27, v178, v27 :: v_dual_lshlrev_b32 v31, 4, v29
	v_dual_lshlrev_b32 v166, 11, v29 :: v_dual_lshlrev_b32 v167, 18, v29
	s_delay_alu instid0(VALU_DEP_2) | instskip(NEXT) | instid1(VALU_DEP_2)
	v_dual_lshlrev_b32 v29, 25, v29 :: v_dual_bitop2_b32 v31, 16, v31 bitop3:0x40
	v_and_b32_e32 v166, 0x1000, v166
	s_delay_alu instid0(VALU_DEP_3) | instskip(NEXT) | instid1(VALU_DEP_3)
	v_and_b32_e32 v167, 0x100000, v167
	v_and_b32_e32 v29, 0x10000000, v29
	s_delay_alu instid0(VALU_DEP_1) | instskip(NEXT) | instid1(VALU_DEP_1)
	v_or3_b32 v21, v29, v21, v167
	v_or3_b32 v21, v21, v31, v166
	v_dual_lshlrev_b32 v31, 11, v27 :: v_dual_lshlrev_b32 v166, 18, v27
	s_delay_alu instid0(VALU_DEP_2) | instskip(NEXT) | instid1(VALU_DEP_2)
	v_dot4_i32_iu8 v21, v21, v36, 0 neg_lo:[1,1,0]
	v_and_b32_e32 v31, 0x1000, v31
	s_delay_alu instid0(VALU_DEP_3) | instskip(NEXT) | instid1(VALU_DEP_3)
	v_and_b32_e32 v166, 0x100000, v166
	v_cvt_f32_i32_e32 v21, v21
	s_delay_alu instid0(VALU_DEP_1) | instskip(NEXT) | instid1(VALU_DEP_1)
	v_fma_f32 v21, v0, v21, -v1
	v_fma_mix_f32 v21, v21, v30, v28 op_sel_hi:[0,1,0]
	v_add_nc_u64_e32 v[28:29], v[16:17], v[66:67]
	global_load_b32 v28, v[28:29], off offset:6
	s_wait_xcnt 0x0
	v_dual_lshlrev_b32 v29, 4, v27 :: v_dual_lshlrev_b32 v27, 25, v27
	s_delay_alu instid0(VALU_DEP_1) | instskip(NEXT) | instid1(VALU_DEP_2)
	v_and_b32_e32 v29, 16, v29
	v_and_b32_e32 v27, 0x10000000, v27
	s_delay_alu instid0(VALU_DEP_1) | instskip(SKIP_2) | instid1(VALU_DEP_1)
	v_or3_b32 v27, v166, v27, v29
	s_wait_loadcnt 0x0
	v_lshrrev_b32_e32 v28, 4, v28
	v_and_b32_e32 v28, 0xf0f0f0f, v28
	s_delay_alu instid0(VALU_DEP_1) | instskip(NEXT) | instid1(VALU_DEP_1)
	v_or3_b32 v27, v27, v31, v28
	v_dot4_i32_iu8 v27, v27, v37, 0 neg_lo:[1,1,0]
	s_delay_alu instid0(VALU_DEP_1) | instskip(NEXT) | instid1(VALU_DEP_1)
	v_cvt_f32_i32_e32 v27, v27
	v_fma_f32 v27, v0, v27, -v1
	s_delay_alu instid0(VALU_DEP_1)
	v_fma_mix_f32 v21, v27, v30, v21 op_sel_hi:[0,1,0]
	s_clause 0x1
	global_load_b32 v27, v[18:19], off offset:28
	global_load_b32 v30, v[16:17], off offset:24
	s_wait_loadcnt 0x1
	v_and_b32_e32 v31, 0xf0f0f0f, v27
	s_wait_loadcnt 0x0
	v_dual_ashrrev_i32 v28, v32, v30 :: v_dual_lshrrev_b32 v27, 4, v27
	s_delay_alu instid0(VALU_DEP_1) | instskip(SKIP_1) | instid1(VALU_DEP_2)
	v_dual_lshlrev_b32 v29, 4, v28 :: v_dual_lshlrev_b32 v166, 11, v28
	v_dual_lshlrev_b32 v167, 18, v28 :: v_dual_lshlrev_b32 v28, 25, v28
	v_and_b32_e32 v29, 16, v29
	s_delay_alu instid0(VALU_DEP_3) | instskip(NEXT) | instid1(VALU_DEP_3)
	v_and_b32_e32 v166, 0x1000, v166
	v_and_b32_e32 v167, 0x100000, v167
	s_delay_alu instid0(VALU_DEP_4) | instskip(NEXT) | instid1(VALU_DEP_1)
	v_and_b32_e32 v28, 0x10000000, v28
	v_or3_b32 v28, v28, v31, v167
	global_load_u16 v31, v[16:17], off offset:22
	v_or3_b32 v28, v28, v29, v166
	v_ashrrev_i32_e32 v29, v176, v30
	s_delay_alu instid0(VALU_DEP_2) | instskip(NEXT) | instid1(VALU_DEP_2)
	v_dot4_i32_iu8 v28, v28, v38, 0 neg_lo:[1,1,0]
	v_dual_lshlrev_b32 v166, 4, v29 :: v_dual_lshlrev_b32 v167, 11, v29
	v_dual_lshlrev_b32 v168, 18, v29 :: v_dual_lshlrev_b32 v29, 25, v29
	s_delay_alu instid0(VALU_DEP_3) | instskip(NEXT) | instid1(VALU_DEP_3)
	v_cvt_f32_i32_e32 v28, v28
	v_and_b32_e32 v166, 16, v166
	s_delay_alu instid0(VALU_DEP_4) | instskip(NEXT) | instid1(VALU_DEP_4)
	v_and_b32_e32 v167, 0x1000, v167
	v_and_b32_e32 v168, 0x100000, v168
	;; [unrolled: 1-line block ×3, first 2 shown]
	v_fma_f32 v28, v2, v28, -v3
	s_delay_alu instid0(VALU_DEP_2) | instskip(SKIP_1) | instid1(VALU_DEP_2)
	v_or3_b32 v29, v168, v29, v166
	s_wait_loadcnt 0x0
	v_fma_mix_f32 v21, v28, v31, v21 op_sel_hi:[0,1,0]
	global_load_b32 v28, v[18:19], off offset:36
	s_wait_loadcnt 0x0
	v_and_b32_e32 v28, 0xf0f0f0f, v28
	s_delay_alu instid0(VALU_DEP_1) | instskip(NEXT) | instid1(VALU_DEP_1)
	v_or3_b32 v28, v29, v167, v28
	v_dot4_i32_iu8 v28, v28, v39, 0 neg_lo:[1,1,0]
	s_delay_alu instid0(VALU_DEP_1) | instskip(NEXT) | instid1(VALU_DEP_1)
	v_cvt_f32_i32_e32 v28, v28
	v_fma_f32 v28, v2, v28, -v3
	s_delay_alu instid0(VALU_DEP_1) | instskip(SKIP_2) | instid1(VALU_DEP_2)
	v_fma_mix_f32 v21, v28, v31, v21 op_sel_hi:[0,1,0]
	v_ashrrev_i32_e32 v28, v177, v30
	v_and_b32_e32 v27, 0xf0f0f0f, v27
	v_dual_lshlrev_b32 v29, 4, v28 :: v_dual_lshlrev_b32 v166, 11, v28
	v_dual_lshlrev_b32 v167, 18, v28 :: v_dual_lshlrev_b32 v28, 25, v28
	s_delay_alu instid0(VALU_DEP_2) | instskip(NEXT) | instid1(VALU_DEP_3)
	v_and_b32_e32 v29, 16, v29
	v_and_b32_e32 v166, 0x1000, v166
	s_delay_alu instid0(VALU_DEP_3) | instskip(NEXT) | instid1(VALU_DEP_4)
	v_and_b32_e32 v167, 0x100000, v167
	v_and_b32_e32 v28, 0x10000000, v28
	s_delay_alu instid0(VALU_DEP_1) | instskip(NEXT) | instid1(VALU_DEP_1)
	v_or3_b32 v27, v28, v27, v167
	v_or3_b32 v27, v27, v29, v166
	v_add_nc_u64_e32 v[28:29], v[16:17], v[68:69]
	s_delay_alu instid0(VALU_DEP_2) | instskip(NEXT) | instid1(VALU_DEP_1)
	v_dot4_i32_iu8 v27, v27, v40, 0 neg_lo:[1,1,0]
	v_cvt_f32_i32_e32 v27, v27
	s_delay_alu instid0(VALU_DEP_1) | instskip(NEXT) | instid1(VALU_DEP_1)
	v_fma_f32 v27, v2, v27, -v3
	v_fma_mix_f32 v21, v27, v31, v21 op_sel_hi:[0,1,0]
	global_load_b32 v27, v[28:29], off offset:28
	s_wait_xcnt 0x0
	v_ashrrev_i32_e32 v28, v179, v30
	s_delay_alu instid0(VALU_DEP_1) | instskip(SKIP_1) | instid1(VALU_DEP_2)
	v_dual_lshlrev_b32 v29, 4, v28 :: v_dual_lshlrev_b32 v30, 11, v28
	v_dual_lshlrev_b32 v166, 18, v28 :: v_dual_lshlrev_b32 v28, 25, v28
	v_and_b32_e32 v29, 16, v29
	s_delay_alu instid0(VALU_DEP_3) | instskip(NEXT) | instid1(VALU_DEP_3)
	v_and_b32_e32 v30, 0x1000, v30
	v_and_b32_e32 v166, 0x100000, v166
	s_delay_alu instid0(VALU_DEP_4) | instskip(NEXT) | instid1(VALU_DEP_1)
	v_and_b32_e32 v28, 0x10000000, v28
	v_or3_b32 v28, v166, v28, v29
	s_wait_loadcnt 0x0
	v_lshrrev_b32_e32 v27, 4, v27
	s_delay_alu instid0(VALU_DEP_1) | instskip(NEXT) | instid1(VALU_DEP_1)
	v_and_b32_e32 v27, 0xf0f0f0f, v27
	v_or3_b32 v27, v28, v30, v27
	s_delay_alu instid0(VALU_DEP_1) | instskip(NEXT) | instid1(VALU_DEP_1)
	v_dot4_i32_iu8 v27, v27, v41, 0 neg_lo:[1,1,0]
	v_cvt_f32_i32_e32 v27, v27
	s_delay_alu instid0(VALU_DEP_1) | instskip(NEXT) | instid1(VALU_DEP_1)
	v_fma_f32 v27, v2, v27, -v3
	v_fma_mix_f32 v21, v27, v31, v21 op_sel_hi:[0,1,0]
	s_clause 0x1
	global_load_b32 v27, v[18:19], off offset:50
	global_load_b32 v30, v[16:17], off offset:46
	s_wait_loadcnt 0x1
	v_and_b32_e32 v31, 0xf0f0f0f, v27
	s_wait_loadcnt 0x0
	v_dual_ashrrev_i32 v28, v32, v30 :: v_dual_lshrrev_b32 v27, 4, v27
	s_delay_alu instid0(VALU_DEP_1) | instskip(NEXT) | instid1(VALU_DEP_2)
	v_lshlrev_b32_e32 v29, 4, v28
	v_and_b32_e32 v27, 0xf0f0f0f, v27
	s_delay_alu instid0(VALU_DEP_2) | instskip(SKIP_1) | instid1(VALU_DEP_2)
	v_dual_lshlrev_b32 v166, 11, v28 :: v_dual_bitop2_b32 v29, 16, v29 bitop3:0x40
	v_dual_lshlrev_b32 v167, 18, v28 :: v_dual_lshlrev_b32 v28, 25, v28
	v_and_b32_e32 v166, 0x1000, v166
	s_delay_alu instid0(VALU_DEP_2) | instskip(NEXT) | instid1(VALU_DEP_3)
	v_and_b32_e32 v167, 0x100000, v167
	v_and_b32_e32 v28, 0x10000000, v28
	s_delay_alu instid0(VALU_DEP_1) | instskip(SKIP_3) | instid1(VALU_DEP_2)
	v_or3_b32 v28, v28, v31, v167
	global_load_u16 v31, v[16:17], off offset:44
	v_or3_b32 v28, v28, v29, v166
	v_ashrrev_i32_e32 v29, v176, v30
	v_dot4_i32_iu8 v28, v28, v42, 0 neg_lo:[1,1,0]
	s_delay_alu instid0(VALU_DEP_2) | instskip(SKIP_1) | instid1(VALU_DEP_3)
	v_dual_lshlrev_b32 v168, 18, v29 :: v_dual_lshlrev_b32 v166, 4, v29
	v_dual_lshlrev_b32 v167, 11, v29 :: v_dual_lshlrev_b32 v29, 25, v29
	v_cvt_f32_i32_e32 v28, v28
	s_delay_alu instid0(VALU_DEP_3) | instskip(NEXT) | instid1(VALU_DEP_4)
	v_and_b32_e32 v168, 0x100000, v168
	v_and_b32_e32 v166, 16, v166
	s_delay_alu instid0(VALU_DEP_4) | instskip(SKIP_2) | instid1(VALU_DEP_2)
	v_and_b32_e32 v167, 0x1000, v167
	v_and_b32_e32 v29, 0x10000000, v29
	v_fma_f32 v28, v4, v28, -v5
	v_or3_b32 v29, v168, v29, v166
	s_wait_loadcnt 0x0
	s_delay_alu instid0(VALU_DEP_2) | instskip(SKIP_3) | instid1(VALU_DEP_1)
	v_fma_mix_f32 v21, v28, v31, v21 op_sel_hi:[0,1,0]
	global_load_b32 v28, v[18:19], off offset:58
	s_wait_loadcnt 0x0
	v_and_b32_e32 v28, 0xf0f0f0f, v28
	v_or3_b32 v28, v29, v167, v28
	s_delay_alu instid0(VALU_DEP_1) | instskip(NEXT) | instid1(VALU_DEP_1)
	v_dot4_i32_iu8 v28, v28, v43, 0 neg_lo:[1,1,0]
	v_cvt_f32_i32_e32 v28, v28
	s_delay_alu instid0(VALU_DEP_1) | instskip(NEXT) | instid1(VALU_DEP_1)
	v_fma_f32 v28, v4, v28, -v5
	v_fma_mix_f32 v21, v28, v31, v21 op_sel_hi:[0,1,0]
	v_ashrrev_i32_e32 v28, v177, v30
	s_delay_alu instid0(VALU_DEP_1) | instskip(SKIP_1) | instid1(VALU_DEP_2)
	v_dual_lshlrev_b32 v29, 4, v28 :: v_dual_lshlrev_b32 v166, 11, v28
	v_dual_lshlrev_b32 v167, 18, v28 :: v_dual_lshlrev_b32 v28, 25, v28
	v_and_b32_e32 v29, 16, v29
	s_delay_alu instid0(VALU_DEP_3) | instskip(NEXT) | instid1(VALU_DEP_3)
	v_and_b32_e32 v166, 0x1000, v166
	v_and_b32_e32 v167, 0x100000, v167
	s_delay_alu instid0(VALU_DEP_4) | instskip(NEXT) | instid1(VALU_DEP_1)
	v_and_b32_e32 v28, 0x10000000, v28
	v_or3_b32 v27, v28, v27, v167
	s_delay_alu instid0(VALU_DEP_1) | instskip(SKIP_1) | instid1(VALU_DEP_2)
	v_or3_b32 v27, v27, v29, v166
	v_add_nc_u64_e32 v[28:29], v[16:17], v[70:71]
	v_dot4_i32_iu8 v27, v27, v44, 0 neg_lo:[1,1,0]
	s_delay_alu instid0(VALU_DEP_1) | instskip(NEXT) | instid1(VALU_DEP_1)
	v_cvt_f32_i32_e32 v27, v27
	v_fma_f32 v27, v4, v27, -v5
	s_delay_alu instid0(VALU_DEP_1) | instskip(SKIP_3) | instid1(VALU_DEP_1)
	v_fma_mix_f32 v21, v27, v31, v21 op_sel_hi:[0,1,0]
	global_load_b32 v27, v[28:29], off offset:50
	s_wait_xcnt 0x0
	v_ashrrev_i32_e32 v28, v185, v30
	v_dual_lshlrev_b32 v29, 4, v28 :: v_dual_lshlrev_b32 v30, 11, v28
	v_dual_lshlrev_b32 v166, 18, v28 :: v_dual_lshlrev_b32 v28, 25, v28
	s_delay_alu instid0(VALU_DEP_2) | instskip(NEXT) | instid1(VALU_DEP_3)
	v_and_b32_e32 v29, 16, v29
	v_and_b32_e32 v30, 0x1000, v30
	s_delay_alu instid0(VALU_DEP_3) | instskip(NEXT) | instid1(VALU_DEP_4)
	v_and_b32_e32 v166, 0x100000, v166
	v_and_b32_e32 v28, 0x10000000, v28
	s_delay_alu instid0(VALU_DEP_1) | instskip(SKIP_2) | instid1(VALU_DEP_1)
	v_or3_b32 v28, v166, v28, v29
	s_wait_loadcnt 0x0
	v_lshrrev_b32_e32 v27, 4, v27
	v_and_b32_e32 v27, 0xf0f0f0f, v27
	s_delay_alu instid0(VALU_DEP_1) | instskip(NEXT) | instid1(VALU_DEP_1)
	v_or3_b32 v27, v28, v30, v27
	v_dot4_i32_iu8 v27, v27, v45, 0 neg_lo:[1,1,0]
	s_delay_alu instid0(VALU_DEP_1) | instskip(NEXT) | instid1(VALU_DEP_1)
	v_cvt_f32_i32_e32 v27, v27
	v_fma_f32 v27, v4, v27, -v5
	s_delay_alu instid0(VALU_DEP_1)
	v_fma_mix_f32 v21, v27, v31, v21 op_sel_hi:[0,1,0]
	s_clause 0x1
	global_load_b32 v27, v[18:19], off offset:72
	global_load_b32 v30, v[16:17], off offset:68
	s_wait_loadcnt 0x1
	v_and_b32_e32 v31, 0xf0f0f0f, v27
	s_wait_loadcnt 0x0
	v_dual_lshrrev_b32 v27, 4, v27 :: v_dual_ashrrev_i32 v28, v32, v30
	s_delay_alu instid0(VALU_DEP_1) | instskip(NEXT) | instid1(VALU_DEP_1)
	v_lshlrev_b32_e32 v29, 4, v28
	v_dual_lshlrev_b32 v166, 11, v28 :: v_dual_bitop2_b32 v29, 16, v29 bitop3:0x40
	v_dual_lshlrev_b32 v167, 18, v28 :: v_dual_lshlrev_b32 v28, 25, v28
	s_delay_alu instid0(VALU_DEP_2) | instskip(NEXT) | instid1(VALU_DEP_2)
	v_and_b32_e32 v166, 0x1000, v166
	v_and_b32_e32 v167, 0x100000, v167
	s_delay_alu instid0(VALU_DEP_3) | instskip(NEXT) | instid1(VALU_DEP_1)
	v_and_b32_e32 v28, 0x10000000, v28
	v_or3_b32 v28, v28, v31, v167
	global_load_u16 v31, v[16:17], off offset:66
	v_or3_b32 v28, v28, v29, v166
	v_ashrrev_i32_e32 v29, v176, v30
	s_delay_alu instid0(VALU_DEP_2) | instskip(NEXT) | instid1(VALU_DEP_2)
	v_dot4_i32_iu8 v28, v28, v46, 0 neg_lo:[1,1,0]
	v_dual_lshlrev_b32 v166, 4, v29 :: v_dual_lshlrev_b32 v167, 11, v29
	v_dual_lshlrev_b32 v168, 18, v29 :: v_dual_lshlrev_b32 v29, 25, v29
	s_delay_alu instid0(VALU_DEP_3) | instskip(NEXT) | instid1(VALU_DEP_3)
	v_cvt_f32_i32_e32 v28, v28
	v_and_b32_e32 v166, 16, v166
	s_delay_alu instid0(VALU_DEP_4) | instskip(NEXT) | instid1(VALU_DEP_4)
	v_and_b32_e32 v167, 0x1000, v167
	v_and_b32_e32 v168, 0x100000, v168
	;; [unrolled: 1-line block ×3, first 2 shown]
	v_fma_f32 v28, v6, v28, -v7
	s_delay_alu instid0(VALU_DEP_2) | instskip(SKIP_1) | instid1(VALU_DEP_2)
	v_or3_b32 v29, v168, v29, v166
	s_wait_loadcnt 0x0
	v_fma_mix_f32 v21, v28, v31, v21 op_sel_hi:[0,1,0]
	global_load_b32 v28, v[18:19], off offset:80
	s_wait_loadcnt 0x0
	v_and_b32_e32 v28, 0xf0f0f0f, v28
	s_delay_alu instid0(VALU_DEP_1) | instskip(NEXT) | instid1(VALU_DEP_1)
	v_or3_b32 v28, v29, v167, v28
	v_dot4_i32_iu8 v28, v28, v47, 0 neg_lo:[1,1,0]
	s_delay_alu instid0(VALU_DEP_1) | instskip(NEXT) | instid1(VALU_DEP_1)
	v_cvt_f32_i32_e32 v28, v28
	v_fma_f32 v28, v6, v28, -v7
	s_delay_alu instid0(VALU_DEP_1) | instskip(SKIP_2) | instid1(VALU_DEP_2)
	v_fma_mix_f32 v21, v28, v31, v21 op_sel_hi:[0,1,0]
	v_ashrrev_i32_e32 v28, v177, v30
	v_and_b32_e32 v27, 0xf0f0f0f, v27
	v_dual_lshlrev_b32 v29, 4, v28 :: v_dual_lshlrev_b32 v166, 11, v28
	v_dual_lshlrev_b32 v167, 18, v28 :: v_dual_lshlrev_b32 v28, 25, v28
	s_delay_alu instid0(VALU_DEP_2) | instskip(NEXT) | instid1(VALU_DEP_3)
	v_and_b32_e32 v29, 16, v29
	v_and_b32_e32 v166, 0x1000, v166
	s_delay_alu instid0(VALU_DEP_3) | instskip(NEXT) | instid1(VALU_DEP_4)
	v_and_b32_e32 v167, 0x100000, v167
	v_and_b32_e32 v28, 0x10000000, v28
	s_delay_alu instid0(VALU_DEP_1) | instskip(NEXT) | instid1(VALU_DEP_1)
	v_or3_b32 v27, v28, v27, v167
	v_or3_b32 v27, v27, v29, v166
	v_add_nc_u64_e32 v[28:29], v[16:17], v[72:73]
	s_delay_alu instid0(VALU_DEP_2) | instskip(NEXT) | instid1(VALU_DEP_1)
	v_dot4_i32_iu8 v27, v27, v48, 0 neg_lo:[1,1,0]
	v_cvt_f32_i32_e32 v27, v27
	s_delay_alu instid0(VALU_DEP_1) | instskip(NEXT) | instid1(VALU_DEP_1)
	v_fma_f32 v27, v6, v27, -v7
	v_fma_mix_f32 v21, v27, v31, v21 op_sel_hi:[0,1,0]
	global_load_b32 v27, v[28:29], off offset:72
	s_wait_xcnt 0x0
	v_ashrrev_i32_e32 v28, v186, v30
	s_delay_alu instid0(VALU_DEP_1) | instskip(SKIP_1) | instid1(VALU_DEP_2)
	v_dual_lshlrev_b32 v29, 4, v28 :: v_dual_lshlrev_b32 v30, 11, v28
	v_dual_lshlrev_b32 v166, 18, v28 :: v_dual_lshlrev_b32 v28, 25, v28
	v_and_b32_e32 v29, 16, v29
	s_delay_alu instid0(VALU_DEP_3) | instskip(NEXT) | instid1(VALU_DEP_3)
	v_and_b32_e32 v30, 0x1000, v30
	v_and_b32_e32 v166, 0x100000, v166
	s_delay_alu instid0(VALU_DEP_4) | instskip(NEXT) | instid1(VALU_DEP_1)
	v_and_b32_e32 v28, 0x10000000, v28
	v_or3_b32 v28, v166, v28, v29
	s_wait_loadcnt 0x0
	v_lshrrev_b32_e32 v27, 4, v27
	s_delay_alu instid0(VALU_DEP_1) | instskip(NEXT) | instid1(VALU_DEP_1)
	v_and_b32_e32 v27, 0xf0f0f0f, v27
	v_or3_b32 v27, v28, v30, v27
	s_delay_alu instid0(VALU_DEP_1) | instskip(NEXT) | instid1(VALU_DEP_1)
	v_dot4_i32_iu8 v27, v27, v49, 0 neg_lo:[1,1,0]
	v_cvt_f32_i32_e32 v27, v27
	s_delay_alu instid0(VALU_DEP_1) | instskip(NEXT) | instid1(VALU_DEP_1)
	v_fma_f32 v27, v6, v27, -v7
	v_fma_mix_f32 v21, v27, v31, v21 op_sel_hi:[0,1,0]
	s_clause 0x1
	global_load_b32 v27, v[18:19], off offset:94
	global_load_b32 v30, v[16:17], off offset:90
	s_wait_loadcnt 0x1
	v_and_b32_e32 v31, 0xf0f0f0f, v27
	s_wait_loadcnt 0x0
	v_dual_ashrrev_i32 v28, v32, v30 :: v_dual_lshrrev_b32 v27, 4, v27
	s_delay_alu instid0(VALU_DEP_1) | instskip(NEXT) | instid1(VALU_DEP_2)
	v_lshlrev_b32_e32 v29, 4, v28
	v_and_b32_e32 v27, 0xf0f0f0f, v27
	s_delay_alu instid0(VALU_DEP_2) | instskip(SKIP_1) | instid1(VALU_DEP_2)
	v_dual_lshlrev_b32 v166, 11, v28 :: v_dual_bitop2_b32 v29, 16, v29 bitop3:0x40
	v_dual_lshlrev_b32 v167, 18, v28 :: v_dual_lshlrev_b32 v28, 25, v28
	v_and_b32_e32 v166, 0x1000, v166
	s_delay_alu instid0(VALU_DEP_2) | instskip(NEXT) | instid1(VALU_DEP_3)
	v_and_b32_e32 v167, 0x100000, v167
	v_and_b32_e32 v28, 0x10000000, v28
	s_delay_alu instid0(VALU_DEP_1) | instskip(SKIP_3) | instid1(VALU_DEP_2)
	v_or3_b32 v28, v28, v31, v167
	global_load_u16 v31, v[16:17], off offset:88
	v_or3_b32 v28, v28, v29, v166
	v_ashrrev_i32_e32 v29, v176, v30
	v_dot4_i32_iu8 v28, v28, v50, 0 neg_lo:[1,1,0]
	s_delay_alu instid0(VALU_DEP_2) | instskip(SKIP_1) | instid1(VALU_DEP_3)
	v_dual_lshlrev_b32 v168, 18, v29 :: v_dual_lshlrev_b32 v166, 4, v29
	v_dual_lshlrev_b32 v167, 11, v29 :: v_dual_lshlrev_b32 v29, 25, v29
	v_cvt_f32_i32_e32 v28, v28
	s_delay_alu instid0(VALU_DEP_3) | instskip(NEXT) | instid1(VALU_DEP_4)
	v_and_b32_e32 v168, 0x100000, v168
	v_and_b32_e32 v166, 16, v166
	s_delay_alu instid0(VALU_DEP_4) | instskip(SKIP_2) | instid1(VALU_DEP_2)
	v_and_b32_e32 v167, 0x1000, v167
	v_and_b32_e32 v29, 0x10000000, v29
	v_fma_f32 v28, v8, v28, -v9
	v_or3_b32 v29, v168, v29, v166
	s_wait_loadcnt 0x0
	s_delay_alu instid0(VALU_DEP_2) | instskip(SKIP_3) | instid1(VALU_DEP_1)
	v_fma_mix_f32 v21, v28, v31, v21 op_sel_hi:[0,1,0]
	global_load_b32 v28, v[18:19], off offset:102
	s_wait_loadcnt 0x0
	v_and_b32_e32 v28, 0xf0f0f0f, v28
	v_or3_b32 v28, v29, v167, v28
	s_delay_alu instid0(VALU_DEP_1) | instskip(NEXT) | instid1(VALU_DEP_1)
	v_dot4_i32_iu8 v28, v28, v51, 0 neg_lo:[1,1,0]
	v_cvt_f32_i32_e32 v28, v28
	s_delay_alu instid0(VALU_DEP_1) | instskip(NEXT) | instid1(VALU_DEP_1)
	v_fma_f32 v28, v8, v28, -v9
	v_fma_mix_f32 v21, v28, v31, v21 op_sel_hi:[0,1,0]
	v_ashrrev_i32_e32 v28, v177, v30
	s_delay_alu instid0(VALU_DEP_1) | instskip(SKIP_1) | instid1(VALU_DEP_2)
	v_dual_lshlrev_b32 v29, 4, v28 :: v_dual_lshlrev_b32 v166, 11, v28
	v_dual_lshlrev_b32 v167, 18, v28 :: v_dual_lshlrev_b32 v28, 25, v28
	v_and_b32_e32 v29, 16, v29
	s_delay_alu instid0(VALU_DEP_3) | instskip(NEXT) | instid1(VALU_DEP_3)
	v_and_b32_e32 v166, 0x1000, v166
	v_and_b32_e32 v167, 0x100000, v167
	s_delay_alu instid0(VALU_DEP_4) | instskip(NEXT) | instid1(VALU_DEP_1)
	v_and_b32_e32 v28, 0x10000000, v28
	v_or3_b32 v27, v28, v27, v167
	s_delay_alu instid0(VALU_DEP_1) | instskip(SKIP_1) | instid1(VALU_DEP_2)
	v_or3_b32 v27, v27, v29, v166
	v_add_nc_u64_e32 v[28:29], v[16:17], v[74:75]
	v_dot4_i32_iu8 v27, v27, v52, 0 neg_lo:[1,1,0]
	s_delay_alu instid0(VALU_DEP_1) | instskip(NEXT) | instid1(VALU_DEP_1)
	v_cvt_f32_i32_e32 v27, v27
	v_fma_f32 v27, v8, v27, -v9
	s_delay_alu instid0(VALU_DEP_1) | instskip(SKIP_3) | instid1(VALU_DEP_1)
	v_fma_mix_f32 v21, v27, v31, v21 op_sel_hi:[0,1,0]
	global_load_b32 v27, v[28:29], off offset:94
	s_wait_xcnt 0x0
	v_ashrrev_i32_e32 v28, v187, v30
	v_dual_lshlrev_b32 v29, 4, v28 :: v_dual_lshlrev_b32 v30, 11, v28
	v_dual_lshlrev_b32 v166, 18, v28 :: v_dual_lshlrev_b32 v28, 25, v28
	s_delay_alu instid0(VALU_DEP_2) | instskip(NEXT) | instid1(VALU_DEP_3)
	v_and_b32_e32 v29, 16, v29
	v_and_b32_e32 v30, 0x1000, v30
	s_delay_alu instid0(VALU_DEP_3) | instskip(NEXT) | instid1(VALU_DEP_4)
	v_and_b32_e32 v166, 0x100000, v166
	v_and_b32_e32 v28, 0x10000000, v28
	s_delay_alu instid0(VALU_DEP_1) | instskip(SKIP_2) | instid1(VALU_DEP_1)
	v_or3_b32 v28, v166, v28, v29
	s_wait_loadcnt 0x0
	v_lshrrev_b32_e32 v27, 4, v27
	v_and_b32_e32 v27, 0xf0f0f0f, v27
	s_delay_alu instid0(VALU_DEP_1) | instskip(NEXT) | instid1(VALU_DEP_1)
	v_or3_b32 v27, v28, v30, v27
	v_dot4_i32_iu8 v27, v27, v53, 0 neg_lo:[1,1,0]
	s_delay_alu instid0(VALU_DEP_1) | instskip(NEXT) | instid1(VALU_DEP_1)
	v_cvt_f32_i32_e32 v27, v27
	v_fma_f32 v27, v8, v27, -v9
	s_delay_alu instid0(VALU_DEP_1)
	v_fma_mix_f32 v21, v27, v31, v21 op_sel_hi:[0,1,0]
	s_clause 0x1
	global_load_b32 v27, v[18:19], off offset:116
	global_load_b32 v29, v[16:17], off offset:112
	s_wait_loadcnt 0x1
	v_and_b32_e32 v31, 0xf0f0f0f, v27
	s_wait_loadcnt 0x0
	v_dual_ashrrev_i32 v28, v32, v29 :: v_dual_lshrrev_b32 v27, 4, v27
	s_delay_alu instid0(VALU_DEP_1) | instskip(NEXT) | instid1(VALU_DEP_2)
	v_lshlrev_b32_e32 v30, 4, v28
	v_and_b32_e32 v27, 0xf0f0f0f, v27
	s_delay_alu instid0(VALU_DEP_2) | instskip(SKIP_1) | instid1(VALU_DEP_2)
	v_dual_lshlrev_b32 v166, 11, v28 :: v_dual_bitop2_b32 v30, 16, v30 bitop3:0x40
	v_dual_lshlrev_b32 v167, 18, v28 :: v_dual_lshlrev_b32 v28, 25, v28
	v_and_b32_e32 v166, 0x1000, v166
	s_delay_alu instid0(VALU_DEP_2) | instskip(NEXT) | instid1(VALU_DEP_3)
	v_and_b32_e32 v167, 0x100000, v167
	v_and_b32_e32 v28, 0x10000000, v28
	s_delay_alu instid0(VALU_DEP_1) | instskip(SKIP_3) | instid1(VALU_DEP_2)
	v_or3_b32 v28, v28, v31, v167
	global_load_b32 v31, v[18:19], off offset:124
	v_or3_b32 v28, v28, v30, v166
	v_ashrrev_i32_e32 v166, v176, v29
	v_dot4_i32_iu8 v30, v28, v54, 0 neg_lo:[1,1,0]
	global_load_u16 v28, v[16:17], off offset:110
	v_lshlrev_b32_e32 v167, 4, v166
	v_cvt_f32_i32_e32 v30, v30
	s_delay_alu instid0(VALU_DEP_2) | instskip(SKIP_1) | instid1(VALU_DEP_2)
	v_dual_lshlrev_b32 v168, 11, v166 :: v_dual_bitop2_b32 v167, 16, v167 bitop3:0x40
	v_dual_lshlrev_b32 v169, 18, v166 :: v_dual_lshlrev_b32 v166, 25, v166
	v_and_b32_e32 v168, 0x1000, v168
	s_delay_alu instid0(VALU_DEP_2) | instskip(NEXT) | instid1(VALU_DEP_3)
	v_and_b32_e32 v169, 0x100000, v169
	v_and_b32_e32 v166, 0x10000000, v166
	s_delay_alu instid0(VALU_DEP_1) | instskip(SKIP_2) | instid1(VALU_DEP_1)
	v_or3_b32 v166, v169, v166, v167
	s_wait_loadcnt 0x1
	v_and_b32_e32 v31, 0xf0f0f0f, v31
	v_or3_b32 v31, v166, v168, v31
	s_delay_alu instid0(VALU_DEP_1) | instskip(SKIP_2) | instid1(VALU_DEP_2)
	v_dot4_i32_iu8 v31, v31, v55, 0 neg_lo:[1,1,0]
	s_wait_loadcnt 0x0
	v_cvt_f32_f16_e32 v28, v28
	v_cvt_f32_i32_e32 v31, v31
	s_delay_alu instid0(VALU_DEP_1) | instskip(NEXT) | instid1(VALU_DEP_1)
	v_pk_fma_f32 v[30:31], v[10:11], v[30:31], v[94:95] neg_lo:[0,0,1] neg_hi:[0,0,1]
	v_pk_mul_f32 v[30:31], v[30:31], v[28:29] op_sel_hi:[1,0]
	s_delay_alu instid0(VALU_DEP_1) | instskip(SKIP_2) | instid1(VALU_DEP_2)
	v_add_f32_e32 v21, v21, v30
	v_ashrrev_i32_e32 v30, v177, v29
	v_ashrrev_i32_e32 v29, v189, v29
	v_dual_add_f32 v21, v21, v31 :: v_dual_lshlrev_b32 v31, 4, v30
	s_delay_alu instid0(VALU_DEP_1) | instskip(SKIP_1) | instid1(VALU_DEP_2)
	v_dual_lshlrev_b32 v166, 11, v30 :: v_dual_bitop2_b32 v31, 16, v31 bitop3:0x40
	v_dual_lshlrev_b32 v167, 18, v30 :: v_dual_lshlrev_b32 v30, 25, v30
	v_and_b32_e32 v166, 0x1000, v166
	s_delay_alu instid0(VALU_DEP_2) | instskip(NEXT) | instid1(VALU_DEP_3)
	v_and_b32_e32 v167, 0x100000, v167
	v_and_b32_e32 v30, 0x10000000, v30
	s_delay_alu instid0(VALU_DEP_1) | instskip(SKIP_1) | instid1(VALU_DEP_2)
	v_or3_b32 v27, v30, v27, v167
	v_lshlrev_b32_e32 v167, 18, v29
	v_or3_b32 v27, v27, v31, v166
	v_add_nc_u64_e32 v[30:31], v[16:17], v[76:77]
	v_lshlrev_b32_e32 v166, 11, v29
	s_delay_alu instid0(VALU_DEP_3) | instskip(NEXT) | instid1(VALU_DEP_2)
	v_dot4_i32_iu8 v27, v27, v56, 0 neg_lo:[1,1,0]
	v_and_b32_e32 v166, 0x1000, v166
	global_load_b32 v30, v[30:31], off offset:116
	s_wait_xcnt 0x0
	v_dual_lshlrev_b32 v31, 4, v29 :: v_dual_lshlrev_b32 v29, 25, v29
	v_and_b32_e32 v167, 0x100000, v167
	s_delay_alu instid0(VALU_DEP_2) | instskip(NEXT) | instid1(VALU_DEP_3)
	v_and_b32_e32 v31, 16, v31
	v_and_b32_e32 v29, 0x10000000, v29
	s_delay_alu instid0(VALU_DEP_1) | instskip(SKIP_2) | instid1(VALU_DEP_1)
	v_or3_b32 v29, v167, v29, v31
	s_wait_loadcnt 0x0
	v_lshrrev_b32_e32 v30, 4, v30
	v_and_b32_e32 v30, 0xf0f0f0f, v30
	s_delay_alu instid0(VALU_DEP_1) | instskip(SKIP_1) | instid1(VALU_DEP_2)
	v_or3_b32 v29, v29, v166, v30
	v_cvt_f32_i32_e32 v30, v27
	v_dot4_i32_iu8 v29, v29, v57, 0 neg_lo:[1,1,0]
	s_delay_alu instid0(VALU_DEP_1) | instskip(NEXT) | instid1(VALU_DEP_1)
	v_cvt_f32_i32_e32 v31, v29
	v_pk_fma_f32 v[30:31], v[10:11], v[30:31], v[94:95] neg_lo:[0,0,1] neg_hi:[0,0,1]
	s_delay_alu instid0(VALU_DEP_1) | instskip(NEXT) | instid1(VALU_DEP_1)
	v_pk_mul_f32 v[28:29], v[30:31], v[28:29] op_sel_hi:[1,0]
	v_add_f32_e32 v21, v28, v21
	s_delay_alu instid0(VALU_DEP_1)
	v_add_f32_e32 v21, v21, v29
	s_clause 0x1
	global_load_b32 v27, v[18:19], off offset:138
	global_load_b32 v29, v[16:17], off offset:134
	s_wait_loadcnt 0x1
	v_and_b32_e32 v31, 0xf0f0f0f, v27
	s_wait_loadcnt 0x0
	v_dual_ashrrev_i32 v28, v32, v29 :: v_dual_lshrrev_b32 v27, 4, v27
	s_delay_alu instid0(VALU_DEP_1) | instskip(SKIP_1) | instid1(VALU_DEP_3)
	v_dual_lshlrev_b32 v30, 4, v28 :: v_dual_lshlrev_b32 v166, 11, v28
	v_dual_lshlrev_b32 v167, 18, v28 :: v_dual_lshlrev_b32 v28, 25, v28
	v_and_b32_e32 v27, 0xf0f0f0f, v27
	s_delay_alu instid0(VALU_DEP_3) | instskip(NEXT) | instid1(VALU_DEP_4)
	v_and_b32_e32 v30, 16, v30
	v_and_b32_e32 v166, 0x1000, v166
	s_delay_alu instid0(VALU_DEP_4) | instskip(SKIP_1) | instid1(VALU_DEP_1)
	v_and_b32_e32 v167, 0x100000, v167
	v_and_b32_e32 v28, 0x10000000, v28
	v_or3_b32 v28, v28, v31, v167
	global_load_b32 v31, v[18:19], off offset:146
	v_or3_b32 v28, v28, v30, v166
	v_ashrrev_i32_e32 v166, v176, v29
	s_delay_alu instid0(VALU_DEP_2) | instskip(SKIP_3) | instid1(VALU_DEP_2)
	v_dot4_i32_iu8 v30, v28, v58, 0 neg_lo:[1,1,0]
	global_load_u16 v28, v[16:17], off offset:132
	v_lshlrev_b32_e32 v167, 4, v166
	v_cvt_f32_i32_e32 v30, v30
	v_dual_lshlrev_b32 v168, 11, v166 :: v_dual_bitop2_b32 v167, 16, v167 bitop3:0x40
	v_dual_lshlrev_b32 v169, 18, v166 :: v_dual_lshlrev_b32 v166, 25, v166
	s_delay_alu instid0(VALU_DEP_2) | instskip(NEXT) | instid1(VALU_DEP_2)
	v_and_b32_e32 v168, 0x1000, v168
	v_and_b32_e32 v169, 0x100000, v169
	s_delay_alu instid0(VALU_DEP_3) | instskip(NEXT) | instid1(VALU_DEP_1)
	v_and_b32_e32 v166, 0x10000000, v166
	v_or3_b32 v166, v169, v166, v167
	s_wait_loadcnt 0x1
	v_and_b32_e32 v31, 0xf0f0f0f, v31
	s_delay_alu instid0(VALU_DEP_1) | instskip(NEXT) | instid1(VALU_DEP_1)
	v_or3_b32 v31, v166, v168, v31
	v_dot4_i32_iu8 v31, v31, v59, 0 neg_lo:[1,1,0]
	s_wait_loadcnt 0x0
	v_cvt_f32_f16_e32 v28, v28
	s_delay_alu instid0(VALU_DEP_2) | instskip(NEXT) | instid1(VALU_DEP_1)
	v_cvt_f32_i32_e32 v31, v31
	v_pk_fma_f32 v[30:31], v[12:13], v[30:31], v[90:91] neg_lo:[0,0,1] neg_hi:[0,0,1]
	s_delay_alu instid0(VALU_DEP_1) | instskip(NEXT) | instid1(VALU_DEP_1)
	v_pk_mul_f32 v[30:31], v[30:31], v[28:29] op_sel_hi:[1,0]
	v_add_f32_e32 v21, v21, v30
	v_dual_ashrrev_i32 v30, v177, v29 :: v_dual_ashrrev_i32 v29, v190, v29
	s_delay_alu instid0(VALU_DEP_1) | instskip(NEXT) | instid1(VALU_DEP_1)
	v_dual_add_f32 v21, v21, v31 :: v_dual_lshlrev_b32 v31, 4, v30
	v_dual_lshlrev_b32 v166, 11, v30 :: v_dual_bitop2_b32 v31, 16, v31 bitop3:0x40
	v_dual_lshlrev_b32 v167, 18, v30 :: v_dual_lshlrev_b32 v30, 25, v30
	s_delay_alu instid0(VALU_DEP_2) | instskip(NEXT) | instid1(VALU_DEP_2)
	v_and_b32_e32 v166, 0x1000, v166
	v_and_b32_e32 v167, 0x100000, v167
	s_delay_alu instid0(VALU_DEP_3) | instskip(NEXT) | instid1(VALU_DEP_1)
	v_and_b32_e32 v30, 0x10000000, v30
	v_or3_b32 v27, v30, v27, v167
	v_lshlrev_b32_e32 v167, 18, v29
	s_delay_alu instid0(VALU_DEP_2) | instskip(SKIP_2) | instid1(VALU_DEP_3)
	v_or3_b32 v27, v27, v31, v166
	v_add_nc_u64_e32 v[30:31], v[16:17], v[80:81]
	v_lshlrev_b32_e32 v166, 11, v29
	v_dot4_i32_iu8 v27, v27, v60, 0 neg_lo:[1,1,0]
	s_delay_alu instid0(VALU_DEP_2) | instskip(SKIP_4) | instid1(VALU_DEP_2)
	v_and_b32_e32 v166, 0x1000, v166
	global_load_b32 v30, v[30:31], off offset:138
	s_wait_xcnt 0x0
	v_dual_lshlrev_b32 v31, 4, v29 :: v_dual_lshlrev_b32 v29, 25, v29
	v_and_b32_e32 v167, 0x100000, v167
	v_and_b32_e32 v31, 16, v31
	s_delay_alu instid0(VALU_DEP_3) | instskip(NEXT) | instid1(VALU_DEP_1)
	v_and_b32_e32 v29, 0x10000000, v29
	v_or3_b32 v29, v167, v29, v31
	s_wait_loadcnt 0x0
	v_lshrrev_b32_e32 v30, 4, v30
	s_delay_alu instid0(VALU_DEP_1) | instskip(NEXT) | instid1(VALU_DEP_1)
	v_and_b32_e32 v30, 0xf0f0f0f, v30
	v_or3_b32 v29, v29, v166, v30
	v_cvt_f32_i32_e32 v30, v27
	s_delay_alu instid0(VALU_DEP_2) | instskip(NEXT) | instid1(VALU_DEP_1)
	v_dot4_i32_iu8 v29, v29, v61, 0 neg_lo:[1,1,0]
	v_cvt_f32_i32_e32 v31, v29
	s_delay_alu instid0(VALU_DEP_1) | instskip(NEXT) | instid1(VALU_DEP_1)
	v_pk_fma_f32 v[30:31], v[12:13], v[30:31], v[90:91] neg_lo:[0,0,1] neg_hi:[0,0,1]
	v_pk_mul_f32 v[28:29], v[30:31], v[28:29] op_sel_hi:[1,0]
	s_delay_alu instid0(VALU_DEP_1) | instskip(NEXT) | instid1(VALU_DEP_1)
	v_add_f32_e32 v21, v28, v21
	v_add_f32_e32 v21, v21, v29
	s_clause 0x2
	global_load_b32 v27, v[18:19], off offset:160
	global_load_b32 v29, v[16:17], off offset:156
	;; [unrolled: 1-line block ×3, first 2 shown]
	s_wait_loadcnt 0x2
	v_and_b32_e32 v31, 0xf0f0f0f, v27
	s_wait_loadcnt 0x1
	v_ashrrev_i32_e32 v28, v32, v29
	s_wait_xcnt 0x0
	v_ashrrev_i32_e32 v19, v176, v29
	s_wait_loadcnt 0x0
	v_and_b32_e32 v18, 0xf0f0f0f, v18
	v_dual_lshlrev_b32 v30, 4, v28 :: v_dual_lshlrev_b32 v166, 11, v28
	v_dual_lshlrev_b32 v167, 18, v28 :: v_dual_lshlrev_b32 v28, 25, v28
	s_delay_alu instid0(VALU_DEP_2) | instskip(NEXT) | instid1(VALU_DEP_3)
	v_and_b32_e32 v30, 16, v30
	v_and_b32_e32 v166, 0x1000, v166
	s_delay_alu instid0(VALU_DEP_3) | instskip(NEXT) | instid1(VALU_DEP_4)
	v_and_b32_e32 v167, 0x100000, v167
	v_and_b32_e32 v28, 0x10000000, v28
	s_delay_alu instid0(VALU_DEP_1) | instskip(SKIP_1) | instid1(VALU_DEP_2)
	v_or3_b32 v28, v28, v31, v167
	v_lshlrev_b32_e32 v31, 4, v19
	v_or3_b32 v28, v28, v30, v166
	s_delay_alu instid0(VALU_DEP_2) | instskip(SKIP_2) | instid1(VALU_DEP_4)
	v_and_b32_e32 v31, 16, v31
	v_dual_lshlrev_b32 v166, 11, v19 :: v_dual_lshlrev_b32 v167, 18, v19
	v_lshlrev_b32_e32 v19, 25, v19
	v_dot4_i32_iu8 v30, v28, v62, 0 neg_lo:[1,1,0]
	global_load_u16 v28, v[16:17], off offset:154
	s_wait_xcnt 0x0
	v_add_nc_u64_e32 v[16:17], v[16:17], v[82:83]
	v_and_b32_e32 v167, 0x100000, v167
	v_and_b32_e32 v19, 0x10000000, v19
	v_and_b32_e32 v166, 0x1000, v166
	global_load_b32 v16, v[16:17], off offset:160
	v_or3_b32 v19, v167, v19, v31
	s_delay_alu instid0(VALU_DEP_1) | instskip(NEXT) | instid1(VALU_DEP_1)
	v_or3_b32 v18, v19, v166, v18
	v_dot4_i32_iu8 v18, v18, v63, 0 neg_lo:[1,1,0]
	s_delay_alu instid0(VALU_DEP_1) | instskip(SKIP_1) | instid1(VALU_DEP_1)
	v_cvt_f32_i32_e32 v19, v18
	v_cvt_f32_i32_e32 v18, v30
	v_pk_fma_f32 v[18:19], v[14:15], v[18:19], v[88:89] neg_lo:[0,0,1] neg_hi:[0,0,1]
	s_wait_loadcnt 0x1
	v_cvt_f32_f16_e32 v28, v28
	s_delay_alu instid0(VALU_DEP_1) | instskip(SKIP_1) | instid1(VALU_DEP_1)
	v_pk_mul_f32 v[18:19], v[18:19], v[28:29] op_sel_hi:[1,0]
	s_wait_loadcnt 0x0
	v_dual_lshrrev_b32 v16, 4, v16 :: v_dual_add_f32 v18, v21, v18
	v_ashrrev_i32_e32 v21, v177, v29
	s_delay_alu instid0(VALU_DEP_2) | instskip(NEXT) | instid1(VALU_DEP_3)
	v_and_b32_e32 v16, 0xf0f0f0f, v16
	v_add_f32_e32 v18, v18, v19
	s_delay_alu instid0(VALU_DEP_3) | instskip(SKIP_2) | instid1(VALU_DEP_3)
	v_dual_lshrrev_b32 v19, 4, v27 :: v_dual_lshlrev_b32 v27, 4, v21
	v_dual_lshlrev_b32 v30, 11, v21 :: v_dual_lshlrev_b32 v31, 18, v21
	v_lshlrev_b32_e32 v21, 25, v21
	v_and_b32_e32 v19, 0xf0f0f0f, v19
	s_delay_alu instid0(VALU_DEP_4) | instskip(NEXT) | instid1(VALU_DEP_4)
	v_and_b32_e32 v27, 16, v27
	v_and_b32_e32 v30, 0x1000, v30
	v_and_b32_e32 v31, 0x100000, v31
	v_and_b32_e32 v21, 0x10000000, v21
	v_ashrrev_i32_e32 v17, v191, v29
	s_delay_alu instid0(VALU_DEP_2) | instskip(NEXT) | instid1(VALU_DEP_2)
	v_or3_b32 v19, v21, v19, v31
	v_dual_lshlrev_b32 v21, 4, v17 :: v_dual_lshlrev_b32 v29, 18, v17
	s_delay_alu instid0(VALU_DEP_2) | instskip(SKIP_1) | instid1(VALU_DEP_3)
	v_or3_b32 v19, v19, v27, v30
	v_dual_lshlrev_b32 v27, 11, v17 :: v_dual_lshlrev_b32 v17, 25, v17
	v_and_b32_e32 v21, 16, v21
	s_delay_alu instid0(VALU_DEP_4) | instskip(NEXT) | instid1(VALU_DEP_4)
	v_and_b32_e32 v29, 0x100000, v29
	v_dot4_i32_iu8 v19, v19, v64, 0 neg_lo:[1,1,0]
	s_delay_alu instid0(VALU_DEP_4) | instskip(SKIP_1) | instid1(VALU_DEP_1)
	v_and_b32_e32 v27, 0x1000, v27
	v_and_b32_e32 v17, 0x10000000, v17
	v_or3_b32 v17, v29, v17, v21
	s_delay_alu instid0(VALU_DEP_1) | instskip(NEXT) | instid1(VALU_DEP_1)
	v_or3_b32 v16, v17, v27, v16
	v_dot4_i32_iu8 v16, v16, v65, 0 neg_lo:[1,1,0]
	s_delay_alu instid0(VALU_DEP_1) | instskip(SKIP_1) | instid1(VALU_DEP_1)
	v_cvt_f32_i32_e32 v17, v16
	v_cvt_f32_i32_e32 v16, v19
	v_pk_fma_f32 v[16:17], v[14:15], v[16:17], v[88:89] neg_lo:[0,0,1] neg_hi:[0,0,1]
	s_delay_alu instid0(VALU_DEP_1) | instskip(NEXT) | instid1(VALU_DEP_1)
	v_pk_mul_f32 v[16:17], v[16:17], v[28:29] op_sel_hi:[1,0]
	v_add_f32_e32 v16, v16, v18
	s_delay_alu instid0(VALU_DEP_1)
	v_add_f32_e32 v16, v16, v17
	ds_bpermute_b32 v17, v184, v16
	s_wait_dscnt 0x0
	v_add_f32_e32 v16, v16, v17
	s_cbranch_vccnz .LBB23_19
; %bb.18:                               ;   in Loop: Header=BB23_15 Depth=1
	global_load_u16 v17, v102, s[12:13] offset:2 scale_offset
	s_wait_loadcnt 0x0
	v_fma_mix_f32 v16, v170, v17, v16 op_sel_hi:[0,1,0]
.LBB23_19:                              ;   in Loop: Header=BB23_15 Depth=1
	v_add_f32_e32 v17, 0x40051340, v20
	s_delay_alu instid0(VALU_DEP_2)
	v_add_f32_e32 v18, 0x40051340, v16
	v_add_nc_u64_e32 v[198:199], s[14:15], v[78:79]
	v_mul_hi_u32_u24_e32 v169, 22, v164
	v_mul_u32_u24_e32 v168, 22, v164
	s_add_co_i32 s37, s4, s37
	v_max3_num_f32 v17, v26, v17, v18
	s_add_nc_u64 s[18:19], s[18:19], s[8:9]
	s_add_nc_u64 s[12:13], s[12:13], s[6:7]
	v_add_nc_u64_e32 v[166:167], v[198:199], v[168:169]
	s_cmp_ge_i32 s37, s36
	ds_bpermute_b32 v18, v180, v17
	v_cndmask_b32_e64 v16, v16, v20, s3
	v_add_nc_u64_e32 v[200:201], v[166:167], v[84:85]
	s_wait_dscnt 0x0
	v_max_num_f32_e32 v18, v18, v18
	s_delay_alu instid0(VALU_DEP_1) | instskip(SKIP_3) | instid1(VALU_DEP_1)
	v_max_num_f32_e32 v17, v17, v18
	ds_bpermute_b32 v18, v181, v17
	s_wait_dscnt 0x0
	v_max_num_f32_e32 v18, v18, v18
	v_max_num_f32_e32 v17, v17, v18
	ds_bpermute_b32 v18, v182, v17
	s_wait_dscnt 0x0
	v_max_num_f32_e32 v18, v18, v18
	s_delay_alu instid0(VALU_DEP_1) | instskip(SKIP_3) | instid1(VALU_DEP_1)
	v_max_num_f32_e32 v17, v17, v18
	ds_bpermute_b32 v18, v183, v17
	s_wait_dscnt 0x0
	v_max_num_f32_e32 v18, v18, v18
	v_max_num_f32_e32 v196, v17, v18
	s_delay_alu instid0(VALU_DEP_1) | instskip(NEXT) | instid1(VALU_DEP_1)
	v_dual_sub_f32 v17, v26, v196 :: v_dual_sub_f32 v16, v16, v196
	v_mul_f32_e32 v18, 0x3fb8aa3b, v17
	v_cmp_ngt_f32_e32 vcc_lo, 0xc2ce8ed0, v17
	s_delay_alu instid0(VALU_DEP_2) | instskip(SKIP_1) | instid1(VALU_DEP_1)
	v_fma_f32 v19, 0x3fb8aa3b, v17, -v18
	v_rndne_f32_e32 v20, v18
	v_dual_fmac_f32 v19, 0x32a5705f, v17 :: v_dual_sub_f32 v18, v18, v20
	s_delay_alu instid0(VALU_DEP_1) | instskip(SKIP_1) | instid1(VALU_DEP_2)
	v_add_f32_e32 v18, v18, v19
	v_cvt_i32_f32_e32 v19, v20
	v_exp_f32_e32 v18, v18
	v_nop
	s_delay_alu instid0(TRANS32_DEP_1) | instskip(NEXT) | instid1(VALU_DEP_1)
	v_ldexp_f32 v18, v18, v19
	v_cndmask_b32_e32 v18, 0, v18, vcc_lo
	v_cmp_nlt_f32_e32 vcc_lo, 0x42b17218, v17
	s_delay_alu instid0(VALU_DEP_2) | instskip(SKIP_2) | instid1(VALU_DEP_2)
	v_cndmask_b32_e32 v17, 0x7f800000, v18, vcc_lo
	v_mul_f32_e32 v18, 0x3fb8aa3b, v16
	v_cmp_ngt_f32_e32 vcc_lo, 0xc2ce8ed0, v16
	v_fma_f32 v19, 0x3fb8aa3b, v16, -v18
	v_rndne_f32_e32 v20, v18
	s_delay_alu instid0(VALU_DEP_2) | instskip(NEXT) | instid1(VALU_DEP_2)
	v_fmac_f32_e32 v19, 0x32a5705f, v16
	v_sub_f32_e32 v18, v18, v20
	s_delay_alu instid0(VALU_DEP_1) | instskip(SKIP_1) | instid1(VALU_DEP_2)
	v_add_f32_e32 v18, v18, v19
	v_cvt_i32_f32_e32 v19, v20
	v_exp_f32_e32 v18, v18
	v_nop
	s_delay_alu instid0(TRANS32_DEP_1) | instskip(NEXT) | instid1(VALU_DEP_1)
	v_ldexp_f32 v18, v18, v19
	v_cndmask_b32_e32 v18, 0, v18, vcc_lo
	v_cmp_nlt_f32_e32 vcc_lo, 0x42b17218, v16
	s_delay_alu instid0(VALU_DEP_2) | instskip(NEXT) | instid1(VALU_DEP_1)
	v_cndmask_b32_e32 v16, 0x7f800000, v18, vcc_lo
	v_fma_f32 v175, v175, v17, v16
	v_cvt_f16_f32_e32 v17, v17
	v_cvt_f16_f32_e32 v16, v16
	s_delay_alu instid0(VALU_DEP_2) | instskip(SKIP_2) | instid1(VALU_DEP_1)
	v_and_b32_e32 v17, 0xffff, v17
	ds_store_b16 v172, v16
	v_mul_u32_u24_e32 v17, 0x10001, v17
	v_pk_mul_f16 v197, v22, v17
	v_pk_mul_f16 v202, v23, v17
	;; [unrolled: 1-line block ×4, first 2 shown]
	ds_load_b128 v[28:31], v174
	ds_load_b128 v[24:27], v174 offset:16
	ds_load_b128 v[20:23], v174 offset:32
	;; [unrolled: 1-line block ×3, first 2 shown]
	s_clause 0x2
	global_load_b32 v200, v[200:201], off offset:6
	global_load_b32 v201, v[166:167], off offset:2
	global_load_u16 v166, v[166:167], off
	s_wait_dscnt 0x3
	v_lshrrev_b32_e32 v205, 16, v28
	v_and_b32_e32 v28, 0xffff, v28
	v_dual_lshrrev_b32 v206, 16, v29 :: v_dual_lshrrev_b32 v208, 16, v31
	v_lshrrev_b32_e32 v207, 16, v30
	s_delay_alu instid0(VALU_DEP_3) | instskip(SKIP_4) | instid1(VALU_DEP_2)
	v_mul_u32_u24_e32 v28, 0x10001, v28
	s_wait_loadcnt 0x1
	v_dual_lshrrev_b32 v209, v188, v201 :: v_dual_lshrrev_b32 v210, v193, v201
	s_wait_loadcnt 0x0
	v_mul_u32_u24_e32 v166, 0x10001, v166
	v_dual_lshlrev_b32 v209, 4, v209 :: v_dual_ashrrev_i32 v200, v192, v200
	s_delay_alu instid0(VALU_DEP_1) | instskip(NEXT) | instid1(VALU_DEP_2)
	v_dual_lshlrev_b32 v210, 12, v210 :: v_dual_bitop2_b32 v209, 16, v209 bitop3:0x40
	v_and_b32_e32 v200, 0xf0f0f0f, v200
	s_delay_alu instid0(VALU_DEP_2) | instskip(NEXT) | instid1(VALU_DEP_1)
	v_and_b32_e32 v210, 0x1000, v210
	v_or3_b32 v209, v209, v200, v210
	v_dual_lshrrev_b32 v210, v194, v201 :: v_dual_lshrrev_b32 v201, v195, v201
	s_delay_alu instid0(VALU_DEP_1) | instskip(NEXT) | instid1(VALU_DEP_1)
	v_dual_lshlrev_b32 v210, 20, v210 :: v_dual_lshlrev_b32 v201, 28, v201
	v_and_b32_e32 v210, 0x100000, v210
	s_delay_alu instid0(VALU_DEP_2) | instskip(NEXT) | instid1(VALU_DEP_1)
	v_and_b32_e32 v201, 0x10000000, v201
	v_or3_b32 v200, v200, v210, v201
	v_lshlrev_b16 v201, 8, v209
	s_delay_alu instid0(VALU_DEP_2) | instskip(NEXT) | instid1(VALU_DEP_2)
	v_lshrrev_b32_e32 v200, 16, v200
	v_add_nc_u16 v201, 0xf000, v201
	s_delay_alu instid0(VALU_DEP_1) | instskip(NEXT) | instid1(VALU_DEP_1)
	v_lshrrev_b16 v201, 8, v201
	v_bitop3_b16 v201, v209, v201, 0x1f00 bitop3:0xec
	s_delay_alu instid0(VALU_DEP_4) | instskip(SKIP_1) | instid1(VALU_DEP_3)
	v_lshlrev_b16 v209, 8, v200
	v_and_b32_e32 v200, 0x1f00, v200
	v_add_nc_u16 v201, 0xf000, v201
	s_delay_alu instid0(VALU_DEP_3) | instskip(NEXT) | instid1(VALU_DEP_3)
	v_add_nc_u16 v209, 0xf000, v209
	v_add_nc_u16 v200, 0xf000, v200
	s_delay_alu instid0(VALU_DEP_3) | instskip(SKIP_1) | instid1(VALU_DEP_3)
	v_lshrrev_b32_e32 v167, 8, v201
	v_bfe_i32 v201, v201, 0, 8
	v_lshrrev_b32_e32 v200, 8, v200
	s_delay_alu instid0(VALU_DEP_3) | instskip(NEXT) | instid1(VALU_DEP_3)
	v_bfe_i32 v167, v167, 0, 8
	v_cvt_f16_i16_e64 v201, v201
	s_delay_alu instid0(VALU_DEP_3) | instskip(NEXT) | instid1(VALU_DEP_3)
	v_bfe_i32 v200, v200, 0, 8
	v_cvt_f16_i16_e64 v167, v167
	s_delay_alu instid0(VALU_DEP_2) | instskip(NEXT) | instid1(VALU_DEP_2)
	v_cvt_f16_i16_e64 v200, v200
	v_pack_b32_f16 v167, v201, v167
	v_ashrrev_i16 v201, 8, v209
	s_delay_alu instid0(VALU_DEP_2) | instskip(NEXT) | instid1(VALU_DEP_2)
	v_pk_mul_f16 v167, v167, v166
	v_cvt_f16_i16_e64 v201, v201
	s_delay_alu instid0(VALU_DEP_2) | instskip(NEXT) | instid1(VALU_DEP_2)
	v_pk_fma_f16 v197, v167, v28, v197
	v_pack_b32_f16 v200, v201, v200
	v_mul_hi_u32_u24_e32 v167, 22, v162
	s_delay_alu instid0(VALU_DEP_2) | instskip(NEXT) | instid1(VALU_DEP_1)
	v_pk_mul_f16 v166, v200, v166
	v_pk_fma_f16 v209, v166, v28, v202
	v_mul_u32_u24_e32 v166, 22, v162
	s_delay_alu instid0(VALU_DEP_1) | instskip(NEXT) | instid1(VALU_DEP_1)
	v_add_nc_u64_e32 v[198:199], v[198:199], v[166:167]
	v_add_nc_u64_e32 v[200:201], v[198:199], v[112:113]
	s_clause 0x2
	global_load_b32 v200, v[200:201], off offset:6
	global_load_b32 v201, v[198:199], off offset:2
	global_load_u16 v198, v[198:199], off
	s_wait_loadcnt 0x1
	v_lshrrev_b32_e32 v202, v188, v201
	v_dual_ashrrev_i32 v200, v192, v200 :: v_dual_lshrrev_b32 v210, v193, v201
	s_wait_loadcnt 0x0
	v_mul_u32_u24_e32 v198, 0x10001, v198
	s_delay_alu instid0(VALU_DEP_3) | instskip(NEXT) | instid1(VALU_DEP_3)
	v_lshlrev_b32_e32 v202, 4, v202
	v_and_b32_e32 v200, 0xf0f0f0f, v200
	v_lshlrev_b32_e32 v210, 12, v210
	s_delay_alu instid0(VALU_DEP_3) | instskip(NEXT) | instid1(VALU_DEP_2)
	v_and_b32_e32 v202, 16, v202
	v_and_b32_e32 v210, 0x1000, v210
	s_delay_alu instid0(VALU_DEP_1) | instskip(SKIP_1) | instid1(VALU_DEP_1)
	v_or3_b32 v202, v202, v200, v210
	v_dual_lshrrev_b32 v210, v194, v201 :: v_dual_lshrrev_b32 v201, v195, v201
	v_dual_lshlrev_b32 v201, 28, v201 :: v_dual_lshlrev_b32 v210, 20, v210
	s_delay_alu instid0(VALU_DEP_1) | instskip(NEXT) | instid1(VALU_DEP_2)
	v_and_b32_e32 v201, 0x10000000, v201
	v_and_b32_e32 v210, 0x100000, v210
	s_delay_alu instid0(VALU_DEP_1) | instskip(SKIP_1) | instid1(VALU_DEP_2)
	v_or3_b32 v200, v200, v210, v201
	v_lshlrev_b16 v201, 8, v202
	v_lshrrev_b32_e32 v200, 16, v200
	s_delay_alu instid0(VALU_DEP_2) | instskip(NEXT) | instid1(VALU_DEP_1)
	v_add_nc_u16 v201, 0xf000, v201
	v_lshrrev_b16 v201, 8, v201
	s_delay_alu instid0(VALU_DEP_1) | instskip(NEXT) | instid1(VALU_DEP_4)
	v_bitop3_b16 v201, v202, v201, 0x1f00 bitop3:0xec
	v_lshlrev_b16 v202, 8, v200
	v_and_b32_e32 v200, 0x1f00, v200
	s_delay_alu instid0(VALU_DEP_3) | instskip(NEXT) | instid1(VALU_DEP_3)
	v_add_nc_u16 v201, 0xf000, v201
	v_add_nc_u16 v202, 0xf000, v202
	s_delay_alu instid0(VALU_DEP_3) | instskip(NEXT) | instid1(VALU_DEP_3)
	v_add_nc_u16 v200, 0xf000, v200
	v_lshrrev_b32_e32 v199, 8, v201
	v_bfe_i32 v201, v201, 0, 8
	s_delay_alu instid0(VALU_DEP_3) | instskip(NEXT) | instid1(VALU_DEP_3)
	v_lshrrev_b32_e32 v200, 8, v200
	v_bfe_i32 v199, v199, 0, 8
	s_delay_alu instid0(VALU_DEP_3) | instskip(NEXT) | instid1(VALU_DEP_3)
	v_cvt_f16_i16_e64 v201, v201
	v_bfe_i32 v200, v200, 0, 8
	s_delay_alu instid0(VALU_DEP_3) | instskip(NEXT) | instid1(VALU_DEP_2)
	v_cvt_f16_i16_e64 v199, v199
	v_cvt_f16_i16_e64 v200, v200
	s_delay_alu instid0(VALU_DEP_2) | instskip(SKIP_1) | instid1(VALU_DEP_2)
	v_pack_b32_f16 v199, v201, v199
	v_ashrrev_i16 v201, 8, v202
	v_pk_mul_f16 v199, v199, v198
	s_delay_alu instid0(VALU_DEP_2) | instskip(NEXT) | instid1(VALU_DEP_2)
	v_cvt_f16_i16_e64 v201, v201
	v_pk_fma_f16 v210, v199, v28, v203
	s_delay_alu instid0(VALU_DEP_2) | instskip(NEXT) | instid1(VALU_DEP_1)
	v_pack_b32_f16 v200, v201, v200
	v_pk_mul_f16 v198, v200, v198
	s_delay_alu instid0(VALU_DEP_1) | instskip(SKIP_2) | instid1(VALU_DEP_2)
	v_pk_fma_f16 v28, v198, v28, v204
	v_add_nc_u64_e32 v[198:199], s[14:15], v[86:87]
	v_mul_u32_u24_e32 v204, 0x10001, v205
	v_add_nc_u64_e32 v[200:201], v[198:199], v[168:169]
	v_add_nc_u64_e32 v[198:199], v[198:199], v[166:167]
	s_delay_alu instid0(VALU_DEP_2)
	v_add_nc_u64_e32 v[202:203], v[200:201], v[84:85]
	s_clause 0x2
	global_load_b32 v202, v[202:203], off offset:6
	global_load_b32 v203, v[200:201], off offset:2
	global_load_u16 v200, v[200:201], off
	s_wait_loadcnt 0x1
	v_dual_lshrrev_b32 v205, v188, v203 :: v_dual_lshrrev_b32 v211, v193, v203
	v_ashrrev_i32_e32 v202, v192, v202
	s_wait_loadcnt 0x0
	v_mul_u32_u24_e32 v200, 0x10001, v200
	s_delay_alu instid0(VALU_DEP_3) | instskip(NEXT) | instid1(VALU_DEP_3)
	v_dual_lshlrev_b32 v205, 4, v205 :: v_dual_lshlrev_b32 v211, 12, v211
	v_and_b32_e32 v202, 0xf0f0f0f, v202
	s_delay_alu instid0(VALU_DEP_2) | instskip(NEXT) | instid1(VALU_DEP_3)
	v_and_b32_e32 v205, 16, v205
	v_and_b32_e32 v211, 0x1000, v211
	s_delay_alu instid0(VALU_DEP_1) | instskip(SKIP_1) | instid1(VALU_DEP_1)
	v_or3_b32 v205, v205, v202, v211
	v_dual_lshrrev_b32 v211, v194, v203 :: v_dual_lshrrev_b32 v203, v195, v203
	v_lshlrev_b32_e32 v211, 20, v211
	s_delay_alu instid0(VALU_DEP_2) | instskip(NEXT) | instid1(VALU_DEP_2)
	v_lshlrev_b32_e32 v203, 28, v203
	v_and_b32_e32 v211, 0x100000, v211
	s_delay_alu instid0(VALU_DEP_2) | instskip(NEXT) | instid1(VALU_DEP_1)
	v_and_b32_e32 v203, 0x10000000, v203
	v_or3_b32 v202, v202, v211, v203
	v_lshlrev_b16 v203, 8, v205
	s_delay_alu instid0(VALU_DEP_2) | instskip(NEXT) | instid1(VALU_DEP_2)
	v_lshrrev_b32_e32 v202, 16, v202
	v_add_nc_u16 v203, 0xf000, v203
	s_delay_alu instid0(VALU_DEP_1) | instskip(NEXT) | instid1(VALU_DEP_1)
	v_lshrrev_b16 v203, 8, v203
	v_bitop3_b16 v203, v205, v203, 0x1f00 bitop3:0xec
	s_delay_alu instid0(VALU_DEP_4) | instskip(SKIP_1) | instid1(VALU_DEP_3)
	v_lshlrev_b16 v205, 8, v202
	v_and_b32_e32 v202, 0x1f00, v202
	v_add_nc_u16 v203, 0xf000, v203
	s_delay_alu instid0(VALU_DEP_3) | instskip(NEXT) | instid1(VALU_DEP_3)
	v_add_nc_u16 v205, 0xf000, v205
	v_add_nc_u16 v202, 0xf000, v202
	s_delay_alu instid0(VALU_DEP_3) | instskip(SKIP_1) | instid1(VALU_DEP_3)
	v_lshrrev_b32_e32 v201, 8, v203
	v_bfe_i32 v203, v203, 0, 8
	v_lshrrev_b32_e32 v202, 8, v202
	s_delay_alu instid0(VALU_DEP_3) | instskip(NEXT) | instid1(VALU_DEP_3)
	v_bfe_i32 v201, v201, 0, 8
	v_cvt_f16_i16_e64 v203, v203
	s_delay_alu instid0(VALU_DEP_3) | instskip(NEXT) | instid1(VALU_DEP_3)
	v_bfe_i32 v202, v202, 0, 8
	v_cvt_f16_i16_e64 v201, v201
	s_delay_alu instid0(VALU_DEP_2) | instskip(NEXT) | instid1(VALU_DEP_2)
	v_cvt_f16_i16_e64 v202, v202
	v_pack_b32_f16 v201, v203, v201
	v_ashrrev_i16 v203, 8, v205
	s_delay_alu instid0(VALU_DEP_2) | instskip(NEXT) | instid1(VALU_DEP_2)
	v_pk_mul_f16 v201, v201, v200
	v_cvt_f16_i16_e64 v203, v203
	s_delay_alu instid0(VALU_DEP_2) | instskip(NEXT) | instid1(VALU_DEP_2)
	v_pk_fma_f16 v197, v201, v204, v197
	v_pack_b32_f16 v202, v203, v202
	s_delay_alu instid0(VALU_DEP_1) | instskip(NEXT) | instid1(VALU_DEP_1)
	v_pk_mul_f16 v200, v202, v200
	v_pk_fma_f16 v202, v200, v204, v209
	v_add_nc_u64_e32 v[200:201], v[198:199], v[112:113]
	s_clause 0x2
	global_load_b32 v200, v[200:201], off offset:6
	global_load_b32 v201, v[198:199], off offset:2
	global_load_u16 v198, v[198:199], off
	s_wait_loadcnt 0x2
	v_ashrrev_i32_e32 v200, v192, v200
	s_wait_loadcnt 0x1
	v_dual_lshrrev_b32 v203, v188, v201 :: v_dual_lshrrev_b32 v205, v193, v201
	s_wait_loadcnt 0x0
	v_mul_u32_u24_e32 v198, 0x10001, v198
	v_and_b32_e32 v200, 0xf0f0f0f, v200
	s_delay_alu instid0(VALU_DEP_3) | instskip(NEXT) | instid1(VALU_DEP_1)
	v_dual_lshlrev_b32 v203, 4, v203 :: v_dual_lshlrev_b32 v205, 12, v205
	v_and_b32_e32 v203, 16, v203
	s_delay_alu instid0(VALU_DEP_2) | instskip(NEXT) | instid1(VALU_DEP_1)
	v_and_b32_e32 v205, 0x1000, v205
	v_or3_b32 v203, v203, v200, v205
	v_dual_lshrrev_b32 v205, v194, v201 :: v_dual_lshrrev_b32 v201, v195, v201
	s_delay_alu instid0(VALU_DEP_1) | instskip(NEXT) | instid1(VALU_DEP_2)
	v_lshlrev_b32_e32 v205, 20, v205
	v_lshlrev_b32_e32 v201, 28, v201
	s_delay_alu instid0(VALU_DEP_2) | instskip(NEXT) | instid1(VALU_DEP_2)
	v_and_b32_e32 v205, 0x100000, v205
	v_and_b32_e32 v201, 0x10000000, v201
	s_delay_alu instid0(VALU_DEP_1) | instskip(SKIP_1) | instid1(VALU_DEP_2)
	v_or3_b32 v200, v200, v205, v201
	v_lshlrev_b16 v201, 8, v203
	v_lshrrev_b32_e32 v200, 16, v200
	s_delay_alu instid0(VALU_DEP_2) | instskip(NEXT) | instid1(VALU_DEP_1)
	v_add_nc_u16 v201, 0xf000, v201
	v_lshrrev_b16 v201, 8, v201
	s_delay_alu instid0(VALU_DEP_1) | instskip(NEXT) | instid1(VALU_DEP_4)
	v_bitop3_b16 v201, v203, v201, 0x1f00 bitop3:0xec
	v_lshlrev_b16 v203, 8, v200
	v_and_b32_e32 v200, 0x1f00, v200
	s_delay_alu instid0(VALU_DEP_3) | instskip(NEXT) | instid1(VALU_DEP_3)
	v_add_nc_u16 v201, 0xf000, v201
	v_add_nc_u16 v203, 0xf000, v203
	s_delay_alu instid0(VALU_DEP_3) | instskip(NEXT) | instid1(VALU_DEP_3)
	v_add_nc_u16 v200, 0xf000, v200
	v_lshrrev_b32_e32 v199, 8, v201
	v_bfe_i32 v201, v201, 0, 8
	s_delay_alu instid0(VALU_DEP_3) | instskip(NEXT) | instid1(VALU_DEP_3)
	v_lshrrev_b32_e32 v200, 8, v200
	v_bfe_i32 v199, v199, 0, 8
	s_delay_alu instid0(VALU_DEP_3) | instskip(NEXT) | instid1(VALU_DEP_3)
	v_cvt_f16_i16_e64 v201, v201
	v_bfe_i32 v200, v200, 0, 8
	s_delay_alu instid0(VALU_DEP_3) | instskip(NEXT) | instid1(VALU_DEP_2)
	v_cvt_f16_i16_e64 v199, v199
	v_cvt_f16_i16_e64 v200, v200
	s_delay_alu instid0(VALU_DEP_2) | instskip(SKIP_1) | instid1(VALU_DEP_2)
	v_pack_b32_f16 v199, v201, v199
	v_ashrrev_i16 v201, 8, v203
	v_pk_mul_f16 v199, v199, v198
	s_delay_alu instid0(VALU_DEP_2) | instskip(NEXT) | instid1(VALU_DEP_2)
	v_cvt_f16_i16_e64 v201, v201
	v_pk_fma_f16 v203, v199, v204, v210
	s_delay_alu instid0(VALU_DEP_2) | instskip(NEXT) | instid1(VALU_DEP_1)
	v_pack_b32_f16 v200, v201, v200
	v_pk_mul_f16 v198, v200, v198
	s_delay_alu instid0(VALU_DEP_1) | instskip(SKIP_1) | instid1(VALU_DEP_1)
	v_pk_fma_f16 v204, v198, v204, v28
	v_and_b32_e32 v28, 0xffff, v29
	v_mul_u32_u24_e32 v205, 0x10001, v28
	v_add_nc_u64_e32 v[28:29], s[14:15], v[92:93]
	s_delay_alu instid0(VALU_DEP_1) | instskip(SKIP_1) | instid1(VALU_DEP_2)
	v_add_nc_u64_e32 v[198:199], v[28:29], v[168:169]
	v_add_nc_u64_e32 v[28:29], v[28:29], v[166:167]
	;; [unrolled: 1-line block ×3, first 2 shown]
	s_clause 0x2
	global_load_b32 v200, v[200:201], off offset:6
	global_load_b32 v201, v[198:199], off offset:2
	global_load_u16 v198, v[198:199], off
	s_wait_loadcnt 0x2
	v_ashrrev_i32_e32 v200, v192, v200
	s_wait_loadcnt 0x1
	v_dual_lshrrev_b32 v209, v188, v201 :: v_dual_lshrrev_b32 v210, v193, v201
	s_wait_loadcnt 0x0
	v_mul_u32_u24_e32 v198, 0x10001, v198
	v_and_b32_e32 v200, 0xf0f0f0f, v200
	s_delay_alu instid0(VALU_DEP_3) | instskip(NEXT) | instid1(VALU_DEP_1)
	v_dual_lshlrev_b32 v209, 4, v209 :: v_dual_lshlrev_b32 v210, 12, v210
	v_and_b32_e32 v209, 16, v209
	s_delay_alu instid0(VALU_DEP_2) | instskip(NEXT) | instid1(VALU_DEP_1)
	v_and_b32_e32 v210, 0x1000, v210
	v_or3_b32 v209, v209, v200, v210
	v_dual_lshrrev_b32 v210, v194, v201 :: v_dual_lshrrev_b32 v201, v195, v201
	s_delay_alu instid0(VALU_DEP_1) | instskip(NEXT) | instid1(VALU_DEP_1)
	v_dual_lshlrev_b32 v201, 28, v201 :: v_dual_lshlrev_b32 v210, 20, v210
	v_and_b32_e32 v201, 0x10000000, v201
	s_delay_alu instid0(VALU_DEP_2) | instskip(NEXT) | instid1(VALU_DEP_1)
	v_and_b32_e32 v210, 0x100000, v210
	v_or3_b32 v200, v200, v210, v201
	v_lshlrev_b16 v201, 8, v209
	s_delay_alu instid0(VALU_DEP_1) | instskip(NEXT) | instid1(VALU_DEP_1)
	v_add_nc_u16 v201, 0xf000, v201
	v_lshrrev_b16 v201, 8, v201
	s_delay_alu instid0(VALU_DEP_1) | instskip(NEXT) | instid1(VALU_DEP_1)
	v_bitop3_b16 v201, v209, v201, 0x1f00 bitop3:0xec
	v_add_nc_u16 v201, 0xf000, v201
	s_delay_alu instid0(VALU_DEP_1) | instskip(NEXT) | instid1(VALU_DEP_1)
	v_dual_lshrrev_b32 v200, 16, v200 :: v_dual_lshrrev_b32 v199, 8, v201
	v_lshlrev_b16 v209, 8, v200
	v_and_b32_e32 v200, 0x1f00, v200
	v_bfe_i32 v201, v201, 0, 8
	s_delay_alu instid0(VALU_DEP_4) | instskip(NEXT) | instid1(VALU_DEP_4)
	v_bfe_i32 v199, v199, 0, 8
	v_add_nc_u16 v209, 0xf000, v209
	s_delay_alu instid0(VALU_DEP_4) | instskip(NEXT) | instid1(VALU_DEP_4)
	v_add_nc_u16 v200, 0xf000, v200
	v_cvt_f16_i16_e64 v201, v201
	s_delay_alu instid0(VALU_DEP_4) | instskip(NEXT) | instid1(VALU_DEP_3)
	v_cvt_f16_i16_e64 v199, v199
	v_lshrrev_b32_e32 v200, 8, v200
	s_delay_alu instid0(VALU_DEP_2) | instskip(SKIP_1) | instid1(VALU_DEP_3)
	v_pack_b32_f16 v199, v201, v199
	v_ashrrev_i16 v201, 8, v209
	v_bfe_i32 v200, v200, 0, 8
	s_delay_alu instid0(VALU_DEP_3) | instskip(NEXT) | instid1(VALU_DEP_3)
	v_pk_mul_f16 v199, v199, v198
	v_cvt_f16_i16_e64 v201, v201
	s_delay_alu instid0(VALU_DEP_3) | instskip(NEXT) | instid1(VALU_DEP_3)
	v_cvt_f16_i16_e64 v200, v200
	v_pk_fma_f16 v197, v199, v205, v197
	s_delay_alu instid0(VALU_DEP_2) | instskip(NEXT) | instid1(VALU_DEP_1)
	v_pack_b32_f16 v200, v201, v200
	v_pk_mul_f16 v198, v200, v198
	s_delay_alu instid0(VALU_DEP_1)
	v_pk_fma_f16 v202, v198, v205, v202
	v_add_nc_u64_e32 v[198:199], v[28:29], v[112:113]
	s_clause 0x2
	global_load_b32 v198, v[198:199], off offset:6
	global_load_b32 v199, v[28:29], off offset:2
	global_load_u16 v28, v[28:29], off
	s_wait_loadcnt 0x2
	v_ashrrev_i32_e32 v198, v192, v198
	s_wait_loadcnt 0x1
	v_dual_lshrrev_b32 v200, v188, v199 :: v_dual_lshrrev_b32 v201, v193, v199
	s_wait_loadcnt 0x0
	v_mul_u32_u24_e32 v28, 0x10001, v28
	v_and_b32_e32 v198, 0xf0f0f0f, v198
	s_delay_alu instid0(VALU_DEP_3) | instskip(NEXT) | instid1(VALU_DEP_1)
	v_dual_lshlrev_b32 v200, 4, v200 :: v_dual_lshlrev_b32 v201, 12, v201
	v_and_b32_e32 v200, 16, v200
	s_delay_alu instid0(VALU_DEP_2) | instskip(NEXT) | instid1(VALU_DEP_1)
	v_and_b32_e32 v201, 0x1000, v201
	v_or3_b32 v200, v200, v198, v201
	v_dual_lshrrev_b32 v201, v194, v199 :: v_dual_lshrrev_b32 v199, v195, v199
	s_delay_alu instid0(VALU_DEP_1) | instskip(NEXT) | instid1(VALU_DEP_1)
	v_dual_lshlrev_b32 v201, 20, v201 :: v_dual_lshlrev_b32 v199, 28, v199
	v_and_b32_e32 v201, 0x100000, v201
	s_delay_alu instid0(VALU_DEP_2) | instskip(NEXT) | instid1(VALU_DEP_1)
	v_and_b32_e32 v199, 0x10000000, v199
	v_or3_b32 v198, v198, v201, v199
	v_lshlrev_b16 v199, 8, v200
	s_delay_alu instid0(VALU_DEP_2) | instskip(NEXT) | instid1(VALU_DEP_2)
	v_lshrrev_b32_e32 v198, 16, v198
	v_add_nc_u16 v199, 0xf000, v199
	s_delay_alu instid0(VALU_DEP_1) | instskip(NEXT) | instid1(VALU_DEP_1)
	v_lshrrev_b16 v199, 8, v199
	v_bitop3_b16 v199, v200, v199, 0x1f00 bitop3:0xec
	s_delay_alu instid0(VALU_DEP_4) | instskip(SKIP_1) | instid1(VALU_DEP_3)
	v_lshlrev_b16 v200, 8, v198
	v_and_b32_e32 v198, 0x1f00, v198
	v_add_nc_u16 v199, 0xf000, v199
	s_delay_alu instid0(VALU_DEP_3) | instskip(NEXT) | instid1(VALU_DEP_3)
	v_add_nc_u16 v200, 0xf000, v200
	v_add_nc_u16 v198, 0xf000, v198
	s_delay_alu instid0(VALU_DEP_3) | instskip(SKIP_1) | instid1(VALU_DEP_3)
	v_lshrrev_b32_e32 v29, 8, v199
	v_bfe_i32 v199, v199, 0, 8
	v_lshrrev_b32_e32 v198, 8, v198
	s_delay_alu instid0(VALU_DEP_3) | instskip(NEXT) | instid1(VALU_DEP_3)
	v_bfe_i32 v29, v29, 0, 8
	v_cvt_f16_i16_e64 v199, v199
	s_delay_alu instid0(VALU_DEP_3) | instskip(NEXT) | instid1(VALU_DEP_3)
	v_bfe_i32 v198, v198, 0, 8
	v_cvt_f16_i16_e32 v29, v29
	s_delay_alu instid0(VALU_DEP_2) | instskip(NEXT) | instid1(VALU_DEP_2)
	v_cvt_f16_i16_e64 v198, v198
	v_pack_b32_f16 v29, v199, v29
	v_ashrrev_i16 v199, 8, v200
	s_delay_alu instid0(VALU_DEP_2) | instskip(NEXT) | instid1(VALU_DEP_2)
	v_pk_mul_f16 v29, v29, v28
	v_cvt_f16_i16_e64 v199, v199
	s_delay_alu instid0(VALU_DEP_2) | instskip(NEXT) | instid1(VALU_DEP_2)
	v_pk_fma_f16 v203, v29, v205, v203
	v_pack_b32_f16 v198, v199, v198
	s_delay_alu instid0(VALU_DEP_1) | instskip(NEXT) | instid1(VALU_DEP_1)
	v_pk_mul_f16 v28, v198, v28
	v_pk_fma_f16 v204, v28, v205, v204
	v_add_nc_u64_e32 v[28:29], s[14:15], v[96:97]
	v_mul_u32_u24_e32 v205, 0x10001, v206
	s_delay_alu instid0(VALU_DEP_2) | instskip(SKIP_1) | instid1(VALU_DEP_2)
	v_add_nc_u64_e32 v[198:199], v[28:29], v[168:169]
	v_add_nc_u64_e32 v[28:29], v[28:29], v[166:167]
	;; [unrolled: 1-line block ×3, first 2 shown]
	s_clause 0x2
	global_load_b32 v200, v[200:201], off offset:6
	global_load_b32 v201, v[198:199], off offset:2
	global_load_u16 v198, v[198:199], off
	s_wait_loadcnt 0x1
	v_dual_lshrrev_b32 v206, v188, v201 :: v_dual_lshrrev_b32 v209, v193, v201
	v_ashrrev_i32_e32 v200, v192, v200
	s_wait_loadcnt 0x0
	v_mul_u32_u24_e32 v198, 0x10001, v198
	s_delay_alu instid0(VALU_DEP_3) | instskip(NEXT) | instid1(VALU_DEP_3)
	v_dual_lshlrev_b32 v206, 4, v206 :: v_dual_lshlrev_b32 v209, 12, v209
	v_and_b32_e32 v200, 0xf0f0f0f, v200
	s_delay_alu instid0(VALU_DEP_2) | instskip(NEXT) | instid1(VALU_DEP_3)
	v_and_b32_e32 v206, 16, v206
	v_and_b32_e32 v209, 0x1000, v209
	s_delay_alu instid0(VALU_DEP_1) | instskip(SKIP_1) | instid1(VALU_DEP_1)
	v_or3_b32 v206, v206, v200, v209
	v_dual_lshrrev_b32 v209, v194, v201 :: v_dual_lshrrev_b32 v201, v195, v201
	v_lshlrev_b32_e32 v209, 20, v209
	s_delay_alu instid0(VALU_DEP_2) | instskip(NEXT) | instid1(VALU_DEP_2)
	v_lshlrev_b32_e32 v201, 28, v201
	v_and_b32_e32 v209, 0x100000, v209
	s_delay_alu instid0(VALU_DEP_2) | instskip(NEXT) | instid1(VALU_DEP_1)
	v_and_b32_e32 v201, 0x10000000, v201
	v_or3_b32 v200, v200, v209, v201
	v_lshlrev_b16 v201, 8, v206
	s_delay_alu instid0(VALU_DEP_2) | instskip(NEXT) | instid1(VALU_DEP_2)
	v_lshrrev_b32_e32 v200, 16, v200
	v_add_nc_u16 v201, 0xf000, v201
	s_delay_alu instid0(VALU_DEP_1) | instskip(NEXT) | instid1(VALU_DEP_1)
	v_lshrrev_b16 v201, 8, v201
	v_bitop3_b16 v201, v206, v201, 0x1f00 bitop3:0xec
	s_delay_alu instid0(VALU_DEP_4) | instskip(SKIP_1) | instid1(VALU_DEP_3)
	v_lshlrev_b16 v206, 8, v200
	v_and_b32_e32 v200, 0x1f00, v200
	v_add_nc_u16 v201, 0xf000, v201
	s_delay_alu instid0(VALU_DEP_3) | instskip(NEXT) | instid1(VALU_DEP_3)
	v_add_nc_u16 v206, 0xf000, v206
	v_add_nc_u16 v200, 0xf000, v200
	s_delay_alu instid0(VALU_DEP_3) | instskip(SKIP_1) | instid1(VALU_DEP_3)
	v_lshrrev_b32_e32 v199, 8, v201
	v_bfe_i32 v201, v201, 0, 8
	v_lshrrev_b32_e32 v200, 8, v200
	s_delay_alu instid0(VALU_DEP_3) | instskip(NEXT) | instid1(VALU_DEP_3)
	v_bfe_i32 v199, v199, 0, 8
	v_cvt_f16_i16_e64 v201, v201
	s_delay_alu instid0(VALU_DEP_3) | instskip(NEXT) | instid1(VALU_DEP_3)
	v_bfe_i32 v200, v200, 0, 8
	v_cvt_f16_i16_e64 v199, v199
	s_delay_alu instid0(VALU_DEP_2) | instskip(NEXT) | instid1(VALU_DEP_2)
	v_cvt_f16_i16_e64 v200, v200
	v_pack_b32_f16 v199, v201, v199
	v_ashrrev_i16 v201, 8, v206
	s_delay_alu instid0(VALU_DEP_2) | instskip(NEXT) | instid1(VALU_DEP_2)
	v_pk_mul_f16 v199, v199, v198
	v_cvt_f16_i16_e64 v201, v201
	s_delay_alu instid0(VALU_DEP_2) | instskip(NEXT) | instid1(VALU_DEP_2)
	v_pk_fma_f16 v197, v199, v205, v197
	v_pack_b32_f16 v200, v201, v200
	s_delay_alu instid0(VALU_DEP_1) | instskip(NEXT) | instid1(VALU_DEP_1)
	v_pk_mul_f16 v198, v200, v198
	v_pk_fma_f16 v202, v198, v205, v202
	v_add_nc_u64_e32 v[198:199], v[28:29], v[112:113]
	s_clause 0x2
	global_load_b32 v198, v[198:199], off offset:6
	global_load_b32 v199, v[28:29], off offset:2
	global_load_u16 v28, v[28:29], off
	s_wait_loadcnt 0x2
	v_ashrrev_i32_e32 v198, v192, v198
	s_wait_loadcnt 0x1
	v_dual_lshrrev_b32 v200, v188, v199 :: v_dual_lshrrev_b32 v201, v193, v199
	s_wait_loadcnt 0x0
	v_mul_u32_u24_e32 v28, 0x10001, v28
	v_and_b32_e32 v198, 0xf0f0f0f, v198
	s_delay_alu instid0(VALU_DEP_3) | instskip(NEXT) | instid1(VALU_DEP_1)
	v_dual_lshlrev_b32 v200, 4, v200 :: v_dual_lshlrev_b32 v201, 12, v201
	v_and_b32_e32 v200, 16, v200
	s_delay_alu instid0(VALU_DEP_2) | instskip(NEXT) | instid1(VALU_DEP_1)
	v_and_b32_e32 v201, 0x1000, v201
	v_or3_b32 v200, v200, v198, v201
	v_dual_lshrrev_b32 v201, v194, v199 :: v_dual_lshrrev_b32 v199, v195, v199
	s_delay_alu instid0(VALU_DEP_1) | instskip(NEXT) | instid1(VALU_DEP_1)
	v_dual_lshlrev_b32 v201, 20, v201 :: v_dual_lshlrev_b32 v199, 28, v199
	v_and_b32_e32 v201, 0x100000, v201
	s_delay_alu instid0(VALU_DEP_2) | instskip(NEXT) | instid1(VALU_DEP_1)
	v_and_b32_e32 v199, 0x10000000, v199
	v_or3_b32 v198, v198, v201, v199
	v_lshlrev_b16 v199, 8, v200
	s_delay_alu instid0(VALU_DEP_2) | instskip(NEXT) | instid1(VALU_DEP_2)
	v_lshrrev_b32_e32 v198, 16, v198
	v_add_nc_u16 v199, 0xf000, v199
	s_delay_alu instid0(VALU_DEP_1) | instskip(NEXT) | instid1(VALU_DEP_1)
	v_lshrrev_b16 v199, 8, v199
	v_bitop3_b16 v199, v200, v199, 0x1f00 bitop3:0xec
	s_delay_alu instid0(VALU_DEP_4) | instskip(SKIP_1) | instid1(VALU_DEP_3)
	v_lshlrev_b16 v200, 8, v198
	v_and_b32_e32 v198, 0x1f00, v198
	v_add_nc_u16 v199, 0xf000, v199
	s_delay_alu instid0(VALU_DEP_3) | instskip(NEXT) | instid1(VALU_DEP_3)
	v_add_nc_u16 v200, 0xf000, v200
	v_add_nc_u16 v198, 0xf000, v198
	s_delay_alu instid0(VALU_DEP_3) | instskip(SKIP_1) | instid1(VALU_DEP_3)
	v_lshrrev_b32_e32 v29, 8, v199
	v_bfe_i32 v199, v199, 0, 8
	v_lshrrev_b32_e32 v198, 8, v198
	s_delay_alu instid0(VALU_DEP_3) | instskip(NEXT) | instid1(VALU_DEP_3)
	v_bfe_i32 v29, v29, 0, 8
	v_cvt_f16_i16_e64 v199, v199
	s_delay_alu instid0(VALU_DEP_3) | instskip(NEXT) | instid1(VALU_DEP_3)
	v_bfe_i32 v198, v198, 0, 8
	v_cvt_f16_i16_e32 v29, v29
	s_delay_alu instid0(VALU_DEP_2) | instskip(NEXT) | instid1(VALU_DEP_2)
	v_cvt_f16_i16_e64 v198, v198
	v_pack_b32_f16 v29, v199, v29
	v_ashrrev_i16 v199, 8, v200
	s_delay_alu instid0(VALU_DEP_2) | instskip(NEXT) | instid1(VALU_DEP_2)
	v_pk_mul_f16 v29, v29, v28
	v_cvt_f16_i16_e64 v199, v199
	s_delay_alu instid0(VALU_DEP_2) | instskip(NEXT) | instid1(VALU_DEP_2)
	v_pk_fma_f16 v203, v29, v205, v203
	v_pack_b32_f16 v198, v199, v198
	s_delay_alu instid0(VALU_DEP_1) | instskip(NEXT) | instid1(VALU_DEP_1)
	v_pk_mul_f16 v28, v198, v28
	v_pk_fma_f16 v204, v28, v205, v204
	v_and_b32_e32 v28, 0xffff, v30
	s_delay_alu instid0(VALU_DEP_1) | instskip(SKIP_1) | instid1(VALU_DEP_1)
	v_mul_u32_u24_e32 v30, 0x10001, v28
	v_add_nc_u64_e32 v[28:29], s[14:15], v[98:99]
	v_add_nc_u64_e32 v[198:199], v[28:29], v[168:169]
	;; [unrolled: 1-line block ×3, first 2 shown]
	s_delay_alu instid0(VALU_DEP_2)
	v_add_nc_u64_e32 v[200:201], v[198:199], v[84:85]
	s_clause 0x2
	global_load_b32 v200, v[200:201], off offset:6
	global_load_b32 v201, v[198:199], off offset:2
	global_load_u16 v198, v[198:199], off
	s_wait_loadcnt 0x1
	v_dual_lshrrev_b32 v205, v188, v201 :: v_dual_lshrrev_b32 v206, v193, v201
	v_ashrrev_i32_e32 v200, v192, v200
	s_wait_loadcnt 0x0
	v_mul_u32_u24_e32 v198, 0x10001, v198
	s_delay_alu instid0(VALU_DEP_3) | instskip(NEXT) | instid1(VALU_DEP_3)
	v_dual_lshlrev_b32 v205, 4, v205 :: v_dual_lshlrev_b32 v206, 12, v206
	v_and_b32_e32 v200, 0xf0f0f0f, v200
	s_delay_alu instid0(VALU_DEP_2) | instskip(NEXT) | instid1(VALU_DEP_3)
	v_and_b32_e32 v205, 16, v205
	v_and_b32_e32 v206, 0x1000, v206
	s_delay_alu instid0(VALU_DEP_1) | instskip(SKIP_1) | instid1(VALU_DEP_1)
	v_or3_b32 v205, v205, v200, v206
	v_dual_lshrrev_b32 v206, v194, v201 :: v_dual_lshrrev_b32 v201, v195, v201
	v_dual_lshlrev_b32 v206, 20, v206 :: v_dual_lshlrev_b32 v201, 28, v201
	s_delay_alu instid0(VALU_DEP_1) | instskip(NEXT) | instid1(VALU_DEP_2)
	v_and_b32_e32 v206, 0x100000, v206
	v_and_b32_e32 v201, 0x10000000, v201
	s_delay_alu instid0(VALU_DEP_1) | instskip(SKIP_1) | instid1(VALU_DEP_1)
	v_or3_b32 v200, v200, v206, v201
	v_lshlrev_b16 v201, 8, v205
	v_add_nc_u16 v201, 0xf000, v201
	s_delay_alu instid0(VALU_DEP_1) | instskip(NEXT) | instid1(VALU_DEP_1)
	v_lshrrev_b16 v201, 8, v201
	v_bitop3_b16 v201, v205, v201, 0x1f00 bitop3:0xec
	s_delay_alu instid0(VALU_DEP_1) | instskip(NEXT) | instid1(VALU_DEP_1)
	v_add_nc_u16 v201, 0xf000, v201
	v_dual_lshrrev_b32 v200, 16, v200 :: v_dual_lshrrev_b32 v199, 8, v201
	s_delay_alu instid0(VALU_DEP_1) | instskip(SKIP_2) | instid1(VALU_DEP_4)
	v_lshlrev_b16 v205, 8, v200
	v_and_b32_e32 v200, 0x1f00, v200
	v_bfe_i32 v201, v201, 0, 8
	v_bfe_i32 v199, v199, 0, 8
	s_delay_alu instid0(VALU_DEP_4) | instskip(NEXT) | instid1(VALU_DEP_4)
	v_add_nc_u16 v205, 0xf000, v205
	v_add_nc_u16 v200, 0xf000, v200
	s_delay_alu instid0(VALU_DEP_4) | instskip(NEXT) | instid1(VALU_DEP_4)
	v_cvt_f16_i16_e64 v201, v201
	v_cvt_f16_i16_e64 v199, v199
	s_delay_alu instid0(VALU_DEP_3) | instskip(NEXT) | instid1(VALU_DEP_2)
	v_lshrrev_b32_e32 v200, 8, v200
	v_pack_b32_f16 v199, v201, v199
	v_ashrrev_i16 v201, 8, v205
	s_delay_alu instid0(VALU_DEP_3) | instskip(NEXT) | instid1(VALU_DEP_3)
	v_bfe_i32 v200, v200, 0, 8
	v_pk_mul_f16 v199, v199, v198
	s_delay_alu instid0(VALU_DEP_3) | instskip(NEXT) | instid1(VALU_DEP_3)
	v_cvt_f16_i16_e64 v201, v201
	v_cvt_f16_i16_e64 v200, v200
	s_delay_alu instid0(VALU_DEP_3) | instskip(NEXT) | instid1(VALU_DEP_2)
	v_pk_fma_f16 v197, v199, v30, v197
	v_pack_b32_f16 v200, v201, v200
	s_delay_alu instid0(VALU_DEP_1) | instskip(NEXT) | instid1(VALU_DEP_1)
	v_pk_mul_f16 v198, v200, v198
	v_pk_fma_f16 v202, v198, v30, v202
	v_add_nc_u64_e32 v[198:199], v[28:29], v[112:113]
	s_clause 0x2
	global_load_b32 v198, v[198:199], off offset:6
	global_load_b32 v199, v[28:29], off offset:2
	global_load_u16 v28, v[28:29], off
	s_wait_loadcnt 0x2
	v_ashrrev_i32_e32 v198, v192, v198
	s_wait_loadcnt 0x1
	v_dual_lshrrev_b32 v200, v188, v199 :: v_dual_lshrrev_b32 v201, v193, v199
	s_wait_loadcnt 0x0
	v_mul_u32_u24_e32 v28, 0x10001, v28
	v_and_b32_e32 v198, 0xf0f0f0f, v198
	s_delay_alu instid0(VALU_DEP_3) | instskip(NEXT) | instid1(VALU_DEP_1)
	v_dual_lshlrev_b32 v200, 4, v200 :: v_dual_lshlrev_b32 v201, 12, v201
	v_and_b32_e32 v200, 16, v200
	s_delay_alu instid0(VALU_DEP_2) | instskip(NEXT) | instid1(VALU_DEP_1)
	v_and_b32_e32 v201, 0x1000, v201
	v_or3_b32 v200, v200, v198, v201
	v_dual_lshrrev_b32 v201, v194, v199 :: v_dual_lshrrev_b32 v199, v195, v199
	s_delay_alu instid0(VALU_DEP_1) | instskip(NEXT) | instid1(VALU_DEP_1)
	v_dual_lshlrev_b32 v201, 20, v201 :: v_dual_lshlrev_b32 v199, 28, v199
	v_and_b32_e32 v201, 0x100000, v201
	s_delay_alu instid0(VALU_DEP_2) | instskip(NEXT) | instid1(VALU_DEP_1)
	v_and_b32_e32 v199, 0x10000000, v199
	v_or3_b32 v198, v198, v201, v199
	v_lshlrev_b16 v199, 8, v200
	s_delay_alu instid0(VALU_DEP_2) | instskip(NEXT) | instid1(VALU_DEP_2)
	v_lshrrev_b32_e32 v198, 16, v198
	v_add_nc_u16 v199, 0xf000, v199
	s_delay_alu instid0(VALU_DEP_1) | instskip(NEXT) | instid1(VALU_DEP_1)
	v_lshrrev_b16 v199, 8, v199
	v_bitop3_b16 v199, v200, v199, 0x1f00 bitop3:0xec
	s_delay_alu instid0(VALU_DEP_4) | instskip(SKIP_1) | instid1(VALU_DEP_3)
	v_lshlrev_b16 v200, 8, v198
	v_and_b32_e32 v198, 0x1f00, v198
	v_add_nc_u16 v199, 0xf000, v199
	s_delay_alu instid0(VALU_DEP_3) | instskip(NEXT) | instid1(VALU_DEP_3)
	v_add_nc_u16 v200, 0xf000, v200
	v_add_nc_u16 v198, 0xf000, v198
	s_delay_alu instid0(VALU_DEP_3) | instskip(SKIP_1) | instid1(VALU_DEP_3)
	v_lshrrev_b32_e32 v29, 8, v199
	v_bfe_i32 v199, v199, 0, 8
	v_lshrrev_b32_e32 v198, 8, v198
	s_delay_alu instid0(VALU_DEP_3) | instskip(NEXT) | instid1(VALU_DEP_3)
	v_bfe_i32 v29, v29, 0, 8
	v_cvt_f16_i16_e64 v199, v199
	s_delay_alu instid0(VALU_DEP_3) | instskip(NEXT) | instid1(VALU_DEP_3)
	v_bfe_i32 v198, v198, 0, 8
	v_cvt_f16_i16_e32 v29, v29
	s_delay_alu instid0(VALU_DEP_2) | instskip(NEXT) | instid1(VALU_DEP_2)
	v_cvt_f16_i16_e64 v198, v198
	v_pack_b32_f16 v29, v199, v29
	v_ashrrev_i16 v199, 8, v200
	s_delay_alu instid0(VALU_DEP_2) | instskip(NEXT) | instid1(VALU_DEP_2)
	v_pk_mul_f16 v29, v29, v28
	v_cvt_f16_i16_e64 v199, v199
	s_delay_alu instid0(VALU_DEP_2) | instskip(NEXT) | instid1(VALU_DEP_2)
	v_pk_fma_f16 v203, v29, v30, v203
	v_pack_b32_f16 v198, v199, v198
	s_delay_alu instid0(VALU_DEP_1) | instskip(NEXT) | instid1(VALU_DEP_1)
	v_pk_mul_f16 v28, v198, v28
	v_pk_fma_f16 v30, v28, v30, v204
	v_add_nc_u64_e32 v[28:29], s[14:15], v[100:101]
	v_mul_u32_u24_e32 v204, 0x10001, v207
	s_delay_alu instid0(VALU_DEP_2) | instskip(SKIP_1) | instid1(VALU_DEP_2)
	v_add_nc_u64_e32 v[198:199], v[28:29], v[168:169]
	v_add_nc_u64_e32 v[28:29], v[28:29], v[166:167]
	;; [unrolled: 1-line block ×3, first 2 shown]
	s_clause 0x2
	global_load_b32 v200, v[200:201], off offset:6
	global_load_b32 v201, v[198:199], off offset:2
	global_load_u16 v198, v[198:199], off
	s_wait_loadcnt 0x1
	v_dual_lshrrev_b32 v205, v188, v201 :: v_dual_lshrrev_b32 v206, v193, v201
	v_ashrrev_i32_e32 v200, v192, v200
	s_wait_loadcnt 0x0
	v_mul_u32_u24_e32 v198, 0x10001, v198
	s_delay_alu instid0(VALU_DEP_3) | instskip(NEXT) | instid1(VALU_DEP_3)
	v_dual_lshlrev_b32 v205, 4, v205 :: v_dual_lshlrev_b32 v206, 12, v206
	v_and_b32_e32 v200, 0xf0f0f0f, v200
	s_delay_alu instid0(VALU_DEP_2) | instskip(NEXT) | instid1(VALU_DEP_3)
	v_and_b32_e32 v205, 16, v205
	v_and_b32_e32 v206, 0x1000, v206
	s_delay_alu instid0(VALU_DEP_1) | instskip(SKIP_1) | instid1(VALU_DEP_1)
	v_or3_b32 v205, v205, v200, v206
	v_dual_lshrrev_b32 v206, v194, v201 :: v_dual_lshrrev_b32 v201, v195, v201
	v_dual_lshlrev_b32 v206, 20, v206 :: v_dual_lshlrev_b32 v201, 28, v201
	s_delay_alu instid0(VALU_DEP_1) | instskip(NEXT) | instid1(VALU_DEP_2)
	v_and_b32_e32 v206, 0x100000, v206
	v_and_b32_e32 v201, 0x10000000, v201
	s_delay_alu instid0(VALU_DEP_1) | instskip(SKIP_3) | instid1(VALU_DEP_2)
	v_or3_b32 v200, v200, v206, v201
	v_lshlrev_b16 v201, 8, v205
	s_wait_dscnt 0x2
	v_lshrrev_b32_e32 v206, 16, v26
	v_add_nc_u16 v201, 0xf000, v201
	s_delay_alu instid0(VALU_DEP_1) | instskip(NEXT) | instid1(VALU_DEP_1)
	v_lshrrev_b16 v201, 8, v201
	v_bitop3_b16 v201, v205, v201, 0x1f00 bitop3:0xec
	s_delay_alu instid0(VALU_DEP_1) | instskip(NEXT) | instid1(VALU_DEP_1)
	v_add_nc_u16 v201, 0xf000, v201
	v_dual_lshrrev_b32 v200, 16, v200 :: v_dual_lshrrev_b32 v199, 8, v201
	s_delay_alu instid0(VALU_DEP_1) | instskip(SKIP_2) | instid1(VALU_DEP_4)
	v_lshlrev_b16 v205, 8, v200
	v_and_b32_e32 v200, 0x1f00, v200
	v_bfe_i32 v201, v201, 0, 8
	v_bfe_i32 v199, v199, 0, 8
	s_delay_alu instid0(VALU_DEP_4) | instskip(NEXT) | instid1(VALU_DEP_4)
	v_add_nc_u16 v205, 0xf000, v205
	v_add_nc_u16 v200, 0xf000, v200
	s_delay_alu instid0(VALU_DEP_4) | instskip(NEXT) | instid1(VALU_DEP_4)
	v_cvt_f16_i16_e64 v201, v201
	v_cvt_f16_i16_e64 v199, v199
	s_delay_alu instid0(VALU_DEP_3) | instskip(NEXT) | instid1(VALU_DEP_2)
	v_lshrrev_b32_e32 v200, 8, v200
	v_pack_b32_f16 v199, v201, v199
	v_ashrrev_i16 v201, 8, v205
	s_delay_alu instid0(VALU_DEP_3) | instskip(NEXT) | instid1(VALU_DEP_3)
	v_bfe_i32 v200, v200, 0, 8
	v_pk_mul_f16 v199, v199, v198
	s_delay_alu instid0(VALU_DEP_3) | instskip(NEXT) | instid1(VALU_DEP_3)
	v_cvt_f16_i16_e64 v201, v201
	v_cvt_f16_i16_e64 v200, v200
	s_delay_alu instid0(VALU_DEP_3) | instskip(NEXT) | instid1(VALU_DEP_2)
	v_pk_fma_f16 v197, v199, v204, v197
	v_pack_b32_f16 v200, v201, v200
	s_delay_alu instid0(VALU_DEP_1) | instskip(NEXT) | instid1(VALU_DEP_1)
	v_pk_mul_f16 v198, v200, v198
	v_pk_fma_f16 v200, v198, v204, v202
	v_add_nc_u64_e32 v[198:199], v[28:29], v[112:113]
	s_clause 0x2
	global_load_b32 v198, v[198:199], off offset:6
	global_load_b32 v199, v[28:29], off offset:2
	global_load_u16 v28, v[28:29], off
	s_wait_loadcnt 0x2
	v_ashrrev_i32_e32 v198, v192, v198
	s_wait_loadcnt 0x1
	v_dual_lshrrev_b32 v201, v188, v199 :: v_dual_lshrrev_b32 v202, v193, v199
	s_wait_loadcnt 0x0
	v_mul_u32_u24_e32 v28, 0x10001, v28
	v_and_b32_e32 v198, 0xf0f0f0f, v198
	s_delay_alu instid0(VALU_DEP_3) | instskip(NEXT) | instid1(VALU_DEP_1)
	v_dual_lshlrev_b32 v201, 4, v201 :: v_dual_lshlrev_b32 v202, 12, v202
	v_and_b32_e32 v201, 16, v201
	s_delay_alu instid0(VALU_DEP_2) | instskip(NEXT) | instid1(VALU_DEP_1)
	v_and_b32_e32 v202, 0x1000, v202
	v_or3_b32 v201, v201, v198, v202
	v_dual_lshrrev_b32 v202, v194, v199 :: v_dual_lshrrev_b32 v199, v195, v199
	s_delay_alu instid0(VALU_DEP_1) | instskip(NEXT) | instid1(VALU_DEP_1)
	v_dual_lshlrev_b32 v202, 20, v202 :: v_dual_lshlrev_b32 v199, 28, v199
	v_and_b32_e32 v202, 0x100000, v202
	s_delay_alu instid0(VALU_DEP_2) | instskip(NEXT) | instid1(VALU_DEP_1)
	v_and_b32_e32 v199, 0x10000000, v199
	v_or3_b32 v198, v198, v202, v199
	v_lshlrev_b16 v199, 8, v201
	s_delay_alu instid0(VALU_DEP_2) | instskip(NEXT) | instid1(VALU_DEP_2)
	v_lshrrev_b32_e32 v198, 16, v198
	v_add_nc_u16 v199, 0xf000, v199
	s_delay_alu instid0(VALU_DEP_1) | instskip(NEXT) | instid1(VALU_DEP_1)
	v_lshrrev_b16 v199, 8, v199
	v_bitop3_b16 v199, v201, v199, 0x1f00 bitop3:0xec
	s_delay_alu instid0(VALU_DEP_4) | instskip(SKIP_1) | instid1(VALU_DEP_3)
	v_lshlrev_b16 v201, 8, v198
	v_and_b32_e32 v198, 0x1f00, v198
	v_add_nc_u16 v199, 0xf000, v199
	s_delay_alu instid0(VALU_DEP_3) | instskip(NEXT) | instid1(VALU_DEP_3)
	v_add_nc_u16 v201, 0xf000, v201
	v_add_nc_u16 v198, 0xf000, v198
	s_delay_alu instid0(VALU_DEP_3) | instskip(SKIP_1) | instid1(VALU_DEP_3)
	v_lshrrev_b32_e32 v29, 8, v199
	v_bfe_i32 v199, v199, 0, 8
	v_lshrrev_b32_e32 v198, 8, v198
	s_delay_alu instid0(VALU_DEP_3) | instskip(NEXT) | instid1(VALU_DEP_3)
	v_bfe_i32 v29, v29, 0, 8
	v_cvt_f16_i16_e64 v199, v199
	s_delay_alu instid0(VALU_DEP_3) | instskip(NEXT) | instid1(VALU_DEP_3)
	v_bfe_i32 v198, v198, 0, 8
	v_cvt_f16_i16_e32 v29, v29
	s_delay_alu instid0(VALU_DEP_2) | instskip(NEXT) | instid1(VALU_DEP_2)
	v_cvt_f16_i16_e64 v198, v198
	v_pack_b32_f16 v29, v199, v29
	v_ashrrev_i16 v199, 8, v201
	s_delay_alu instid0(VALU_DEP_2) | instskip(NEXT) | instid1(VALU_DEP_2)
	v_pk_mul_f16 v29, v29, v28
	v_cvt_f16_i16_e64 v199, v199
	s_delay_alu instid0(VALU_DEP_2) | instskip(NEXT) | instid1(VALU_DEP_2)
	v_pk_fma_f16 v201, v29, v204, v203
	v_pack_b32_f16 v198, v199, v198
	s_delay_alu instid0(VALU_DEP_1) | instskip(NEXT) | instid1(VALU_DEP_1)
	v_pk_mul_f16 v28, v198, v28
	v_pk_fma_f16 v202, v28, v204, v30
	v_and_b32_e32 v28, 0xffff, v31
	s_delay_alu instid0(VALU_DEP_1) | instskip(SKIP_1) | instid1(VALU_DEP_1)
	v_mul_u32_u24_e32 v203, 0x10001, v28
	v_add_nc_u64_e32 v[28:29], s[14:15], v[104:105]
	v_add_nc_u64_e32 v[30:31], v[28:29], v[168:169]
	;; [unrolled: 1-line block ×3, first 2 shown]
	s_delay_alu instid0(VALU_DEP_2)
	v_add_nc_u64_e32 v[198:199], v[30:31], v[84:85]
	s_clause 0x2
	global_load_b32 v198, v[198:199], off offset:6
	global_load_b32 v199, v[30:31], off offset:2
	global_load_u16 v30, v[30:31], off
	s_wait_loadcnt 0x1
	v_dual_lshrrev_b32 v204, v188, v199 :: v_dual_lshrrev_b32 v205, v193, v199
	v_ashrrev_i32_e32 v198, v192, v198
	s_wait_loadcnt 0x0
	v_mul_u32_u24_e32 v30, 0x10001, v30
	s_delay_alu instid0(VALU_DEP_3) | instskip(NEXT) | instid1(VALU_DEP_3)
	v_dual_lshlrev_b32 v204, 4, v204 :: v_dual_lshlrev_b32 v205, 12, v205
	v_and_b32_e32 v198, 0xf0f0f0f, v198
	s_delay_alu instid0(VALU_DEP_2) | instskip(NEXT) | instid1(VALU_DEP_3)
	v_and_b32_e32 v204, 16, v204
	v_and_b32_e32 v205, 0x1000, v205
	s_delay_alu instid0(VALU_DEP_1) | instskip(SKIP_1) | instid1(VALU_DEP_1)
	v_or3_b32 v204, v204, v198, v205
	v_dual_lshrrev_b32 v205, v194, v199 :: v_dual_lshrrev_b32 v199, v195, v199
	v_dual_lshlrev_b32 v205, 20, v205 :: v_dual_lshlrev_b32 v199, 28, v199
	s_delay_alu instid0(VALU_DEP_1) | instskip(NEXT) | instid1(VALU_DEP_2)
	v_and_b32_e32 v205, 0x100000, v205
	v_and_b32_e32 v199, 0x10000000, v199
	s_delay_alu instid0(VALU_DEP_1) | instskip(SKIP_1) | instid1(VALU_DEP_1)
	v_or3_b32 v198, v198, v205, v199
	v_lshlrev_b16 v199, 8, v204
	v_add_nc_u16 v199, 0xf000, v199
	s_delay_alu instid0(VALU_DEP_1) | instskip(NEXT) | instid1(VALU_DEP_1)
	v_lshrrev_b16 v199, 8, v199
	v_bitop3_b16 v199, v204, v199, 0x1f00 bitop3:0xec
	s_delay_alu instid0(VALU_DEP_1) | instskip(NEXT) | instid1(VALU_DEP_1)
	v_add_nc_u16 v199, 0xf000, v199
	v_dual_lshrrev_b32 v198, 16, v198 :: v_dual_lshrrev_b32 v31, 8, v199
	s_delay_alu instid0(VALU_DEP_1) | instskip(SKIP_2) | instid1(VALU_DEP_4)
	v_lshlrev_b16 v204, 8, v198
	v_and_b32_e32 v198, 0x1f00, v198
	v_bfe_i32 v199, v199, 0, 8
	v_bfe_i32 v31, v31, 0, 8
	s_delay_alu instid0(VALU_DEP_4) | instskip(NEXT) | instid1(VALU_DEP_4)
	v_add_nc_u16 v204, 0xf000, v204
	v_add_nc_u16 v198, 0xf000, v198
	s_delay_alu instid0(VALU_DEP_4) | instskip(NEXT) | instid1(VALU_DEP_4)
	v_cvt_f16_i16_e64 v199, v199
	v_cvt_f16_i16_e32 v31, v31
	s_delay_alu instid0(VALU_DEP_3) | instskip(NEXT) | instid1(VALU_DEP_2)
	v_lshrrev_b32_e32 v198, 8, v198
	v_pack_b32_f16 v31, v199, v31
	v_ashrrev_i16 v199, 8, v204
	s_delay_alu instid0(VALU_DEP_3) | instskip(NEXT) | instid1(VALU_DEP_3)
	v_bfe_i32 v198, v198, 0, 8
	v_pk_mul_f16 v31, v31, v30
	s_delay_alu instid0(VALU_DEP_3) | instskip(NEXT) | instid1(VALU_DEP_3)
	v_cvt_f16_i16_e64 v199, v199
	v_cvt_f16_i16_e64 v198, v198
	s_delay_alu instid0(VALU_DEP_3) | instskip(NEXT) | instid1(VALU_DEP_2)
	v_pk_fma_f16 v197, v31, v203, v197
	v_pack_b32_f16 v198, v199, v198
	s_delay_alu instid0(VALU_DEP_1) | instskip(NEXT) | instid1(VALU_DEP_1)
	v_pk_mul_f16 v30, v198, v30
	v_pk_fma_f16 v200, v30, v203, v200
	v_add_nc_u64_e32 v[30:31], v[28:29], v[112:113]
	s_clause 0x2
	global_load_b32 v30, v[30:31], off offset:6
	global_load_b32 v31, v[28:29], off offset:2
	global_load_u16 v28, v[28:29], off
	s_wait_loadcnt 0x1
	v_dual_lshrrev_b32 v198, v188, v31 :: v_dual_lshrrev_b32 v199, v193, v31
	v_ashrrev_i32_e32 v30, v192, v30
	s_wait_loadcnt 0x0
	v_mul_u32_u24_e32 v28, 0x10001, v28
	s_delay_alu instid0(VALU_DEP_3) | instskip(NEXT) | instid1(VALU_DEP_3)
	v_dual_lshlrev_b32 v198, 4, v198 :: v_dual_lshlrev_b32 v199, 12, v199
	v_and_b32_e32 v30, 0xf0f0f0f, v30
	s_delay_alu instid0(VALU_DEP_2) | instskip(NEXT) | instid1(VALU_DEP_3)
	v_and_b32_e32 v198, 16, v198
	v_and_b32_e32 v199, 0x1000, v199
	s_delay_alu instid0(VALU_DEP_1) | instskip(SKIP_1) | instid1(VALU_DEP_1)
	v_or3_b32 v198, v198, v30, v199
	v_dual_lshrrev_b32 v199, v194, v31 :: v_dual_lshrrev_b32 v31, v195, v31
	v_lshlrev_b32_e32 v199, 20, v199
	s_delay_alu instid0(VALU_DEP_2) | instskip(NEXT) | instid1(VALU_DEP_2)
	v_lshlrev_b32_e32 v31, 28, v31
	v_and_b32_e32 v199, 0x100000, v199
	s_delay_alu instid0(VALU_DEP_2) | instskip(NEXT) | instid1(VALU_DEP_1)
	v_and_b32_e32 v31, 0x10000000, v31
	v_or3_b32 v30, v30, v199, v31
	v_lshlrev_b16 v31, 8, v198
	s_delay_alu instid0(VALU_DEP_2) | instskip(NEXT) | instid1(VALU_DEP_2)
	v_lshrrev_b32_e32 v30, 16, v30
	v_add_nc_u16 v31, 0xf000, v31
	s_delay_alu instid0(VALU_DEP_1) | instskip(NEXT) | instid1(VALU_DEP_1)
	v_lshrrev_b16 v31, 8, v31
	v_bitop3_b16 v31, v198, v31, 0x1f00 bitop3:0xec
	s_delay_alu instid0(VALU_DEP_4) | instskip(SKIP_1) | instid1(VALU_DEP_3)
	v_lshlrev_b16 v198, 8, v30
	v_and_b32_e32 v30, 0x1f00, v30
	v_add_nc_u16 v31, 0xf000, v31
	s_delay_alu instid0(VALU_DEP_3) | instskip(NEXT) | instid1(VALU_DEP_3)
	v_add_nc_u16 v198, 0xf000, v198
	v_add_nc_u16 v30, 0xf000, v30
	s_delay_alu instid0(VALU_DEP_3) | instskip(SKIP_1) | instid1(VALU_DEP_3)
	v_lshrrev_b32_e32 v29, 8, v31
	v_bfe_i32 v31, v31, 0, 8
	v_lshrrev_b32_e32 v30, 8, v30
	s_delay_alu instid0(VALU_DEP_3) | instskip(NEXT) | instid1(VALU_DEP_3)
	v_bfe_i32 v29, v29, 0, 8
	v_cvt_f16_i16_e32 v31, v31
	s_delay_alu instid0(VALU_DEP_3) | instskip(NEXT) | instid1(VALU_DEP_3)
	v_bfe_i32 v30, v30, 0, 8
	v_cvt_f16_i16_e32 v29, v29
	s_delay_alu instid0(VALU_DEP_2) | instskip(NEXT) | instid1(VALU_DEP_2)
	v_cvt_f16_i16_e32 v30, v30
	v_pack_b32_f16 v29, v31, v29
	v_ashrrev_i16 v31, 8, v198
	s_delay_alu instid0(VALU_DEP_2) | instskip(NEXT) | instid1(VALU_DEP_2)
	v_pk_mul_f16 v29, v29, v28
	v_cvt_f16_i16_e32 v31, v31
	s_delay_alu instid0(VALU_DEP_2) | instskip(NEXT) | instid1(VALU_DEP_2)
	v_pk_fma_f16 v201, v29, v203, v201
	v_pack_b32_f16 v30, v31, v30
	s_delay_alu instid0(VALU_DEP_1) | instskip(NEXT) | instid1(VALU_DEP_1)
	v_pk_mul_f16 v28, v30, v28
	v_pk_fma_f16 v202, v28, v203, v202
	v_add_nc_u64_e32 v[28:29], s[14:15], v[106:107]
	v_mul_u32_u24_e32 v203, 0x10001, v208
	s_delay_alu instid0(VALU_DEP_2) | instskip(SKIP_1) | instid1(VALU_DEP_2)
	v_add_nc_u64_e32 v[30:31], v[28:29], v[168:169]
	v_add_nc_u64_e32 v[28:29], v[28:29], v[166:167]
	;; [unrolled: 1-line block ×3, first 2 shown]
	s_clause 0x2
	global_load_b32 v198, v[198:199], off offset:6
	global_load_b32 v199, v[30:31], off offset:2
	global_load_u16 v30, v[30:31], off
	s_wait_loadcnt 0x1
	v_dual_lshrrev_b32 v204, v188, v199 :: v_dual_lshrrev_b32 v205, v193, v199
	v_ashrrev_i32_e32 v198, v192, v198
	s_wait_loadcnt 0x0
	v_mul_u32_u24_e32 v30, 0x10001, v30
	s_delay_alu instid0(VALU_DEP_3) | instskip(NEXT) | instid1(VALU_DEP_3)
	v_dual_lshlrev_b32 v204, 4, v204 :: v_dual_lshlrev_b32 v205, 12, v205
	v_and_b32_e32 v198, 0xf0f0f0f, v198
	s_delay_alu instid0(VALU_DEP_2) | instskip(NEXT) | instid1(VALU_DEP_3)
	v_and_b32_e32 v204, 16, v204
	v_and_b32_e32 v205, 0x1000, v205
	s_delay_alu instid0(VALU_DEP_1) | instskip(SKIP_1) | instid1(VALU_DEP_1)
	v_or3_b32 v204, v204, v198, v205
	v_dual_lshrrev_b32 v205, v194, v199 :: v_dual_lshrrev_b32 v199, v195, v199
	v_dual_lshlrev_b32 v205, 20, v205 :: v_dual_lshlrev_b32 v199, 28, v199
	s_delay_alu instid0(VALU_DEP_1) | instskip(NEXT) | instid1(VALU_DEP_2)
	v_and_b32_e32 v205, 0x100000, v205
	v_and_b32_e32 v199, 0x10000000, v199
	s_delay_alu instid0(VALU_DEP_1) | instskip(SKIP_2) | instid1(VALU_DEP_2)
	v_or3_b32 v198, v198, v205, v199
	v_lshlrev_b16 v199, 8, v204
	v_lshrrev_b32_e32 v205, 16, v25
	v_add_nc_u16 v199, 0xf000, v199
	s_delay_alu instid0(VALU_DEP_1) | instskip(NEXT) | instid1(VALU_DEP_1)
	v_lshrrev_b16 v199, 8, v199
	v_bitop3_b16 v199, v204, v199, 0x1f00 bitop3:0xec
	s_delay_alu instid0(VALU_DEP_1) | instskip(NEXT) | instid1(VALU_DEP_1)
	v_add_nc_u16 v199, 0xf000, v199
	v_dual_lshrrev_b32 v198, 16, v198 :: v_dual_lshrrev_b32 v31, 8, v199
	s_delay_alu instid0(VALU_DEP_1) | instskip(SKIP_2) | instid1(VALU_DEP_4)
	v_lshlrev_b16 v204, 8, v198
	v_and_b32_e32 v198, 0x1f00, v198
	v_bfe_i32 v199, v199, 0, 8
	v_bfe_i32 v31, v31, 0, 8
	s_delay_alu instid0(VALU_DEP_4) | instskip(NEXT) | instid1(VALU_DEP_4)
	v_add_nc_u16 v204, 0xf000, v204
	v_add_nc_u16 v198, 0xf000, v198
	s_delay_alu instid0(VALU_DEP_4) | instskip(NEXT) | instid1(VALU_DEP_4)
	v_cvt_f16_i16_e64 v199, v199
	v_cvt_f16_i16_e32 v31, v31
	s_delay_alu instid0(VALU_DEP_3) | instskip(NEXT) | instid1(VALU_DEP_2)
	v_lshrrev_b32_e32 v198, 8, v198
	v_pack_b32_f16 v31, v199, v31
	v_ashrrev_i16 v199, 8, v204
	s_delay_alu instid0(VALU_DEP_3) | instskip(NEXT) | instid1(VALU_DEP_3)
	v_bfe_i32 v198, v198, 0, 8
	v_pk_mul_f16 v31, v31, v30
	s_delay_alu instid0(VALU_DEP_3) | instskip(NEXT) | instid1(VALU_DEP_3)
	v_cvt_f16_i16_e64 v199, v199
	v_cvt_f16_i16_e64 v198, v198
	s_delay_alu instid0(VALU_DEP_3) | instskip(NEXT) | instid1(VALU_DEP_2)
	v_pk_fma_f16 v197, v31, v203, v197
	v_pack_b32_f16 v198, v199, v198
	s_delay_alu instid0(VALU_DEP_1) | instskip(NEXT) | instid1(VALU_DEP_1)
	v_pk_mul_f16 v30, v198, v30
	v_pk_fma_f16 v204, v30, v203, v200
	v_add_nc_u64_e32 v[30:31], v[28:29], v[112:113]
	s_clause 0x2
	global_load_b32 v30, v[30:31], off offset:6
	global_load_b32 v31, v[28:29], off offset:2
	global_load_u16 v28, v[28:29], off
	s_wait_loadcnt 0x1
	v_dual_lshrrev_b32 v198, v188, v31 :: v_dual_lshrrev_b32 v199, v193, v31
	v_ashrrev_i32_e32 v30, v192, v30
	s_wait_loadcnt 0x0
	v_mul_u32_u24_e32 v28, 0x10001, v28
	s_delay_alu instid0(VALU_DEP_3) | instskip(NEXT) | instid1(VALU_DEP_3)
	v_dual_lshlrev_b32 v198, 4, v198 :: v_dual_lshlrev_b32 v199, 12, v199
	v_and_b32_e32 v30, 0xf0f0f0f, v30
	s_delay_alu instid0(VALU_DEP_2) | instskip(NEXT) | instid1(VALU_DEP_3)
	v_and_b32_e32 v198, 16, v198
	v_and_b32_e32 v199, 0x1000, v199
	s_delay_alu instid0(VALU_DEP_1) | instskip(SKIP_1) | instid1(VALU_DEP_1)
	v_or3_b32 v198, v198, v30, v199
	v_dual_lshrrev_b32 v199, v194, v31 :: v_dual_lshrrev_b32 v31, v195, v31
	v_lshlrev_b32_e32 v199, 20, v199
	s_delay_alu instid0(VALU_DEP_2) | instskip(NEXT) | instid1(VALU_DEP_2)
	v_lshlrev_b32_e32 v31, 28, v31
	v_and_b32_e32 v199, 0x100000, v199
	s_delay_alu instid0(VALU_DEP_2) | instskip(NEXT) | instid1(VALU_DEP_1)
	v_and_b32_e32 v31, 0x10000000, v31
	v_or3_b32 v30, v30, v199, v31
	v_lshlrev_b16 v31, 8, v198
	s_delay_alu instid0(VALU_DEP_2) | instskip(NEXT) | instid1(VALU_DEP_2)
	v_lshrrev_b32_e32 v30, 16, v30
	v_add_nc_u16 v31, 0xf000, v31
	s_delay_alu instid0(VALU_DEP_1) | instskip(NEXT) | instid1(VALU_DEP_1)
	v_lshrrev_b16 v31, 8, v31
	v_bitop3_b16 v31, v198, v31, 0x1f00 bitop3:0xec
	s_delay_alu instid0(VALU_DEP_4) | instskip(SKIP_1) | instid1(VALU_DEP_3)
	v_lshlrev_b16 v198, 8, v30
	v_and_b32_e32 v30, 0x1f00, v30
	v_add_nc_u16 v31, 0xf000, v31
	s_delay_alu instid0(VALU_DEP_3) | instskip(NEXT) | instid1(VALU_DEP_3)
	v_add_nc_u16 v198, 0xf000, v198
	v_add_nc_u16 v30, 0xf000, v30
	s_delay_alu instid0(VALU_DEP_3) | instskip(SKIP_1) | instid1(VALU_DEP_3)
	v_lshrrev_b32_e32 v29, 8, v31
	v_bfe_i32 v31, v31, 0, 8
	v_lshrrev_b32_e32 v30, 8, v30
	s_delay_alu instid0(VALU_DEP_3) | instskip(NEXT) | instid1(VALU_DEP_3)
	v_bfe_i32 v29, v29, 0, 8
	v_cvt_f16_i16_e32 v31, v31
	s_delay_alu instid0(VALU_DEP_3) | instskip(NEXT) | instid1(VALU_DEP_3)
	v_bfe_i32 v30, v30, 0, 8
	v_cvt_f16_i16_e32 v29, v29
	s_delay_alu instid0(VALU_DEP_2) | instskip(NEXT) | instid1(VALU_DEP_2)
	v_cvt_f16_i16_e32 v30, v30
	v_pack_b32_f16 v29, v31, v29
	v_ashrrev_i16 v31, 8, v198
	s_delay_alu instid0(VALU_DEP_2) | instskip(NEXT) | instid1(VALU_DEP_2)
	v_pk_mul_f16 v29, v29, v28
	v_cvt_f16_i16_e32 v31, v31
	s_delay_alu instid0(VALU_DEP_2) | instskip(NEXT) | instid1(VALU_DEP_2)
	v_pk_fma_f16 v29, v29, v203, v201
	v_pack_b32_f16 v30, v31, v30
	s_delay_alu instid0(VALU_DEP_1) | instskip(SKIP_1) | instid1(VALU_DEP_2)
	v_pk_mul_f16 v28, v30, v28
	v_add_nc_u64_e32 v[30:31], s[14:15], v[108:109]
	v_pk_fma_f16 v202, v28, v203, v202
	v_lshrrev_b32_e32 v203, 16, v24
	v_and_b32_e32 v24, 0xffff, v24
	s_delay_alu instid0(VALU_DEP_4) | instskip(SKIP_2) | instid1(VALU_DEP_4)
	v_add_nc_u64_e32 v[198:199], v[30:31], v[168:169]
	v_add_nc_u64_e32 v[30:31], v[30:31], v[166:167]
	v_lshrrev_b32_e32 v28, 16, v27
	v_mul_u32_u24_e32 v24, 0x10001, v24
	s_delay_alu instid0(VALU_DEP_4)
	v_add_nc_u64_e32 v[200:201], v[198:199], v[84:85]
	s_clause 0x2
	global_load_b32 v200, v[200:201], off offset:6
	global_load_b32 v201, v[198:199], off offset:2
	global_load_u16 v198, v[198:199], off
	s_wait_loadcnt 0x1
	v_dual_lshrrev_b32 v207, v188, v201 :: v_dual_lshrrev_b32 v208, v193, v201
	v_ashrrev_i32_e32 v200, v192, v200
	s_wait_loadcnt 0x0
	v_mul_u32_u24_e32 v198, 0x10001, v198
	s_delay_alu instid0(VALU_DEP_3) | instskip(NEXT) | instid1(VALU_DEP_3)
	v_dual_lshlrev_b32 v207, 4, v207 :: v_dual_lshlrev_b32 v208, 12, v208
	v_and_b32_e32 v200, 0xf0f0f0f, v200
	s_delay_alu instid0(VALU_DEP_2) | instskip(NEXT) | instid1(VALU_DEP_3)
	v_and_b32_e32 v207, 16, v207
	v_and_b32_e32 v208, 0x1000, v208
	s_delay_alu instid0(VALU_DEP_1) | instskip(SKIP_1) | instid1(VALU_DEP_1)
	v_or3_b32 v207, v207, v200, v208
	v_dual_lshrrev_b32 v208, v194, v201 :: v_dual_lshrrev_b32 v201, v195, v201
	v_dual_lshlrev_b32 v208, 20, v208 :: v_dual_lshlrev_b32 v201, 28, v201
	s_delay_alu instid0(VALU_DEP_1) | instskip(NEXT) | instid1(VALU_DEP_2)
	v_and_b32_e32 v208, 0x100000, v208
	v_and_b32_e32 v201, 0x10000000, v201
	s_delay_alu instid0(VALU_DEP_1) | instskip(SKIP_1) | instid1(VALU_DEP_1)
	v_or3_b32 v200, v200, v208, v201
	v_lshlrev_b16 v201, 8, v207
	v_add_nc_u16 v201, 0xf000, v201
	s_delay_alu instid0(VALU_DEP_1) | instskip(NEXT) | instid1(VALU_DEP_1)
	v_lshrrev_b16 v201, 8, v201
	v_bitop3_b16 v201, v207, v201, 0x1f00 bitop3:0xec
	s_delay_alu instid0(VALU_DEP_1) | instskip(NEXT) | instid1(VALU_DEP_1)
	v_add_nc_u16 v201, 0xf000, v201
	v_dual_lshrrev_b32 v200, 16, v200 :: v_dual_lshrrev_b32 v199, 8, v201
	s_delay_alu instid0(VALU_DEP_1) | instskip(SKIP_2) | instid1(VALU_DEP_4)
	v_lshlrev_b16 v207, 8, v200
	v_and_b32_e32 v200, 0x1f00, v200
	v_bfe_i32 v201, v201, 0, 8
	v_bfe_i32 v199, v199, 0, 8
	s_delay_alu instid0(VALU_DEP_4) | instskip(NEXT) | instid1(VALU_DEP_4)
	v_add_nc_u16 v207, 0xf000, v207
	v_add_nc_u16 v200, 0xf000, v200
	s_delay_alu instid0(VALU_DEP_4) | instskip(NEXT) | instid1(VALU_DEP_4)
	v_cvt_f16_i16_e64 v201, v201
	v_cvt_f16_i16_e64 v199, v199
	s_delay_alu instid0(VALU_DEP_3) | instskip(NEXT) | instid1(VALU_DEP_2)
	v_lshrrev_b32_e32 v200, 8, v200
	v_pack_b32_f16 v199, v201, v199
	v_ashrrev_i16 v201, 8, v207
	s_delay_alu instid0(VALU_DEP_3) | instskip(NEXT) | instid1(VALU_DEP_3)
	v_bfe_i32 v200, v200, 0, 8
	v_pk_mul_f16 v199, v199, v198
	s_delay_alu instid0(VALU_DEP_3) | instskip(NEXT) | instid1(VALU_DEP_3)
	v_cvt_f16_i16_e64 v201, v201
	v_cvt_f16_i16_e64 v200, v200
	s_delay_alu instid0(VALU_DEP_3) | instskip(NEXT) | instid1(VALU_DEP_2)
	v_pk_fma_f16 v197, v199, v24, v197
	v_pack_b32_f16 v200, v201, v200
	s_delay_alu instid0(VALU_DEP_1) | instskip(NEXT) | instid1(VALU_DEP_1)
	v_pk_mul_f16 v198, v200, v198
	v_pk_fma_f16 v204, v198, v24, v204
	v_add_nc_u64_e32 v[198:199], v[30:31], v[112:113]
	s_clause 0x2
	global_load_b32 v198, v[198:199], off offset:6
	global_load_b32 v199, v[30:31], off offset:2
	global_load_u16 v30, v[30:31], off
	s_wait_loadcnt 0x2
	v_ashrrev_i32_e32 v198, v192, v198
	s_wait_loadcnt 0x1
	v_dual_lshrrev_b32 v200, v188, v199 :: v_dual_lshrrev_b32 v201, v193, v199
	s_wait_loadcnt 0x0
	v_mul_u32_u24_e32 v30, 0x10001, v30
	v_and_b32_e32 v198, 0xf0f0f0f, v198
	s_delay_alu instid0(VALU_DEP_3) | instskip(NEXT) | instid1(VALU_DEP_1)
	v_dual_lshlrev_b32 v200, 4, v200 :: v_dual_lshlrev_b32 v201, 12, v201
	v_and_b32_e32 v200, 16, v200
	s_delay_alu instid0(VALU_DEP_2) | instskip(NEXT) | instid1(VALU_DEP_1)
	v_and_b32_e32 v201, 0x1000, v201
	v_or3_b32 v200, v200, v198, v201
	v_dual_lshrrev_b32 v201, v194, v199 :: v_dual_lshrrev_b32 v199, v195, v199
	s_delay_alu instid0(VALU_DEP_1) | instskip(NEXT) | instid1(VALU_DEP_1)
	v_dual_lshlrev_b32 v201, 20, v201 :: v_dual_lshlrev_b32 v199, 28, v199
	v_and_b32_e32 v201, 0x100000, v201
	s_delay_alu instid0(VALU_DEP_2) | instskip(NEXT) | instid1(VALU_DEP_1)
	v_and_b32_e32 v199, 0x10000000, v199
	v_or3_b32 v198, v198, v201, v199
	v_lshlrev_b16 v199, 8, v200
	s_delay_alu instid0(VALU_DEP_2) | instskip(NEXT) | instid1(VALU_DEP_2)
	v_lshrrev_b32_e32 v198, 16, v198
	v_add_nc_u16 v199, 0xf000, v199
	s_delay_alu instid0(VALU_DEP_1) | instskip(NEXT) | instid1(VALU_DEP_1)
	v_lshrrev_b16 v199, 8, v199
	v_bitop3_b16 v199, v200, v199, 0x1f00 bitop3:0xec
	s_delay_alu instid0(VALU_DEP_4) | instskip(SKIP_1) | instid1(VALU_DEP_3)
	v_lshlrev_b16 v200, 8, v198
	v_and_b32_e32 v198, 0x1f00, v198
	v_add_nc_u16 v199, 0xf000, v199
	s_delay_alu instid0(VALU_DEP_3) | instskip(NEXT) | instid1(VALU_DEP_3)
	v_add_nc_u16 v200, 0xf000, v200
	v_add_nc_u16 v198, 0xf000, v198
	s_delay_alu instid0(VALU_DEP_3) | instskip(SKIP_1) | instid1(VALU_DEP_3)
	v_lshrrev_b32_e32 v31, 8, v199
	v_bfe_i32 v199, v199, 0, 8
	v_lshrrev_b32_e32 v198, 8, v198
	s_delay_alu instid0(VALU_DEP_3) | instskip(NEXT) | instid1(VALU_DEP_3)
	v_bfe_i32 v31, v31, 0, 8
	v_cvt_f16_i16_e64 v199, v199
	s_delay_alu instid0(VALU_DEP_3) | instskip(NEXT) | instid1(VALU_DEP_3)
	v_bfe_i32 v198, v198, 0, 8
	v_cvt_f16_i16_e32 v31, v31
	s_delay_alu instid0(VALU_DEP_2) | instskip(NEXT) | instid1(VALU_DEP_2)
	v_cvt_f16_i16_e64 v198, v198
	v_pack_b32_f16 v31, v199, v31
	v_ashrrev_i16 v199, 8, v200
	s_delay_alu instid0(VALU_DEP_2) | instskip(NEXT) | instid1(VALU_DEP_2)
	v_pk_mul_f16 v31, v31, v30
	v_cvt_f16_i16_e64 v199, v199
	s_delay_alu instid0(VALU_DEP_2) | instskip(NEXT) | instid1(VALU_DEP_2)
	v_pk_fma_f16 v29, v31, v24, v29
	v_pack_b32_f16 v198, v199, v198
	s_delay_alu instid0(VALU_DEP_1) | instskip(NEXT) | instid1(VALU_DEP_1)
	v_pk_mul_f16 v30, v198, v30
	v_pk_fma_f16 v24, v30, v24, v202
	v_add_nc_u64_e32 v[30:31], s[14:15], v[110:111]
	v_mul_u32_u24_e32 v202, 0x10001, v203
	s_delay_alu instid0(VALU_DEP_2) | instskip(SKIP_1) | instid1(VALU_DEP_2)
	v_add_nc_u64_e32 v[198:199], v[30:31], v[168:169]
	v_add_nc_u64_e32 v[30:31], v[30:31], v[166:167]
	;; [unrolled: 1-line block ×3, first 2 shown]
	s_clause 0x2
	global_load_b32 v200, v[200:201], off offset:6
	global_load_b32 v201, v[198:199], off offset:2
	global_load_u16 v198, v[198:199], off
	s_wait_loadcnt 0x1
	v_dual_lshrrev_b32 v203, v188, v201 :: v_dual_lshrrev_b32 v207, v193, v201
	v_ashrrev_i32_e32 v200, v192, v200
	s_wait_loadcnt 0x0
	v_mul_u32_u24_e32 v198, 0x10001, v198
	s_delay_alu instid0(VALU_DEP_3) | instskip(SKIP_2) | instid1(VALU_DEP_3)
	v_lshlrev_b32_e32 v203, 4, v203
	v_lshlrev_b32_e32 v207, 12, v207
	v_and_b32_e32 v200, 0xf0f0f0f, v200
	v_and_b32_e32 v203, 16, v203
	s_delay_alu instid0(VALU_DEP_3) | instskip(NEXT) | instid1(VALU_DEP_1)
	v_and_b32_e32 v207, 0x1000, v207
	v_or3_b32 v203, v203, v200, v207
	v_dual_lshrrev_b32 v207, v194, v201 :: v_dual_lshrrev_b32 v201, v195, v201
	s_delay_alu instid0(VALU_DEP_1) | instskip(NEXT) | instid1(VALU_DEP_1)
	v_dual_lshlrev_b32 v207, 20, v207 :: v_dual_lshlrev_b32 v201, 28, v201
	v_and_b32_e32 v207, 0x100000, v207
	s_delay_alu instid0(VALU_DEP_2) | instskip(NEXT) | instid1(VALU_DEP_1)
	v_and_b32_e32 v201, 0x10000000, v201
	v_or3_b32 v200, v200, v207, v201
	v_lshlrev_b16 v201, 8, v203
	s_delay_alu instid0(VALU_DEP_1) | instskip(NEXT) | instid1(VALU_DEP_1)
	v_add_nc_u16 v201, 0xf000, v201
	v_lshrrev_b16 v201, 8, v201
	s_delay_alu instid0(VALU_DEP_1) | instskip(NEXT) | instid1(VALU_DEP_1)
	v_bitop3_b16 v201, v203, v201, 0x1f00 bitop3:0xec
	v_add_nc_u16 v201, 0xf000, v201
	s_delay_alu instid0(VALU_DEP_1) | instskip(NEXT) | instid1(VALU_DEP_1)
	v_dual_lshrrev_b32 v200, 16, v200 :: v_dual_lshrrev_b32 v199, 8, v201
	v_lshlrev_b16 v203, 8, v200
	v_and_b32_e32 v200, 0x1f00, v200
	v_bfe_i32 v201, v201, 0, 8
	s_delay_alu instid0(VALU_DEP_4) | instskip(NEXT) | instid1(VALU_DEP_4)
	v_bfe_i32 v199, v199, 0, 8
	v_add_nc_u16 v203, 0xf000, v203
	s_delay_alu instid0(VALU_DEP_4) | instskip(NEXT) | instid1(VALU_DEP_4)
	v_add_nc_u16 v200, 0xf000, v200
	v_cvt_f16_i16_e64 v201, v201
	s_delay_alu instid0(VALU_DEP_4) | instskip(NEXT) | instid1(VALU_DEP_3)
	v_cvt_f16_i16_e64 v199, v199
	v_lshrrev_b32_e32 v200, 8, v200
	s_delay_alu instid0(VALU_DEP_2) | instskip(SKIP_1) | instid1(VALU_DEP_3)
	v_pack_b32_f16 v199, v201, v199
	v_ashrrev_i16 v201, 8, v203
	v_bfe_i32 v200, v200, 0, 8
	s_delay_alu instid0(VALU_DEP_3) | instskip(NEXT) | instid1(VALU_DEP_3)
	v_pk_mul_f16 v199, v199, v198
	v_cvt_f16_i16_e64 v201, v201
	s_delay_alu instid0(VALU_DEP_3) | instskip(NEXT) | instid1(VALU_DEP_3)
	v_cvt_f16_i16_e64 v200, v200
	v_pk_fma_f16 v197, v199, v202, v197
	s_delay_alu instid0(VALU_DEP_2) | instskip(NEXT) | instid1(VALU_DEP_1)
	v_pack_b32_f16 v200, v201, v200
	v_pk_mul_f16 v198, v200, v198
	s_delay_alu instid0(VALU_DEP_1)
	v_pk_fma_f16 v200, v198, v202, v204
	v_add_nc_u64_e32 v[198:199], v[30:31], v[112:113]
	s_clause 0x2
	global_load_b32 v198, v[198:199], off offset:6
	global_load_b32 v199, v[30:31], off offset:2
	global_load_u16 v30, v[30:31], off
	s_wait_loadcnt 0x2
	v_ashrrev_i32_e32 v198, v192, v198
	s_wait_loadcnt 0x1
	v_dual_lshrrev_b32 v201, v188, v199 :: v_dual_lshrrev_b32 v203, v193, v199
	s_wait_loadcnt 0x0
	v_mul_u32_u24_e32 v30, 0x10001, v30
	v_and_b32_e32 v198, 0xf0f0f0f, v198
	s_delay_alu instid0(VALU_DEP_3) | instskip(NEXT) | instid1(VALU_DEP_1)
	v_dual_lshlrev_b32 v201, 4, v201 :: v_dual_lshlrev_b32 v203, 12, v203
	v_and_b32_e32 v201, 16, v201
	s_delay_alu instid0(VALU_DEP_2) | instskip(NEXT) | instid1(VALU_DEP_1)
	v_and_b32_e32 v203, 0x1000, v203
	v_or3_b32 v201, v201, v198, v203
	v_dual_lshrrev_b32 v203, v194, v199 :: v_dual_lshrrev_b32 v199, v195, v199
	s_delay_alu instid0(VALU_DEP_1) | instskip(NEXT) | instid1(VALU_DEP_2)
	v_lshlrev_b32_e32 v203, 20, v203
	v_lshlrev_b32_e32 v199, 28, v199
	s_delay_alu instid0(VALU_DEP_2) | instskip(NEXT) | instid1(VALU_DEP_2)
	v_and_b32_e32 v203, 0x100000, v203
	v_and_b32_e32 v199, 0x10000000, v199
	s_delay_alu instid0(VALU_DEP_1) | instskip(SKIP_1) | instid1(VALU_DEP_2)
	v_or3_b32 v198, v198, v203, v199
	v_lshlrev_b16 v199, 8, v201
	v_lshrrev_b32_e32 v198, 16, v198
	s_delay_alu instid0(VALU_DEP_2) | instskip(NEXT) | instid1(VALU_DEP_1)
	v_add_nc_u16 v199, 0xf000, v199
	v_lshrrev_b16 v199, 8, v199
	s_delay_alu instid0(VALU_DEP_1) | instskip(NEXT) | instid1(VALU_DEP_4)
	v_bitop3_b16 v199, v201, v199, 0x1f00 bitop3:0xec
	v_lshlrev_b16 v201, 8, v198
	v_and_b32_e32 v198, 0x1f00, v198
	s_delay_alu instid0(VALU_DEP_3) | instskip(NEXT) | instid1(VALU_DEP_3)
	v_add_nc_u16 v199, 0xf000, v199
	v_add_nc_u16 v201, 0xf000, v201
	s_delay_alu instid0(VALU_DEP_3) | instskip(NEXT) | instid1(VALU_DEP_3)
	v_add_nc_u16 v198, 0xf000, v198
	v_lshrrev_b32_e32 v31, 8, v199
	v_bfe_i32 v199, v199, 0, 8
	s_delay_alu instid0(VALU_DEP_3) | instskip(NEXT) | instid1(VALU_DEP_3)
	v_lshrrev_b32_e32 v198, 8, v198
	v_bfe_i32 v31, v31, 0, 8
	s_delay_alu instid0(VALU_DEP_3) | instskip(NEXT) | instid1(VALU_DEP_3)
	v_cvt_f16_i16_e64 v199, v199
	v_bfe_i32 v198, v198, 0, 8
	s_delay_alu instid0(VALU_DEP_3) | instskip(NEXT) | instid1(VALU_DEP_2)
	v_cvt_f16_i16_e32 v31, v31
	v_cvt_f16_i16_e64 v198, v198
	s_delay_alu instid0(VALU_DEP_2) | instskip(SKIP_1) | instid1(VALU_DEP_2)
	v_pack_b32_f16 v31, v199, v31
	v_ashrrev_i16 v199, 8, v201
	v_pk_mul_f16 v31, v31, v30
	s_delay_alu instid0(VALU_DEP_2) | instskip(NEXT) | instid1(VALU_DEP_2)
	v_cvt_f16_i16_e64 v199, v199
	v_pk_fma_f16 v29, v31, v202, v29
	s_delay_alu instid0(VALU_DEP_2) | instskip(NEXT) | instid1(VALU_DEP_1)
	v_pack_b32_f16 v198, v199, v198
	v_pk_mul_f16 v30, v198, v30
	s_delay_alu instid0(VALU_DEP_1) | instskip(SKIP_1) | instid1(VALU_DEP_1)
	v_pk_fma_f16 v201, v30, v202, v24
	v_and_b32_e32 v24, 0xffff, v25
	v_mul_u32_u24_e32 v202, 0x10001, v24
	v_add_nc_u64_e32 v[24:25], s[14:15], v[114:115]
	s_delay_alu instid0(VALU_DEP_1) | instskip(SKIP_1) | instid1(VALU_DEP_2)
	v_add_nc_u64_e32 v[30:31], v[24:25], v[168:169]
	v_add_nc_u64_e32 v[24:25], v[24:25], v[166:167]
	;; [unrolled: 1-line block ×3, first 2 shown]
	s_clause 0x2
	global_load_b32 v198, v[198:199], off offset:6
	global_load_b32 v199, v[30:31], off offset:2
	global_load_u16 v30, v[30:31], off
	s_wait_loadcnt 0x2
	v_ashrrev_i32_e32 v198, v192, v198
	s_wait_loadcnt 0x1
	v_dual_lshrrev_b32 v203, v188, v199 :: v_dual_lshrrev_b32 v204, v193, v199
	s_wait_loadcnt 0x0
	v_mul_u32_u24_e32 v30, 0x10001, v30
	v_and_b32_e32 v198, 0xf0f0f0f, v198
	s_delay_alu instid0(VALU_DEP_3) | instskip(NEXT) | instid1(VALU_DEP_1)
	v_dual_lshlrev_b32 v203, 4, v203 :: v_dual_lshlrev_b32 v204, 12, v204
	v_and_b32_e32 v203, 16, v203
	s_delay_alu instid0(VALU_DEP_2) | instskip(NEXT) | instid1(VALU_DEP_1)
	v_and_b32_e32 v204, 0x1000, v204
	v_or3_b32 v203, v203, v198, v204
	v_dual_lshrrev_b32 v204, v194, v199 :: v_dual_lshrrev_b32 v199, v195, v199
	s_delay_alu instid0(VALU_DEP_1) | instskip(NEXT) | instid1(VALU_DEP_1)
	v_dual_lshlrev_b32 v199, 28, v199 :: v_dual_lshlrev_b32 v204, 20, v204
	v_and_b32_e32 v199, 0x10000000, v199
	s_delay_alu instid0(VALU_DEP_2) | instskip(NEXT) | instid1(VALU_DEP_1)
	v_and_b32_e32 v204, 0x100000, v204
	v_or3_b32 v198, v198, v204, v199
	v_lshlrev_b16 v199, 8, v203
	s_delay_alu instid0(VALU_DEP_1) | instskip(NEXT) | instid1(VALU_DEP_1)
	v_add_nc_u16 v199, 0xf000, v199
	v_lshrrev_b16 v199, 8, v199
	s_delay_alu instid0(VALU_DEP_1) | instskip(NEXT) | instid1(VALU_DEP_1)
	v_bitop3_b16 v199, v203, v199, 0x1f00 bitop3:0xec
	v_add_nc_u16 v199, 0xf000, v199
	s_delay_alu instid0(VALU_DEP_1) | instskip(NEXT) | instid1(VALU_DEP_1)
	v_dual_lshrrev_b32 v198, 16, v198 :: v_dual_lshrrev_b32 v31, 8, v199
	v_lshlrev_b16 v203, 8, v198
	v_and_b32_e32 v198, 0x1f00, v198
	v_bfe_i32 v199, v199, 0, 8
	s_delay_alu instid0(VALU_DEP_4) | instskip(NEXT) | instid1(VALU_DEP_4)
	v_bfe_i32 v31, v31, 0, 8
	v_add_nc_u16 v203, 0xf000, v203
	s_delay_alu instid0(VALU_DEP_4) | instskip(NEXT) | instid1(VALU_DEP_4)
	v_add_nc_u16 v198, 0xf000, v198
	v_cvt_f16_i16_e64 v199, v199
	s_delay_alu instid0(VALU_DEP_4) | instskip(NEXT) | instid1(VALU_DEP_3)
	v_cvt_f16_i16_e32 v31, v31
	v_lshrrev_b32_e32 v198, 8, v198
	s_delay_alu instid0(VALU_DEP_2) | instskip(SKIP_1) | instid1(VALU_DEP_3)
	v_pack_b32_f16 v31, v199, v31
	v_ashrrev_i16 v199, 8, v203
	v_bfe_i32 v198, v198, 0, 8
	s_delay_alu instid0(VALU_DEP_3) | instskip(NEXT) | instid1(VALU_DEP_3)
	v_pk_mul_f16 v31, v31, v30
	v_cvt_f16_i16_e64 v199, v199
	s_delay_alu instid0(VALU_DEP_3) | instskip(NEXT) | instid1(VALU_DEP_3)
	v_cvt_f16_i16_e64 v198, v198
	v_pk_fma_f16 v197, v31, v202, v197
	s_delay_alu instid0(VALU_DEP_2) | instskip(NEXT) | instid1(VALU_DEP_1)
	v_pack_b32_f16 v198, v199, v198
	v_pk_mul_f16 v30, v198, v30
	s_delay_alu instid0(VALU_DEP_1)
	v_pk_fma_f16 v200, v30, v202, v200
	v_add_nc_u64_e32 v[30:31], v[24:25], v[112:113]
	s_clause 0x2
	global_load_b32 v30, v[30:31], off offset:6
	global_load_b32 v31, v[24:25], off offset:2
	global_load_u16 v24, v[24:25], off
	s_wait_loadcnt 0x1
	v_dual_lshrrev_b32 v198, v188, v31 :: v_dual_lshrrev_b32 v199, v193, v31
	v_ashrrev_i32_e32 v30, v192, v30
	s_wait_loadcnt 0x0
	v_mul_u32_u24_e32 v24, 0x10001, v24
	s_delay_alu instid0(VALU_DEP_3) | instskip(NEXT) | instid1(VALU_DEP_3)
	v_dual_lshlrev_b32 v198, 4, v198 :: v_dual_lshlrev_b32 v199, 12, v199
	v_and_b32_e32 v30, 0xf0f0f0f, v30
	s_delay_alu instid0(VALU_DEP_2) | instskip(NEXT) | instid1(VALU_DEP_3)
	v_and_b32_e32 v198, 16, v198
	v_and_b32_e32 v199, 0x1000, v199
	s_delay_alu instid0(VALU_DEP_1) | instskip(SKIP_1) | instid1(VALU_DEP_1)
	v_or3_b32 v198, v198, v30, v199
	v_dual_lshrrev_b32 v199, v194, v31 :: v_dual_lshrrev_b32 v31, v195, v31
	v_lshlrev_b32_e32 v199, 20, v199
	s_delay_alu instid0(VALU_DEP_2) | instskip(NEXT) | instid1(VALU_DEP_2)
	v_lshlrev_b32_e32 v31, 28, v31
	v_and_b32_e32 v199, 0x100000, v199
	s_delay_alu instid0(VALU_DEP_2) | instskip(NEXT) | instid1(VALU_DEP_1)
	v_and_b32_e32 v31, 0x10000000, v31
	v_or3_b32 v30, v30, v199, v31
	v_lshlrev_b16 v31, 8, v198
	s_delay_alu instid0(VALU_DEP_2) | instskip(NEXT) | instid1(VALU_DEP_2)
	v_lshrrev_b32_e32 v30, 16, v30
	v_add_nc_u16 v31, 0xf000, v31
	s_delay_alu instid0(VALU_DEP_1) | instskip(NEXT) | instid1(VALU_DEP_1)
	v_lshrrev_b16 v31, 8, v31
	v_bitop3_b16 v31, v198, v31, 0x1f00 bitop3:0xec
	s_delay_alu instid0(VALU_DEP_4) | instskip(SKIP_1) | instid1(VALU_DEP_3)
	v_lshlrev_b16 v198, 8, v30
	v_and_b32_e32 v30, 0x1f00, v30
	v_add_nc_u16 v31, 0xf000, v31
	s_delay_alu instid0(VALU_DEP_3) | instskip(NEXT) | instid1(VALU_DEP_3)
	v_add_nc_u16 v198, 0xf000, v198
	v_add_nc_u16 v30, 0xf000, v30
	s_delay_alu instid0(VALU_DEP_3) | instskip(SKIP_1) | instid1(VALU_DEP_3)
	v_lshrrev_b32_e32 v25, 8, v31
	v_bfe_i32 v31, v31, 0, 8
	v_lshrrev_b32_e32 v30, 8, v30
	s_delay_alu instid0(VALU_DEP_3) | instskip(NEXT) | instid1(VALU_DEP_3)
	v_bfe_i32 v25, v25, 0, 8
	v_cvt_f16_i16_e32 v31, v31
	s_delay_alu instid0(VALU_DEP_3) | instskip(NEXT) | instid1(VALU_DEP_3)
	v_bfe_i32 v30, v30, 0, 8
	v_cvt_f16_i16_e32 v25, v25
	s_delay_alu instid0(VALU_DEP_2) | instskip(NEXT) | instid1(VALU_DEP_2)
	v_cvt_f16_i16_e32 v30, v30
	v_pack_b32_f16 v25, v31, v25
	v_ashrrev_i16 v31, 8, v198
	s_delay_alu instid0(VALU_DEP_2) | instskip(NEXT) | instid1(VALU_DEP_2)
	v_pk_mul_f16 v25, v25, v24
	v_cvt_f16_i16_e32 v31, v31
	s_delay_alu instid0(VALU_DEP_2) | instskip(NEXT) | instid1(VALU_DEP_2)
	v_pk_fma_f16 v29, v25, v202, v29
	v_pack_b32_f16 v30, v31, v30
	s_delay_alu instid0(VALU_DEP_1) | instskip(NEXT) | instid1(VALU_DEP_1)
	v_pk_mul_f16 v24, v30, v24
	v_pk_fma_f16 v201, v24, v202, v201
	v_add_nc_u64_e32 v[24:25], s[14:15], v[116:117]
	v_mul_u32_u24_e32 v202, 0x10001, v205
	s_delay_alu instid0(VALU_DEP_2) | instskip(SKIP_1) | instid1(VALU_DEP_2)
	v_add_nc_u64_e32 v[30:31], v[24:25], v[168:169]
	v_add_nc_u64_e32 v[24:25], v[24:25], v[166:167]
	;; [unrolled: 1-line block ×3, first 2 shown]
	s_clause 0x2
	global_load_b32 v198, v[198:199], off offset:6
	global_load_b32 v199, v[30:31], off offset:2
	global_load_u16 v30, v[30:31], off
	s_wait_loadcnt 0x1
	v_dual_lshrrev_b32 v203, v188, v199 :: v_dual_lshrrev_b32 v204, v193, v199
	v_ashrrev_i32_e32 v198, v192, v198
	s_wait_loadcnt 0x0
	v_mul_u32_u24_e32 v30, 0x10001, v30
	s_delay_alu instid0(VALU_DEP_3) | instskip(NEXT) | instid1(VALU_DEP_3)
	v_dual_lshlrev_b32 v203, 4, v203 :: v_dual_lshlrev_b32 v204, 12, v204
	v_and_b32_e32 v198, 0xf0f0f0f, v198
	s_delay_alu instid0(VALU_DEP_2) | instskip(NEXT) | instid1(VALU_DEP_3)
	v_and_b32_e32 v203, 16, v203
	v_and_b32_e32 v204, 0x1000, v204
	s_delay_alu instid0(VALU_DEP_1) | instskip(SKIP_1) | instid1(VALU_DEP_1)
	v_or3_b32 v203, v203, v198, v204
	v_dual_lshrrev_b32 v204, v194, v199 :: v_dual_lshrrev_b32 v199, v195, v199
	v_dual_lshlrev_b32 v204, 20, v204 :: v_dual_lshlrev_b32 v199, 28, v199
	s_delay_alu instid0(VALU_DEP_1) | instskip(NEXT) | instid1(VALU_DEP_2)
	v_and_b32_e32 v204, 0x100000, v204
	v_and_b32_e32 v199, 0x10000000, v199
	s_delay_alu instid0(VALU_DEP_1) | instskip(SKIP_1) | instid1(VALU_DEP_1)
	v_or3_b32 v198, v198, v204, v199
	v_lshlrev_b16 v199, 8, v203
	v_add_nc_u16 v199, 0xf000, v199
	s_delay_alu instid0(VALU_DEP_1) | instskip(NEXT) | instid1(VALU_DEP_1)
	v_lshrrev_b16 v199, 8, v199
	v_bitop3_b16 v199, v203, v199, 0x1f00 bitop3:0xec
	s_delay_alu instid0(VALU_DEP_1) | instskip(NEXT) | instid1(VALU_DEP_1)
	v_add_nc_u16 v199, 0xf000, v199
	v_dual_lshrrev_b32 v198, 16, v198 :: v_dual_lshrrev_b32 v31, 8, v199
	s_delay_alu instid0(VALU_DEP_1) | instskip(SKIP_2) | instid1(VALU_DEP_4)
	v_lshlrev_b16 v203, 8, v198
	v_and_b32_e32 v198, 0x1f00, v198
	v_bfe_i32 v199, v199, 0, 8
	v_bfe_i32 v31, v31, 0, 8
	s_delay_alu instid0(VALU_DEP_4) | instskip(NEXT) | instid1(VALU_DEP_4)
	v_add_nc_u16 v203, 0xf000, v203
	v_add_nc_u16 v198, 0xf000, v198
	s_delay_alu instid0(VALU_DEP_4) | instskip(NEXT) | instid1(VALU_DEP_4)
	v_cvt_f16_i16_e64 v199, v199
	v_cvt_f16_i16_e32 v31, v31
	s_delay_alu instid0(VALU_DEP_3) | instskip(NEXT) | instid1(VALU_DEP_2)
	v_lshrrev_b32_e32 v198, 8, v198
	v_pack_b32_f16 v31, v199, v31
	v_ashrrev_i16 v199, 8, v203
	s_delay_alu instid0(VALU_DEP_3) | instskip(NEXT) | instid1(VALU_DEP_3)
	v_bfe_i32 v198, v198, 0, 8
	v_pk_mul_f16 v31, v31, v30
	s_delay_alu instid0(VALU_DEP_3) | instskip(NEXT) | instid1(VALU_DEP_3)
	v_cvt_f16_i16_e64 v199, v199
	v_cvt_f16_i16_e64 v198, v198
	s_delay_alu instid0(VALU_DEP_3) | instskip(NEXT) | instid1(VALU_DEP_2)
	v_pk_fma_f16 v197, v31, v202, v197
	v_pack_b32_f16 v198, v199, v198
	s_delay_alu instid0(VALU_DEP_1) | instskip(NEXT) | instid1(VALU_DEP_1)
	v_pk_mul_f16 v30, v198, v30
	v_pk_fma_f16 v200, v30, v202, v200
	v_add_nc_u64_e32 v[30:31], v[24:25], v[112:113]
	s_clause 0x2
	global_load_b32 v30, v[30:31], off offset:6
	global_load_b32 v31, v[24:25], off offset:2
	global_load_u16 v24, v[24:25], off
	s_wait_loadcnt 0x1
	v_dual_lshrrev_b32 v198, v188, v31 :: v_dual_lshrrev_b32 v199, v193, v31
	v_ashrrev_i32_e32 v30, v192, v30
	s_wait_loadcnt 0x0
	v_mul_u32_u24_e32 v24, 0x10001, v24
	s_delay_alu instid0(VALU_DEP_3) | instskip(NEXT) | instid1(VALU_DEP_3)
	v_dual_lshlrev_b32 v198, 4, v198 :: v_dual_lshlrev_b32 v199, 12, v199
	v_and_b32_e32 v30, 0xf0f0f0f, v30
	s_delay_alu instid0(VALU_DEP_2) | instskip(NEXT) | instid1(VALU_DEP_3)
	v_and_b32_e32 v198, 16, v198
	v_and_b32_e32 v199, 0x1000, v199
	s_delay_alu instid0(VALU_DEP_1) | instskip(SKIP_1) | instid1(VALU_DEP_1)
	v_or3_b32 v198, v198, v30, v199
	v_dual_lshrrev_b32 v199, v194, v31 :: v_dual_lshrrev_b32 v31, v195, v31
	v_lshlrev_b32_e32 v199, 20, v199
	s_delay_alu instid0(VALU_DEP_2) | instskip(NEXT) | instid1(VALU_DEP_2)
	v_lshlrev_b32_e32 v31, 28, v31
	v_and_b32_e32 v199, 0x100000, v199
	s_delay_alu instid0(VALU_DEP_2) | instskip(NEXT) | instid1(VALU_DEP_1)
	v_and_b32_e32 v31, 0x10000000, v31
	v_or3_b32 v30, v30, v199, v31
	v_lshlrev_b16 v31, 8, v198
	s_delay_alu instid0(VALU_DEP_2) | instskip(NEXT) | instid1(VALU_DEP_2)
	v_lshrrev_b32_e32 v30, 16, v30
	v_add_nc_u16 v31, 0xf000, v31
	s_delay_alu instid0(VALU_DEP_1) | instskip(NEXT) | instid1(VALU_DEP_1)
	v_lshrrev_b16 v31, 8, v31
	v_bitop3_b16 v31, v198, v31, 0x1f00 bitop3:0xec
	s_delay_alu instid0(VALU_DEP_4) | instskip(SKIP_1) | instid1(VALU_DEP_3)
	v_lshlrev_b16 v198, 8, v30
	v_and_b32_e32 v30, 0x1f00, v30
	v_add_nc_u16 v31, 0xf000, v31
	s_delay_alu instid0(VALU_DEP_3) | instskip(NEXT) | instid1(VALU_DEP_3)
	v_add_nc_u16 v198, 0xf000, v198
	v_add_nc_u16 v30, 0xf000, v30
	s_delay_alu instid0(VALU_DEP_3) | instskip(SKIP_1) | instid1(VALU_DEP_3)
	v_lshrrev_b32_e32 v25, 8, v31
	v_bfe_i32 v31, v31, 0, 8
	v_lshrrev_b32_e32 v30, 8, v30
	s_delay_alu instid0(VALU_DEP_3) | instskip(NEXT) | instid1(VALU_DEP_3)
	v_bfe_i32 v25, v25, 0, 8
	v_cvt_f16_i16_e32 v31, v31
	s_delay_alu instid0(VALU_DEP_3) | instskip(NEXT) | instid1(VALU_DEP_3)
	v_bfe_i32 v30, v30, 0, 8
	v_cvt_f16_i16_e32 v25, v25
	s_delay_alu instid0(VALU_DEP_2) | instskip(NEXT) | instid1(VALU_DEP_2)
	v_cvt_f16_i16_e32 v30, v30
	v_pack_b32_f16 v25, v31, v25
	v_ashrrev_i16 v31, 8, v198
	s_delay_alu instid0(VALU_DEP_2) | instskip(NEXT) | instid1(VALU_DEP_2)
	v_pk_mul_f16 v25, v25, v24
	v_cvt_f16_i16_e32 v31, v31
	s_delay_alu instid0(VALU_DEP_2) | instskip(NEXT) | instid1(VALU_DEP_2)
	v_pk_fma_f16 v29, v25, v202, v29
	v_pack_b32_f16 v30, v31, v30
	s_delay_alu instid0(VALU_DEP_1) | instskip(NEXT) | instid1(VALU_DEP_1)
	v_pk_mul_f16 v24, v30, v24
	v_pk_fma_f16 v201, v24, v202, v201
	v_and_b32_e32 v24, 0xffff, v26
	s_delay_alu instid0(VALU_DEP_1) | instskip(SKIP_1) | instid1(VALU_DEP_1)
	v_mul_u32_u24_e32 v26, 0x10001, v24
	v_add_nc_u64_e32 v[24:25], s[14:15], v[118:119]
	v_add_nc_u64_e32 v[30:31], v[24:25], v[168:169]
	;; [unrolled: 1-line block ×3, first 2 shown]
	s_delay_alu instid0(VALU_DEP_2)
	v_add_nc_u64_e32 v[198:199], v[30:31], v[84:85]
	s_clause 0x2
	global_load_b32 v198, v[198:199], off offset:6
	global_load_b32 v199, v[30:31], off offset:2
	global_load_u16 v30, v[30:31], off
	s_wait_loadcnt 0x1
	v_dual_ashrrev_i32 v198, v192, v198 :: v_dual_lshrrev_b32 v203, v193, v199
	v_lshrrev_b32_e32 v202, v188, v199
	s_wait_loadcnt 0x0
	v_mul_u32_u24_e32 v30, 0x10001, v30
	s_delay_alu instid0(VALU_DEP_3) | instskip(NEXT) | instid1(VALU_DEP_3)
	v_and_b32_e32 v198, 0xf0f0f0f, v198
	v_dual_lshlrev_b32 v203, 12, v203 :: v_dual_lshlrev_b32 v202, 4, v202
	s_delay_alu instid0(VALU_DEP_1) | instskip(NEXT) | instid1(VALU_DEP_2)
	v_and_b32_e32 v203, 0x1000, v203
	v_and_b32_e32 v202, 16, v202
	s_delay_alu instid0(VALU_DEP_1) | instskip(SKIP_1) | instid1(VALU_DEP_1)
	v_or3_b32 v202, v202, v198, v203
	v_dual_lshrrev_b32 v203, v194, v199 :: v_dual_lshrrev_b32 v199, v195, v199
	v_lshlrev_b32_e32 v203, 20, v203
	s_delay_alu instid0(VALU_DEP_2) | instskip(NEXT) | instid1(VALU_DEP_2)
	v_lshlrev_b32_e32 v199, 28, v199
	v_and_b32_e32 v203, 0x100000, v203
	s_delay_alu instid0(VALU_DEP_2) | instskip(NEXT) | instid1(VALU_DEP_1)
	v_and_b32_e32 v199, 0x10000000, v199
	v_or3_b32 v198, v198, v203, v199
	v_lshlrev_b16 v199, 8, v202
	s_delay_alu instid0(VALU_DEP_2) | instskip(NEXT) | instid1(VALU_DEP_2)
	v_lshrrev_b32_e32 v198, 16, v198
	v_add_nc_u16 v199, 0xf000, v199
	s_delay_alu instid0(VALU_DEP_1) | instskip(NEXT) | instid1(VALU_DEP_1)
	v_lshrrev_b16 v199, 8, v199
	v_bitop3_b16 v199, v202, v199, 0x1f00 bitop3:0xec
	s_delay_alu instid0(VALU_DEP_4) | instskip(SKIP_1) | instid1(VALU_DEP_3)
	v_lshlrev_b16 v202, 8, v198
	v_and_b32_e32 v198, 0x1f00, v198
	v_add_nc_u16 v199, 0xf000, v199
	s_delay_alu instid0(VALU_DEP_3) | instskip(NEXT) | instid1(VALU_DEP_3)
	v_add_nc_u16 v202, 0xf000, v202
	v_add_nc_u16 v198, 0xf000, v198
	s_delay_alu instid0(VALU_DEP_3) | instskip(SKIP_1) | instid1(VALU_DEP_3)
	v_lshrrev_b32_e32 v31, 8, v199
	v_bfe_i32 v199, v199, 0, 8
	v_lshrrev_b32_e32 v198, 8, v198
	s_delay_alu instid0(VALU_DEP_3) | instskip(NEXT) | instid1(VALU_DEP_3)
	v_bfe_i32 v31, v31, 0, 8
	v_cvt_f16_i16_e64 v199, v199
	s_delay_alu instid0(VALU_DEP_3) | instskip(NEXT) | instid1(VALU_DEP_3)
	v_bfe_i32 v198, v198, 0, 8
	v_cvt_f16_i16_e32 v31, v31
	s_delay_alu instid0(VALU_DEP_2) | instskip(NEXT) | instid1(VALU_DEP_2)
	v_cvt_f16_i16_e64 v198, v198
	v_pack_b32_f16 v31, v199, v31
	v_ashrrev_i16 v199, 8, v202
	s_delay_alu instid0(VALU_DEP_2) | instskip(NEXT) | instid1(VALU_DEP_2)
	v_pk_mul_f16 v31, v31, v30
	v_cvt_f16_i16_e64 v199, v199
	s_delay_alu instid0(VALU_DEP_2) | instskip(NEXT) | instid1(VALU_DEP_2)
	v_pk_fma_f16 v197, v31, v26, v197
	v_pack_b32_f16 v198, v199, v198
	s_delay_alu instid0(VALU_DEP_1) | instskip(NEXT) | instid1(VALU_DEP_1)
	v_pk_mul_f16 v30, v198, v30
	v_pk_fma_f16 v200, v30, v26, v200
	v_add_nc_u64_e32 v[30:31], v[24:25], v[112:113]
	s_clause 0x2
	global_load_b32 v30, v[30:31], off offset:6
	global_load_b32 v31, v[24:25], off offset:2
	global_load_u16 v24, v[24:25], off
	s_wait_loadcnt 0x2
	v_ashrrev_i32_e32 v30, v192, v30
	s_wait_loadcnt 0x1
	v_dual_lshrrev_b32 v198, v188, v31 :: v_dual_lshrrev_b32 v199, v193, v31
	s_wait_loadcnt 0x0
	v_mul_u32_u24_e32 v24, 0x10001, v24
	v_and_b32_e32 v30, 0xf0f0f0f, v30
	s_delay_alu instid0(VALU_DEP_3) | instskip(NEXT) | instid1(VALU_DEP_1)
	v_dual_lshlrev_b32 v198, 4, v198 :: v_dual_lshlrev_b32 v199, 12, v199
	v_and_b32_e32 v198, 16, v198
	s_delay_alu instid0(VALU_DEP_2) | instskip(NEXT) | instid1(VALU_DEP_1)
	v_and_b32_e32 v199, 0x1000, v199
	v_or3_b32 v198, v198, v30, v199
	v_dual_lshrrev_b32 v199, v194, v31 :: v_dual_lshrrev_b32 v31, v195, v31
	s_delay_alu instid0(VALU_DEP_1) | instskip(NEXT) | instid1(VALU_DEP_2)
	v_lshlrev_b32_e32 v199, 20, v199
	v_lshlrev_b32_e32 v31, 28, v31
	s_delay_alu instid0(VALU_DEP_2) | instskip(NEXT) | instid1(VALU_DEP_2)
	v_and_b32_e32 v199, 0x100000, v199
	v_and_b32_e32 v31, 0x10000000, v31
	s_delay_alu instid0(VALU_DEP_1) | instskip(SKIP_1) | instid1(VALU_DEP_2)
	v_or3_b32 v30, v30, v199, v31
	v_lshlrev_b16 v31, 8, v198
	v_lshrrev_b32_e32 v30, 16, v30
	s_delay_alu instid0(VALU_DEP_2) | instskip(NEXT) | instid1(VALU_DEP_1)
	v_add_nc_u16 v31, 0xf000, v31
	v_lshrrev_b16 v31, 8, v31
	s_delay_alu instid0(VALU_DEP_1) | instskip(NEXT) | instid1(VALU_DEP_4)
	v_bitop3_b16 v31, v198, v31, 0x1f00 bitop3:0xec
	v_lshlrev_b16 v198, 8, v30
	v_and_b32_e32 v30, 0x1f00, v30
	s_delay_alu instid0(VALU_DEP_3) | instskip(NEXT) | instid1(VALU_DEP_3)
	v_add_nc_u16 v31, 0xf000, v31
	v_add_nc_u16 v198, 0xf000, v198
	s_delay_alu instid0(VALU_DEP_3) | instskip(NEXT) | instid1(VALU_DEP_3)
	v_add_nc_u16 v30, 0xf000, v30
	v_lshrrev_b32_e32 v25, 8, v31
	v_bfe_i32 v31, v31, 0, 8
	s_delay_alu instid0(VALU_DEP_3) | instskip(NEXT) | instid1(VALU_DEP_3)
	v_lshrrev_b32_e32 v30, 8, v30
	v_bfe_i32 v25, v25, 0, 8
	s_delay_alu instid0(VALU_DEP_3) | instskip(NEXT) | instid1(VALU_DEP_3)
	v_cvt_f16_i16_e32 v31, v31
	v_bfe_i32 v30, v30, 0, 8
	s_delay_alu instid0(VALU_DEP_3) | instskip(NEXT) | instid1(VALU_DEP_2)
	v_cvt_f16_i16_e32 v25, v25
	v_cvt_f16_i16_e32 v30, v30
	s_delay_alu instid0(VALU_DEP_2) | instskip(SKIP_1) | instid1(VALU_DEP_2)
	v_pack_b32_f16 v25, v31, v25
	v_ashrrev_i16 v31, 8, v198
	v_pk_mul_f16 v25, v25, v24
	s_delay_alu instid0(VALU_DEP_2) | instskip(NEXT) | instid1(VALU_DEP_2)
	v_cvt_f16_i16_e32 v31, v31
	v_pk_fma_f16 v29, v25, v26, v29
	s_delay_alu instid0(VALU_DEP_2) | instskip(NEXT) | instid1(VALU_DEP_1)
	v_pack_b32_f16 v30, v31, v30
	v_pk_mul_f16 v24, v30, v24
	s_delay_alu instid0(VALU_DEP_1) | instskip(SKIP_2) | instid1(VALU_DEP_2)
	v_pk_fma_f16 v26, v24, v26, v201
	v_add_nc_u64_e32 v[24:25], s[14:15], v[120:121]
	v_mul_u32_u24_e32 v201, 0x10001, v206
	v_add_nc_u64_e32 v[30:31], v[24:25], v[168:169]
	v_add_nc_u64_e32 v[24:25], v[24:25], v[166:167]
	s_delay_alu instid0(VALU_DEP_2)
	v_add_nc_u64_e32 v[198:199], v[30:31], v[84:85]
	s_clause 0x2
	global_load_b32 v198, v[198:199], off offset:6
	global_load_b32 v199, v[30:31], off offset:2
	global_load_u16 v30, v[30:31], off
	s_wait_loadcnt 0x2
	v_ashrrev_i32_e32 v198, v192, v198
	s_wait_loadcnt 0x1
	v_dual_lshrrev_b32 v202, v188, v199 :: v_dual_lshrrev_b32 v203, v193, v199
	s_wait_loadcnt 0x0
	v_mul_u32_u24_e32 v30, 0x10001, v30
	v_and_b32_e32 v198, 0xf0f0f0f, v198
	s_delay_alu instid0(VALU_DEP_3) | instskip(NEXT) | instid1(VALU_DEP_1)
	v_dual_lshlrev_b32 v202, 4, v202 :: v_dual_lshlrev_b32 v203, 12, v203
	v_and_b32_e32 v202, 16, v202
	s_delay_alu instid0(VALU_DEP_2) | instskip(NEXT) | instid1(VALU_DEP_1)
	v_and_b32_e32 v203, 0x1000, v203
	v_or3_b32 v202, v202, v198, v203
	v_dual_lshrrev_b32 v203, v194, v199 :: v_dual_lshrrev_b32 v199, v195, v199
	s_delay_alu instid0(VALU_DEP_1) | instskip(NEXT) | instid1(VALU_DEP_2)
	v_lshlrev_b32_e32 v203, 20, v203
	v_lshlrev_b32_e32 v199, 28, v199
	s_delay_alu instid0(VALU_DEP_2) | instskip(NEXT) | instid1(VALU_DEP_2)
	v_and_b32_e32 v203, 0x100000, v203
	v_and_b32_e32 v199, 0x10000000, v199
	s_delay_alu instid0(VALU_DEP_1) | instskip(SKIP_1) | instid1(VALU_DEP_2)
	v_or3_b32 v198, v198, v203, v199
	v_lshlrev_b16 v199, 8, v202
	v_lshrrev_b32_e32 v198, 16, v198
	s_delay_alu instid0(VALU_DEP_2) | instskip(NEXT) | instid1(VALU_DEP_1)
	v_add_nc_u16 v199, 0xf000, v199
	v_lshrrev_b16 v199, 8, v199
	s_delay_alu instid0(VALU_DEP_1) | instskip(NEXT) | instid1(VALU_DEP_4)
	v_bitop3_b16 v199, v202, v199, 0x1f00 bitop3:0xec
	v_lshlrev_b16 v202, 8, v198
	v_and_b32_e32 v198, 0x1f00, v198
	s_delay_alu instid0(VALU_DEP_3) | instskip(NEXT) | instid1(VALU_DEP_3)
	v_add_nc_u16 v199, 0xf000, v199
	v_add_nc_u16 v202, 0xf000, v202
	s_delay_alu instid0(VALU_DEP_3) | instskip(NEXT) | instid1(VALU_DEP_3)
	v_add_nc_u16 v198, 0xf000, v198
	v_lshrrev_b32_e32 v31, 8, v199
	v_bfe_i32 v199, v199, 0, 8
	s_delay_alu instid0(VALU_DEP_3) | instskip(NEXT) | instid1(VALU_DEP_3)
	v_lshrrev_b32_e32 v198, 8, v198
	v_bfe_i32 v31, v31, 0, 8
	s_delay_alu instid0(VALU_DEP_3) | instskip(NEXT) | instid1(VALU_DEP_3)
	v_cvt_f16_i16_e64 v199, v199
	v_bfe_i32 v198, v198, 0, 8
	s_delay_alu instid0(VALU_DEP_3) | instskip(NEXT) | instid1(VALU_DEP_2)
	v_cvt_f16_i16_e32 v31, v31
	v_cvt_f16_i16_e64 v198, v198
	s_delay_alu instid0(VALU_DEP_2) | instskip(SKIP_1) | instid1(VALU_DEP_2)
	v_pack_b32_f16 v31, v199, v31
	v_ashrrev_i16 v199, 8, v202
	v_pk_mul_f16 v31, v31, v30
	s_delay_alu instid0(VALU_DEP_2) | instskip(NEXT) | instid1(VALU_DEP_2)
	v_cvt_f16_i16_e64 v199, v199
	v_pk_fma_f16 v197, v31, v201, v197
	s_delay_alu instid0(VALU_DEP_2) | instskip(NEXT) | instid1(VALU_DEP_1)
	v_pack_b32_f16 v198, v199, v198
	v_pk_mul_f16 v30, v198, v30
	s_delay_alu instid0(VALU_DEP_1)
	v_pk_fma_f16 v198, v30, v201, v200
	v_add_nc_u64_e32 v[30:31], v[24:25], v[112:113]
	s_clause 0x2
	global_load_b32 v30, v[30:31], off offset:6
	global_load_b32 v31, v[24:25], off offset:2
	global_load_u16 v24, v[24:25], off
	s_wait_loadcnt 0x2
	v_ashrrev_i32_e32 v30, v192, v30
	s_wait_loadcnt 0x1
	v_dual_lshrrev_b32 v199, v188, v31 :: v_dual_lshrrev_b32 v200, v193, v31
	s_wait_loadcnt 0x0
	v_mul_u32_u24_e32 v24, 0x10001, v24
	v_and_b32_e32 v30, 0xf0f0f0f, v30
	s_delay_alu instid0(VALU_DEP_3) | instskip(NEXT) | instid1(VALU_DEP_1)
	v_dual_lshlrev_b32 v199, 4, v199 :: v_dual_lshlrev_b32 v200, 12, v200
	v_and_b32_e32 v199, 16, v199
	s_delay_alu instid0(VALU_DEP_2) | instskip(NEXT) | instid1(VALU_DEP_1)
	v_and_b32_e32 v200, 0x1000, v200
	v_or3_b32 v199, v199, v30, v200
	v_dual_lshrrev_b32 v200, v194, v31 :: v_dual_lshrrev_b32 v31, v195, v31
	s_delay_alu instid0(VALU_DEP_1) | instskip(NEXT) | instid1(VALU_DEP_1)
	v_dual_lshlrev_b32 v200, 20, v200 :: v_dual_lshlrev_b32 v31, 28, v31
	v_and_b32_e32 v200, 0x100000, v200
	s_delay_alu instid0(VALU_DEP_2) | instskip(NEXT) | instid1(VALU_DEP_1)
	v_and_b32_e32 v31, 0x10000000, v31
	v_or3_b32 v30, v30, v200, v31
	v_lshlrev_b16 v31, 8, v199
	s_delay_alu instid0(VALU_DEP_2) | instskip(NEXT) | instid1(VALU_DEP_2)
	v_lshrrev_b32_e32 v30, 16, v30
	v_add_nc_u16 v31, 0xf000, v31
	s_delay_alu instid0(VALU_DEP_1) | instskip(NEXT) | instid1(VALU_DEP_1)
	v_lshrrev_b16 v31, 8, v31
	v_bitop3_b16 v31, v199, v31, 0x1f00 bitop3:0xec
	s_delay_alu instid0(VALU_DEP_4) | instskip(SKIP_1) | instid1(VALU_DEP_3)
	v_lshlrev_b16 v199, 8, v30
	v_and_b32_e32 v30, 0x1f00, v30
	v_add_nc_u16 v31, 0xf000, v31
	s_delay_alu instid0(VALU_DEP_3) | instskip(NEXT) | instid1(VALU_DEP_3)
	v_add_nc_u16 v199, 0xf000, v199
	v_add_nc_u16 v30, 0xf000, v30
	s_delay_alu instid0(VALU_DEP_3) | instskip(SKIP_1) | instid1(VALU_DEP_3)
	v_lshrrev_b32_e32 v25, 8, v31
	v_bfe_i32 v31, v31, 0, 8
	v_lshrrev_b32_e32 v30, 8, v30
	s_delay_alu instid0(VALU_DEP_3) | instskip(NEXT) | instid1(VALU_DEP_3)
	v_bfe_i32 v25, v25, 0, 8
	v_cvt_f16_i16_e32 v31, v31
	s_delay_alu instid0(VALU_DEP_3) | instskip(NEXT) | instid1(VALU_DEP_3)
	v_bfe_i32 v30, v30, 0, 8
	v_cvt_f16_i16_e32 v25, v25
	s_delay_alu instid0(VALU_DEP_2) | instskip(NEXT) | instid1(VALU_DEP_2)
	v_cvt_f16_i16_e32 v30, v30
	v_pack_b32_f16 v25, v31, v25
	v_ashrrev_i16 v31, 8, v199
	s_delay_alu instid0(VALU_DEP_2) | instskip(NEXT) | instid1(VALU_DEP_2)
	v_pk_mul_f16 v25, v25, v24
	v_cvt_f16_i16_e32 v31, v31
	s_delay_alu instid0(VALU_DEP_2) | instskip(NEXT) | instid1(VALU_DEP_2)
	v_pk_fma_f16 v29, v25, v201, v29
	v_pack_b32_f16 v30, v31, v30
	s_delay_alu instid0(VALU_DEP_1) | instskip(NEXT) | instid1(VALU_DEP_1)
	v_pk_mul_f16 v24, v30, v24
	v_pk_fma_f16 v199, v24, v201, v26
	v_and_b32_e32 v24, 0xffff, v27
	s_delay_alu instid0(VALU_DEP_1) | instskip(SKIP_1) | instid1(VALU_DEP_1)
	v_mul_u32_u24_e32 v200, 0x10001, v24
	v_add_nc_u64_e32 v[24:25], s[14:15], v[122:123]
	v_add_nc_u64_e32 v[26:27], v[24:25], v[168:169]
	v_add_nc_u64_e32 v[24:25], v[24:25], v[166:167]
	s_delay_alu instid0(VALU_DEP_2)
	v_add_nc_u64_e32 v[30:31], v[26:27], v[84:85]
	s_clause 0x2
	global_load_b32 v30, v[30:31], off offset:6
	global_load_b32 v31, v[26:27], off offset:2
	global_load_u16 v26, v[26:27], off
	s_wait_loadcnt 0x1
	v_dual_lshrrev_b32 v201, v188, v31 :: v_dual_lshrrev_b32 v202, v193, v31
	v_ashrrev_i32_e32 v30, v192, v30
	s_wait_loadcnt 0x0
	v_mul_u32_u24_e32 v26, 0x10001, v26
	s_delay_alu instid0(VALU_DEP_3) | instskip(NEXT) | instid1(VALU_DEP_3)
	v_dual_lshlrev_b32 v201, 4, v201 :: v_dual_lshlrev_b32 v202, 12, v202
	v_and_b32_e32 v30, 0xf0f0f0f, v30
	s_delay_alu instid0(VALU_DEP_2) | instskip(NEXT) | instid1(VALU_DEP_3)
	v_and_b32_e32 v201, 16, v201
	v_and_b32_e32 v202, 0x1000, v202
	s_delay_alu instid0(VALU_DEP_1) | instskip(SKIP_1) | instid1(VALU_DEP_1)
	v_or3_b32 v201, v201, v30, v202
	v_dual_lshrrev_b32 v202, v194, v31 :: v_dual_lshrrev_b32 v31, v195, v31
	v_dual_lshlrev_b32 v202, 20, v202 :: v_dual_lshlrev_b32 v31, 28, v31
	s_delay_alu instid0(VALU_DEP_1) | instskip(NEXT) | instid1(VALU_DEP_2)
	v_and_b32_e32 v202, 0x100000, v202
	v_and_b32_e32 v31, 0x10000000, v31
	s_delay_alu instid0(VALU_DEP_1) | instskip(SKIP_3) | instid1(VALU_DEP_2)
	v_or3_b32 v30, v30, v202, v31
	v_lshlrev_b16 v31, 8, v201
	s_wait_dscnt 0x1
	v_lshrrev_b32_e32 v202, 16, v22
	v_add_nc_u16 v31, 0xf000, v31
	s_delay_alu instid0(VALU_DEP_1) | instskip(NEXT) | instid1(VALU_DEP_1)
	v_lshrrev_b16 v31, 8, v31
	v_bitop3_b16 v31, v201, v31, 0x1f00 bitop3:0xec
	s_delay_alu instid0(VALU_DEP_1) | instskip(NEXT) | instid1(VALU_DEP_1)
	v_add_nc_u16 v31, 0xf000, v31
	v_dual_lshrrev_b32 v30, 16, v30 :: v_dual_lshrrev_b32 v27, 8, v31
	s_delay_alu instid0(VALU_DEP_1) | instskip(SKIP_2) | instid1(VALU_DEP_4)
	v_lshlrev_b16 v201, 8, v30
	v_and_b32_e32 v30, 0x1f00, v30
	v_bfe_i32 v31, v31, 0, 8
	v_bfe_i32 v27, v27, 0, 8
	s_delay_alu instid0(VALU_DEP_4) | instskip(NEXT) | instid1(VALU_DEP_4)
	v_add_nc_u16 v201, 0xf000, v201
	v_add_nc_u16 v30, 0xf000, v30
	s_delay_alu instid0(VALU_DEP_4) | instskip(NEXT) | instid1(VALU_DEP_4)
	v_cvt_f16_i16_e32 v31, v31
	v_cvt_f16_i16_e32 v27, v27
	s_delay_alu instid0(VALU_DEP_3) | instskip(NEXT) | instid1(VALU_DEP_2)
	v_lshrrev_b32_e32 v30, 8, v30
	v_pack_b32_f16 v27, v31, v27
	v_ashrrev_i16 v31, 8, v201
	s_delay_alu instid0(VALU_DEP_3) | instskip(NEXT) | instid1(VALU_DEP_3)
	v_bfe_i32 v30, v30, 0, 8
	v_pk_mul_f16 v27, v27, v26
	s_delay_alu instid0(VALU_DEP_3) | instskip(NEXT) | instid1(VALU_DEP_3)
	v_cvt_f16_i16_e32 v31, v31
	v_cvt_f16_i16_e32 v30, v30
	s_delay_alu instid0(VALU_DEP_1) | instskip(NEXT) | instid1(VALU_DEP_1)
	v_pack_b32_f16 v30, v31, v30
	v_pk_mul_f16 v26, v30, v26
	v_pk_fma_f16 v30, v27, v200, v197
	s_delay_alu instid0(VALU_DEP_2)
	v_pk_fma_f16 v31, v26, v200, v198
	v_add_nc_u64_e32 v[26:27], v[24:25], v[112:113]
	s_clause 0x2
	global_load_b32 v26, v[26:27], off offset:6
	global_load_b32 v27, v[24:25], off offset:2
	global_load_u16 v24, v[24:25], off
	s_wait_loadcnt 0x1
	v_lshrrev_b32_e32 v197, v188, v27
	v_dual_ashrrev_i32 v26, v192, v26 :: v_dual_lshrrev_b32 v198, v193, v27
	s_wait_loadcnt 0x0
	v_mul_u32_u24_e32 v24, 0x10001, v24
	s_delay_alu instid0(VALU_DEP_3) | instskip(NEXT) | instid1(VALU_DEP_3)
	v_lshlrev_b32_e32 v197, 4, v197
	v_and_b32_e32 v26, 0xf0f0f0f, v26
	s_delay_alu instid0(VALU_DEP_2) | instskip(NEXT) | instid1(VALU_DEP_1)
	v_dual_lshlrev_b32 v198, 12, v198 :: v_dual_bitop2_b32 v197, 16, v197 bitop3:0x40
	v_and_b32_e32 v198, 0x1000, v198
	s_delay_alu instid0(VALU_DEP_1) | instskip(SKIP_1) | instid1(VALU_DEP_1)
	v_or3_b32 v197, v197, v26, v198
	v_dual_lshrrev_b32 v198, v194, v27 :: v_dual_lshrrev_b32 v27, v195, v27
	v_dual_lshlrev_b32 v27, 28, v27 :: v_dual_lshlrev_b32 v198, 20, v198
	s_delay_alu instid0(VALU_DEP_1) | instskip(NEXT) | instid1(VALU_DEP_2)
	v_and_b32_e32 v27, 0x10000000, v27
	v_and_b32_e32 v198, 0x100000, v198
	s_delay_alu instid0(VALU_DEP_1) | instskip(SKIP_1) | instid1(VALU_DEP_2)
	v_or3_b32 v26, v26, v198, v27
	v_lshlrev_b16 v27, 8, v197
	v_lshrrev_b32_e32 v26, 16, v26
	s_delay_alu instid0(VALU_DEP_2) | instskip(NEXT) | instid1(VALU_DEP_1)
	v_add_nc_u16 v27, 0xf000, v27
	v_lshrrev_b16 v27, 8, v27
	s_delay_alu instid0(VALU_DEP_1) | instskip(NEXT) | instid1(VALU_DEP_4)
	v_bitop3_b16 v27, v197, v27, 0x1f00 bitop3:0xec
	v_lshlrev_b16 v197, 8, v26
	v_and_b32_e32 v26, 0x1f00, v26
	s_delay_alu instid0(VALU_DEP_3) | instskip(NEXT) | instid1(VALU_DEP_3)
	v_add_nc_u16 v27, 0xf000, v27
	v_add_nc_u16 v197, 0xf000, v197
	s_delay_alu instid0(VALU_DEP_3) | instskip(NEXT) | instid1(VALU_DEP_3)
	v_add_nc_u16 v26, 0xf000, v26
	v_lshrrev_b32_e32 v25, 8, v27
	v_bfe_i32 v27, v27, 0, 8
	s_delay_alu instid0(VALU_DEP_3) | instskip(NEXT) | instid1(VALU_DEP_3)
	v_lshrrev_b32_e32 v26, 8, v26
	v_bfe_i32 v25, v25, 0, 8
	s_delay_alu instid0(VALU_DEP_3) | instskip(NEXT) | instid1(VALU_DEP_3)
	v_cvt_f16_i16_e32 v27, v27
	v_bfe_i32 v26, v26, 0, 8
	s_delay_alu instid0(VALU_DEP_3) | instskip(NEXT) | instid1(VALU_DEP_2)
	v_cvt_f16_i16_e32 v25, v25
	v_cvt_f16_i16_e32 v26, v26
	s_delay_alu instid0(VALU_DEP_2) | instskip(SKIP_1) | instid1(VALU_DEP_2)
	v_pack_b32_f16 v25, v27, v25
	v_ashrrev_i16 v27, 8, v197
	v_pk_mul_f16 v25, v25, v24
	s_delay_alu instid0(VALU_DEP_2) | instskip(NEXT) | instid1(VALU_DEP_2)
	v_cvt_f16_i16_e32 v27, v27
	v_pk_fma_f16 v197, v25, v200, v29
	s_delay_alu instid0(VALU_DEP_2) | instskip(NEXT) | instid1(VALU_DEP_1)
	v_pack_b32_f16 v26, v27, v26
	v_pk_mul_f16 v24, v26, v24
	s_delay_alu instid0(VALU_DEP_1) | instskip(SKIP_2) | instid1(VALU_DEP_2)
	v_pk_fma_f16 v198, v24, v200, v199
	v_add_nc_u64_e32 v[24:25], s[14:15], v[124:125]
	v_mul_u32_u24_e32 v199, 0x10001, v28
	v_add_nc_u64_e32 v[26:27], v[24:25], v[168:169]
	v_add_nc_u64_e32 v[24:25], v[24:25], v[166:167]
	s_delay_alu instid0(VALU_DEP_2)
	v_add_nc_u64_e32 v[28:29], v[26:27], v[84:85]
	s_clause 0x2
	global_load_b32 v28, v[28:29], off offset:6
	global_load_b32 v29, v[26:27], off offset:2
	global_load_u16 v26, v[26:27], off
	s_wait_loadcnt 0x2
	v_ashrrev_i32_e32 v28, v192, v28
	s_wait_loadcnt 0x1
	v_dual_lshrrev_b32 v200, v188, v29 :: v_dual_lshrrev_b32 v201, v193, v29
	s_wait_loadcnt 0x0
	v_mul_u32_u24_e32 v26, 0x10001, v26
	v_and_b32_e32 v28, 0xf0f0f0f, v28
	s_delay_alu instid0(VALU_DEP_3) | instskip(NEXT) | instid1(VALU_DEP_1)
	v_dual_lshlrev_b32 v200, 4, v200 :: v_dual_lshlrev_b32 v201, 12, v201
	v_and_b32_e32 v200, 16, v200
	s_delay_alu instid0(VALU_DEP_2) | instskip(NEXT) | instid1(VALU_DEP_1)
	v_and_b32_e32 v201, 0x1000, v201
	v_or3_b32 v200, v200, v28, v201
	v_dual_lshrrev_b32 v201, v194, v29 :: v_dual_lshrrev_b32 v29, v195, v29
	s_delay_alu instid0(VALU_DEP_1) | instskip(NEXT) | instid1(VALU_DEP_2)
	v_lshlrev_b32_e32 v201, 20, v201
	v_lshlrev_b32_e32 v29, 28, v29
	s_delay_alu instid0(VALU_DEP_2) | instskip(NEXT) | instid1(VALU_DEP_2)
	v_and_b32_e32 v201, 0x100000, v201
	v_and_b32_e32 v29, 0x10000000, v29
	s_delay_alu instid0(VALU_DEP_1) | instskip(SKIP_1) | instid1(VALU_DEP_2)
	v_or3_b32 v28, v28, v201, v29
	v_lshlrev_b16 v29, 8, v200
	v_lshrrev_b32_e32 v28, 16, v28
	s_delay_alu instid0(VALU_DEP_2) | instskip(NEXT) | instid1(VALU_DEP_1)
	v_add_nc_u16 v29, 0xf000, v29
	v_lshrrev_b16 v29, 8, v29
	s_delay_alu instid0(VALU_DEP_1) | instskip(NEXT) | instid1(VALU_DEP_4)
	v_bitop3_b16 v29, v200, v29, 0x1f00 bitop3:0xec
	v_lshlrev_b16 v200, 8, v28
	v_and_b32_e32 v28, 0x1f00, v28
	s_delay_alu instid0(VALU_DEP_3) | instskip(NEXT) | instid1(VALU_DEP_3)
	v_add_nc_u16 v29, 0xf000, v29
	v_add_nc_u16 v200, 0xf000, v200
	s_delay_alu instid0(VALU_DEP_3) | instskip(NEXT) | instid1(VALU_DEP_3)
	v_add_nc_u16 v28, 0xf000, v28
	v_lshrrev_b32_e32 v27, 8, v29
	v_bfe_i32 v29, v29, 0, 8
	s_delay_alu instid0(VALU_DEP_3) | instskip(NEXT) | instid1(VALU_DEP_3)
	v_lshrrev_b32_e32 v28, 8, v28
	v_bfe_i32 v27, v27, 0, 8
	s_delay_alu instid0(VALU_DEP_3) | instskip(NEXT) | instid1(VALU_DEP_3)
	v_cvt_f16_i16_e32 v29, v29
	v_bfe_i32 v28, v28, 0, 8
	s_delay_alu instid0(VALU_DEP_3) | instskip(NEXT) | instid1(VALU_DEP_2)
	v_cvt_f16_i16_e32 v27, v27
	v_cvt_f16_i16_e32 v28, v28
	s_delay_alu instid0(VALU_DEP_2) | instskip(SKIP_1) | instid1(VALU_DEP_2)
	v_pack_b32_f16 v27, v29, v27
	v_ashrrev_i16 v29, 8, v200
	v_pk_mul_f16 v27, v27, v26
	s_delay_alu instid0(VALU_DEP_2) | instskip(NEXT) | instid1(VALU_DEP_2)
	v_cvt_f16_i16_e32 v29, v29
	v_pk_fma_f16 v200, v27, v199, v30
	s_delay_alu instid0(VALU_DEP_2) | instskip(NEXT) | instid1(VALU_DEP_1)
	v_pack_b32_f16 v28, v29, v28
	v_pk_mul_f16 v26, v28, v26
	s_delay_alu instid0(VALU_DEP_1)
	v_pk_fma_f16 v201, v26, v199, v31
	v_add_nc_u64_e32 v[26:27], v[24:25], v[112:113]
	s_clause 0x2
	global_load_b32 v26, v[26:27], off offset:6
	global_load_b32 v27, v[24:25], off offset:2
	global_load_u16 v24, v[24:25], off
	s_wait_loadcnt 0x2
	v_ashrrev_i32_e32 v26, v192, v26
	s_wait_loadcnt 0x1
	v_dual_lshrrev_b32 v28, v188, v27 :: v_dual_lshrrev_b32 v29, v193, v27
	s_wait_loadcnt 0x0
	v_mul_u32_u24_e32 v24, 0x10001, v24
	v_and_b32_e32 v26, 0xf0f0f0f, v26
	s_delay_alu instid0(VALU_DEP_3) | instskip(NEXT) | instid1(VALU_DEP_1)
	v_dual_lshlrev_b32 v28, 4, v28 :: v_dual_lshlrev_b32 v29, 12, v29
	v_and_b32_e32 v28, 16, v28
	s_delay_alu instid0(VALU_DEP_2) | instskip(NEXT) | instid1(VALU_DEP_1)
	v_and_b32_e32 v29, 0x1000, v29
	v_or3_b32 v28, v28, v26, v29
	v_dual_lshrrev_b32 v29, v194, v27 :: v_dual_lshrrev_b32 v27, v195, v27
	s_delay_alu instid0(VALU_DEP_1) | instskip(NEXT) | instid1(VALU_DEP_1)
	v_dual_lshlrev_b32 v29, 20, v29 :: v_dual_lshlrev_b32 v27, 28, v27
	v_and_b32_e32 v29, 0x100000, v29
	s_delay_alu instid0(VALU_DEP_2) | instskip(NEXT) | instid1(VALU_DEP_1)
	v_and_b32_e32 v27, 0x10000000, v27
	v_or3_b32 v26, v26, v29, v27
	v_lshlrev_b16 v27, 8, v28
	s_delay_alu instid0(VALU_DEP_2) | instskip(NEXT) | instid1(VALU_DEP_2)
	v_lshrrev_b32_e32 v26, 16, v26
	v_add_nc_u16 v27, 0xf000, v27
	s_delay_alu instid0(VALU_DEP_1) | instskip(NEXT) | instid1(VALU_DEP_1)
	v_lshrrev_b16 v27, 8, v27
	v_bitop3_b16 v27, v28, v27, 0x1f00 bitop3:0xec
	s_delay_alu instid0(VALU_DEP_4) | instskip(SKIP_1) | instid1(VALU_DEP_3)
	v_lshlrev_b16 v28, 8, v26
	v_and_b32_e32 v26, 0x1f00, v26
	v_add_nc_u16 v27, 0xf000, v27
	s_delay_alu instid0(VALU_DEP_3) | instskip(NEXT) | instid1(VALU_DEP_3)
	v_add_nc_u16 v28, 0xf000, v28
	v_add_nc_u16 v26, 0xf000, v26
	s_delay_alu instid0(VALU_DEP_3) | instskip(SKIP_1) | instid1(VALU_DEP_3)
	v_lshrrev_b32_e32 v25, 8, v27
	v_bfe_i32 v27, v27, 0, 8
	v_lshrrev_b32_e32 v26, 8, v26
	s_delay_alu instid0(VALU_DEP_3) | instskip(NEXT) | instid1(VALU_DEP_3)
	v_bfe_i32 v25, v25, 0, 8
	v_cvt_f16_i16_e32 v27, v27
	s_delay_alu instid0(VALU_DEP_3) | instskip(NEXT) | instid1(VALU_DEP_3)
	v_bfe_i32 v26, v26, 0, 8
	v_cvt_f16_i16_e32 v25, v25
	s_delay_alu instid0(VALU_DEP_2) | instskip(NEXT) | instid1(VALU_DEP_2)
	v_cvt_f16_i16_e32 v26, v26
	v_pack_b32_f16 v25, v27, v25
	v_ashrrev_i16 v27, 8, v28
	s_delay_alu instid0(VALU_DEP_2) | instskip(NEXT) | instid1(VALU_DEP_2)
	v_pk_mul_f16 v25, v25, v24
	v_cvt_f16_i16_e32 v27, v27
	s_delay_alu instid0(VALU_DEP_2) | instskip(NEXT) | instid1(VALU_DEP_2)
	v_pk_fma_f16 v25, v25, v199, v197
	v_pack_b32_f16 v26, v27, v26
	s_delay_alu instid0(VALU_DEP_1) | instskip(SKIP_1) | instid1(VALU_DEP_2)
	v_pk_mul_f16 v24, v26, v24
	v_add_nc_u64_e32 v[26:27], s[14:15], v[126:127]
	v_pk_fma_f16 v197, v24, v199, v198
	v_dual_lshrrev_b32 v198, 16, v20 :: v_dual_lshrrev_b32 v199, 16, v21
	s_delay_alu instid0(VALU_DEP_3) | instskip(SKIP_3) | instid1(VALU_DEP_3)
	v_add_nc_u64_e32 v[28:29], v[26:27], v[168:169]
	v_and_b32_e32 v20, 0xffff, v20
	v_add_nc_u64_e32 v[26:27], v[26:27], v[166:167]
	v_lshrrev_b32_e32 v24, 16, v23
	v_mul_u32_u24_e32 v20, 0x10001, v20
	v_add_nc_u64_e32 v[30:31], v[28:29], v[84:85]
	s_clause 0x2
	global_load_b32 v30, v[30:31], off offset:6
	global_load_b32 v31, v[28:29], off offset:2
	global_load_u16 v28, v[28:29], off
	s_wait_loadcnt 0x1
	v_dual_lshrrev_b32 v203, v188, v31 :: v_dual_lshrrev_b32 v204, v193, v31
	v_ashrrev_i32_e32 v30, v192, v30
	s_wait_loadcnt 0x0
	v_mul_u32_u24_e32 v28, 0x10001, v28
	s_delay_alu instid0(VALU_DEP_3) | instskip(NEXT) | instid1(VALU_DEP_3)
	v_dual_lshlrev_b32 v203, 4, v203 :: v_dual_lshlrev_b32 v204, 12, v204
	v_and_b32_e32 v30, 0xf0f0f0f, v30
	s_delay_alu instid0(VALU_DEP_2) | instskip(NEXT) | instid1(VALU_DEP_3)
	v_and_b32_e32 v203, 16, v203
	v_and_b32_e32 v204, 0x1000, v204
	s_delay_alu instid0(VALU_DEP_1) | instskip(SKIP_1) | instid1(VALU_DEP_1)
	v_or3_b32 v203, v203, v30, v204
	v_dual_lshrrev_b32 v204, v194, v31 :: v_dual_lshrrev_b32 v31, v195, v31
	v_dual_lshlrev_b32 v204, 20, v204 :: v_dual_lshlrev_b32 v31, 28, v31
	s_delay_alu instid0(VALU_DEP_1) | instskip(NEXT) | instid1(VALU_DEP_2)
	v_and_b32_e32 v204, 0x100000, v204
	v_and_b32_e32 v31, 0x10000000, v31
	s_delay_alu instid0(VALU_DEP_1) | instskip(SKIP_1) | instid1(VALU_DEP_1)
	v_or3_b32 v30, v30, v204, v31
	v_lshlrev_b16 v31, 8, v203
	v_add_nc_u16 v31, 0xf000, v31
	s_delay_alu instid0(VALU_DEP_1) | instskip(NEXT) | instid1(VALU_DEP_1)
	v_lshrrev_b16 v31, 8, v31
	v_bitop3_b16 v31, v203, v31, 0x1f00 bitop3:0xec
	s_delay_alu instid0(VALU_DEP_1) | instskip(NEXT) | instid1(VALU_DEP_1)
	v_add_nc_u16 v31, 0xf000, v31
	v_dual_lshrrev_b32 v30, 16, v30 :: v_dual_lshrrev_b32 v29, 8, v31
	s_delay_alu instid0(VALU_DEP_1) | instskip(SKIP_2) | instid1(VALU_DEP_4)
	v_lshlrev_b16 v203, 8, v30
	v_and_b32_e32 v30, 0x1f00, v30
	v_bfe_i32 v31, v31, 0, 8
	v_bfe_i32 v29, v29, 0, 8
	s_delay_alu instid0(VALU_DEP_4) | instskip(NEXT) | instid1(VALU_DEP_4)
	v_add_nc_u16 v203, 0xf000, v203
	v_add_nc_u16 v30, 0xf000, v30
	s_delay_alu instid0(VALU_DEP_4) | instskip(NEXT) | instid1(VALU_DEP_4)
	v_cvt_f16_i16_e32 v31, v31
	v_cvt_f16_i16_e32 v29, v29
	s_delay_alu instid0(VALU_DEP_3) | instskip(NEXT) | instid1(VALU_DEP_2)
	v_lshrrev_b32_e32 v30, 8, v30
	v_pack_b32_f16 v29, v31, v29
	v_ashrrev_i16 v31, 8, v203
	s_delay_alu instid0(VALU_DEP_3) | instskip(NEXT) | instid1(VALU_DEP_3)
	v_bfe_i32 v30, v30, 0, 8
	v_pk_mul_f16 v29, v29, v28
	s_delay_alu instid0(VALU_DEP_3) | instskip(NEXT) | instid1(VALU_DEP_3)
	v_cvt_f16_i16_e32 v31, v31
	v_cvt_f16_i16_e32 v30, v30
	s_delay_alu instid0(VALU_DEP_3) | instskip(NEXT) | instid1(VALU_DEP_2)
	v_pk_fma_f16 v200, v29, v20, v200
	v_pack_b32_f16 v30, v31, v30
	s_delay_alu instid0(VALU_DEP_1) | instskip(NEXT) | instid1(VALU_DEP_1)
	v_pk_mul_f16 v28, v30, v28
	v_pk_fma_f16 v201, v28, v20, v201
	v_add_nc_u64_e32 v[28:29], v[26:27], v[112:113]
	s_clause 0x2
	global_load_b32 v28, v[28:29], off offset:6
	global_load_b32 v29, v[26:27], off offset:2
	global_load_u16 v26, v[26:27], off
	s_wait_loadcnt 0x2
	v_ashrrev_i32_e32 v28, v192, v28
	s_wait_loadcnt 0x1
	v_dual_lshrrev_b32 v30, v188, v29 :: v_dual_lshrrev_b32 v31, v193, v29
	s_wait_loadcnt 0x0
	v_mul_u32_u24_e32 v26, 0x10001, v26
	v_and_b32_e32 v28, 0xf0f0f0f, v28
	s_delay_alu instid0(VALU_DEP_3) | instskip(NEXT) | instid1(VALU_DEP_1)
	v_dual_lshlrev_b32 v30, 4, v30 :: v_dual_lshlrev_b32 v31, 12, v31
	v_and_b32_e32 v30, 16, v30
	s_delay_alu instid0(VALU_DEP_2) | instskip(NEXT) | instid1(VALU_DEP_1)
	v_and_b32_e32 v31, 0x1000, v31
	v_or3_b32 v30, v30, v28, v31
	v_dual_lshrrev_b32 v31, v194, v29 :: v_dual_lshrrev_b32 v29, v195, v29
	s_delay_alu instid0(VALU_DEP_1) | instskip(NEXT) | instid1(VALU_DEP_1)
	v_dual_lshlrev_b32 v31, 20, v31 :: v_dual_lshlrev_b32 v29, 28, v29
	v_and_b32_e32 v31, 0x100000, v31
	s_delay_alu instid0(VALU_DEP_2) | instskip(NEXT) | instid1(VALU_DEP_1)
	v_and_b32_e32 v29, 0x10000000, v29
	v_or3_b32 v28, v28, v31, v29
	v_lshlrev_b16 v29, 8, v30
	s_delay_alu instid0(VALU_DEP_2) | instskip(NEXT) | instid1(VALU_DEP_2)
	v_lshrrev_b32_e32 v28, 16, v28
	v_add_nc_u16 v29, 0xf000, v29
	s_delay_alu instid0(VALU_DEP_1) | instskip(NEXT) | instid1(VALU_DEP_1)
	v_lshrrev_b16 v29, 8, v29
	v_bitop3_b16 v29, v30, v29, 0x1f00 bitop3:0xec
	s_delay_alu instid0(VALU_DEP_4) | instskip(SKIP_1) | instid1(VALU_DEP_3)
	v_lshlrev_b16 v30, 8, v28
	v_and_b32_e32 v28, 0x1f00, v28
	v_add_nc_u16 v29, 0xf000, v29
	s_delay_alu instid0(VALU_DEP_3) | instskip(NEXT) | instid1(VALU_DEP_3)
	v_add_nc_u16 v30, 0xf000, v30
	v_add_nc_u16 v28, 0xf000, v28
	s_delay_alu instid0(VALU_DEP_3) | instskip(SKIP_1) | instid1(VALU_DEP_3)
	v_lshrrev_b32_e32 v27, 8, v29
	v_bfe_i32 v29, v29, 0, 8
	v_lshrrev_b32_e32 v28, 8, v28
	s_delay_alu instid0(VALU_DEP_3) | instskip(NEXT) | instid1(VALU_DEP_3)
	v_bfe_i32 v27, v27, 0, 8
	v_cvt_f16_i16_e32 v29, v29
	s_delay_alu instid0(VALU_DEP_3) | instskip(NEXT) | instid1(VALU_DEP_3)
	v_bfe_i32 v28, v28, 0, 8
	v_cvt_f16_i16_e32 v27, v27
	s_delay_alu instid0(VALU_DEP_2) | instskip(NEXT) | instid1(VALU_DEP_2)
	v_cvt_f16_i16_e32 v28, v28
	v_pack_b32_f16 v27, v29, v27
	v_ashrrev_i16 v29, 8, v30
	s_delay_alu instid0(VALU_DEP_2) | instskip(NEXT) | instid1(VALU_DEP_2)
	v_pk_mul_f16 v27, v27, v26
	v_cvt_f16_i16_e32 v29, v29
	s_delay_alu instid0(VALU_DEP_2) | instskip(NEXT) | instid1(VALU_DEP_2)
	v_pk_fma_f16 v25, v27, v20, v25
	v_pack_b32_f16 v28, v29, v28
	s_delay_alu instid0(VALU_DEP_1) | instskip(NEXT) | instid1(VALU_DEP_1)
	v_pk_mul_f16 v26, v28, v26
	v_pk_fma_f16 v20, v26, v20, v197
	v_add_nc_u64_e32 v[26:27], s[14:15], v[130:131]
	v_mul_u32_u24_e32 v197, 0x10001, v198
	s_delay_alu instid0(VALU_DEP_2) | instskip(SKIP_1) | instid1(VALU_DEP_2)
	v_add_nc_u64_e32 v[28:29], v[26:27], v[168:169]
	v_add_nc_u64_e32 v[26:27], v[26:27], v[166:167]
	;; [unrolled: 1-line block ×3, first 2 shown]
	s_clause 0x2
	global_load_b32 v30, v[30:31], off offset:6
	global_load_b32 v31, v[28:29], off offset:2
	global_load_u16 v28, v[28:29], off
	s_wait_loadcnt 0x1
	v_dual_ashrrev_i32 v30, v192, v30 :: v_dual_lshrrev_b32 v203, v193, v31
	v_lshrrev_b32_e32 v198, v188, v31
	s_wait_loadcnt 0x0
	v_mul_u32_u24_e32 v28, 0x10001, v28
	s_delay_alu instid0(VALU_DEP_3) | instskip(NEXT) | instid1(VALU_DEP_3)
	v_and_b32_e32 v30, 0xf0f0f0f, v30
	v_dual_lshlrev_b32 v203, 12, v203 :: v_dual_lshlrev_b32 v198, 4, v198
	s_delay_alu instid0(VALU_DEP_1) | instskip(NEXT) | instid1(VALU_DEP_2)
	v_and_b32_e32 v203, 0x1000, v203
	v_and_b32_e32 v198, 16, v198
	s_delay_alu instid0(VALU_DEP_1) | instskip(SKIP_1) | instid1(VALU_DEP_1)
	v_or3_b32 v198, v198, v30, v203
	v_dual_lshrrev_b32 v203, v194, v31 :: v_dual_lshrrev_b32 v31, v195, v31
	v_lshlrev_b32_e32 v203, 20, v203
	s_delay_alu instid0(VALU_DEP_2) | instskip(NEXT) | instid1(VALU_DEP_2)
	v_lshlrev_b32_e32 v31, 28, v31
	v_and_b32_e32 v203, 0x100000, v203
	s_delay_alu instid0(VALU_DEP_2) | instskip(NEXT) | instid1(VALU_DEP_1)
	v_and_b32_e32 v31, 0x10000000, v31
	v_or3_b32 v30, v30, v203, v31
	v_lshlrev_b16 v31, 8, v198
	s_delay_alu instid0(VALU_DEP_2) | instskip(NEXT) | instid1(VALU_DEP_2)
	v_lshrrev_b32_e32 v30, 16, v30
	v_add_nc_u16 v31, 0xf000, v31
	s_delay_alu instid0(VALU_DEP_1) | instskip(NEXT) | instid1(VALU_DEP_1)
	v_lshrrev_b16 v31, 8, v31
	v_bitop3_b16 v31, v198, v31, 0x1f00 bitop3:0xec
	s_delay_alu instid0(VALU_DEP_4) | instskip(SKIP_1) | instid1(VALU_DEP_3)
	v_lshlrev_b16 v198, 8, v30
	v_and_b32_e32 v30, 0x1f00, v30
	v_add_nc_u16 v31, 0xf000, v31
	s_delay_alu instid0(VALU_DEP_3) | instskip(NEXT) | instid1(VALU_DEP_3)
	v_add_nc_u16 v198, 0xf000, v198
	v_add_nc_u16 v30, 0xf000, v30
	s_delay_alu instid0(VALU_DEP_3) | instskip(SKIP_1) | instid1(VALU_DEP_3)
	v_lshrrev_b32_e32 v29, 8, v31
	v_bfe_i32 v31, v31, 0, 8
	v_lshrrev_b32_e32 v30, 8, v30
	s_delay_alu instid0(VALU_DEP_3) | instskip(NEXT) | instid1(VALU_DEP_3)
	v_bfe_i32 v29, v29, 0, 8
	v_cvt_f16_i16_e32 v31, v31
	s_delay_alu instid0(VALU_DEP_3) | instskip(NEXT) | instid1(VALU_DEP_3)
	v_bfe_i32 v30, v30, 0, 8
	v_cvt_f16_i16_e32 v29, v29
	s_delay_alu instid0(VALU_DEP_2) | instskip(NEXT) | instid1(VALU_DEP_2)
	v_cvt_f16_i16_e32 v30, v30
	v_pack_b32_f16 v29, v31, v29
	v_ashrrev_i16 v31, 8, v198
	s_delay_alu instid0(VALU_DEP_2) | instskip(NEXT) | instid1(VALU_DEP_2)
	v_pk_mul_f16 v29, v29, v28
	v_cvt_f16_i16_e32 v31, v31
	s_delay_alu instid0(VALU_DEP_1) | instskip(NEXT) | instid1(VALU_DEP_1)
	v_pack_b32_f16 v30, v31, v30
	v_pk_mul_f16 v28, v30, v28
	s_delay_alu instid0(VALU_DEP_4) | instskip(NEXT) | instid1(VALU_DEP_2)
	v_pk_fma_f16 v30, v29, v197, v200
	v_pk_fma_f16 v31, v28, v197, v201
	v_add_nc_u64_e32 v[28:29], v[26:27], v[112:113]
	s_clause 0x2
	global_load_b32 v28, v[28:29], off offset:6
	global_load_b32 v29, v[26:27], off offset:2
	global_load_u16 v26, v[26:27], off
	s_wait_loadcnt 0x2
	v_ashrrev_i32_e32 v28, v192, v28
	s_wait_loadcnt 0x1
	v_dual_lshrrev_b32 v198, v188, v29 :: v_dual_lshrrev_b32 v200, v193, v29
	s_wait_loadcnt 0x0
	v_mul_u32_u24_e32 v26, 0x10001, v26
	v_and_b32_e32 v28, 0xf0f0f0f, v28
	s_delay_alu instid0(VALU_DEP_3) | instskip(NEXT) | instid1(VALU_DEP_1)
	v_dual_lshlrev_b32 v198, 4, v198 :: v_dual_lshlrev_b32 v200, 12, v200
	v_and_b32_e32 v198, 16, v198
	s_delay_alu instid0(VALU_DEP_2) | instskip(NEXT) | instid1(VALU_DEP_1)
	v_and_b32_e32 v200, 0x1000, v200
	v_or3_b32 v198, v198, v28, v200
	v_dual_lshrrev_b32 v200, v194, v29 :: v_dual_lshrrev_b32 v29, v195, v29
	s_delay_alu instid0(VALU_DEP_1) | instskip(NEXT) | instid1(VALU_DEP_1)
	v_dual_lshlrev_b32 v200, 20, v200 :: v_dual_lshlrev_b32 v29, 28, v29
	v_and_b32_e32 v200, 0x100000, v200
	s_delay_alu instid0(VALU_DEP_2) | instskip(NEXT) | instid1(VALU_DEP_1)
	v_and_b32_e32 v29, 0x10000000, v29
	v_or3_b32 v28, v28, v200, v29
	v_lshlrev_b16 v29, 8, v198
	s_delay_alu instid0(VALU_DEP_2) | instskip(NEXT) | instid1(VALU_DEP_2)
	v_lshrrev_b32_e32 v28, 16, v28
	v_add_nc_u16 v29, 0xf000, v29
	s_delay_alu instid0(VALU_DEP_1) | instskip(NEXT) | instid1(VALU_DEP_1)
	v_lshrrev_b16 v29, 8, v29
	v_bitop3_b16 v29, v198, v29, 0x1f00 bitop3:0xec
	s_delay_alu instid0(VALU_DEP_4) | instskip(SKIP_1) | instid1(VALU_DEP_3)
	v_lshlrev_b16 v198, 8, v28
	v_and_b32_e32 v28, 0x1f00, v28
	v_add_nc_u16 v29, 0xf000, v29
	s_delay_alu instid0(VALU_DEP_3) | instskip(NEXT) | instid1(VALU_DEP_3)
	v_add_nc_u16 v198, 0xf000, v198
	v_add_nc_u16 v28, 0xf000, v28
	s_delay_alu instid0(VALU_DEP_3) | instskip(SKIP_1) | instid1(VALU_DEP_3)
	v_lshrrev_b32_e32 v27, 8, v29
	v_bfe_i32 v29, v29, 0, 8
	v_lshrrev_b32_e32 v28, 8, v28
	s_delay_alu instid0(VALU_DEP_3) | instskip(NEXT) | instid1(VALU_DEP_3)
	v_bfe_i32 v27, v27, 0, 8
	v_cvt_f16_i16_e32 v29, v29
	s_delay_alu instid0(VALU_DEP_3) | instskip(NEXT) | instid1(VALU_DEP_3)
	v_bfe_i32 v28, v28, 0, 8
	v_cvt_f16_i16_e32 v27, v27
	s_delay_alu instid0(VALU_DEP_2) | instskip(NEXT) | instid1(VALU_DEP_2)
	v_cvt_f16_i16_e32 v28, v28
	v_pack_b32_f16 v27, v29, v27
	v_ashrrev_i16 v29, 8, v198
	s_delay_alu instid0(VALU_DEP_2) | instskip(NEXT) | instid1(VALU_DEP_2)
	v_pk_mul_f16 v27, v27, v26
	v_cvt_f16_i16_e32 v29, v29
	s_delay_alu instid0(VALU_DEP_2) | instskip(NEXT) | instid1(VALU_DEP_2)
	v_pk_fma_f16 v25, v27, v197, v25
	v_pack_b32_f16 v28, v29, v28
	s_delay_alu instid0(VALU_DEP_1) | instskip(NEXT) | instid1(VALU_DEP_1)
	v_pk_mul_f16 v26, v28, v26
	v_pk_fma_f16 v197, v26, v197, v20
	v_and_b32_e32 v20, 0xffff, v21
	s_delay_alu instid0(VALU_DEP_1) | instskip(SKIP_1) | instid1(VALU_DEP_1)
	v_mul_u32_u24_e32 v198, 0x10001, v20
	v_add_nc_u64_e32 v[20:21], s[14:15], v[132:133]
	v_add_nc_u64_e32 v[26:27], v[20:21], v[168:169]
	;; [unrolled: 1-line block ×3, first 2 shown]
	s_delay_alu instid0(VALU_DEP_2)
	v_add_nc_u64_e32 v[28:29], v[26:27], v[84:85]
	s_clause 0x2
	global_load_b32 v28, v[28:29], off offset:6
	global_load_b32 v29, v[26:27], off offset:2
	global_load_u16 v26, v[26:27], off
	s_wait_loadcnt 0x1
	v_dual_ashrrev_i32 v28, v192, v28 :: v_dual_lshrrev_b32 v201, v193, v29
	v_lshrrev_b32_e32 v200, v188, v29
	s_wait_loadcnt 0x0
	v_mul_u32_u24_e32 v26, 0x10001, v26
	s_delay_alu instid0(VALU_DEP_3) | instskip(NEXT) | instid1(VALU_DEP_3)
	v_and_b32_e32 v28, 0xf0f0f0f, v28
	v_dual_lshlrev_b32 v201, 12, v201 :: v_dual_lshlrev_b32 v200, 4, v200
	s_delay_alu instid0(VALU_DEP_1) | instskip(NEXT) | instid1(VALU_DEP_2)
	v_and_b32_e32 v201, 0x1000, v201
	v_and_b32_e32 v200, 16, v200
	s_delay_alu instid0(VALU_DEP_1) | instskip(SKIP_1) | instid1(VALU_DEP_1)
	v_or3_b32 v200, v200, v28, v201
	v_dual_lshrrev_b32 v201, v194, v29 :: v_dual_lshrrev_b32 v29, v195, v29
	v_lshlrev_b32_e32 v201, 20, v201
	s_delay_alu instid0(VALU_DEP_2) | instskip(NEXT) | instid1(VALU_DEP_2)
	v_lshlrev_b32_e32 v29, 28, v29
	v_and_b32_e32 v201, 0x100000, v201
	s_delay_alu instid0(VALU_DEP_2) | instskip(NEXT) | instid1(VALU_DEP_1)
	v_and_b32_e32 v29, 0x10000000, v29
	v_or3_b32 v28, v28, v201, v29
	v_lshlrev_b16 v29, 8, v200
	s_delay_alu instid0(VALU_DEP_2) | instskip(NEXT) | instid1(VALU_DEP_2)
	v_lshrrev_b32_e32 v28, 16, v28
	v_add_nc_u16 v29, 0xf000, v29
	s_delay_alu instid0(VALU_DEP_1) | instskip(NEXT) | instid1(VALU_DEP_1)
	v_lshrrev_b16 v29, 8, v29
	v_bitop3_b16 v29, v200, v29, 0x1f00 bitop3:0xec
	s_delay_alu instid0(VALU_DEP_4) | instskip(SKIP_1) | instid1(VALU_DEP_3)
	v_lshlrev_b16 v200, 8, v28
	v_and_b32_e32 v28, 0x1f00, v28
	v_add_nc_u16 v29, 0xf000, v29
	s_delay_alu instid0(VALU_DEP_3) | instskip(NEXT) | instid1(VALU_DEP_3)
	v_add_nc_u16 v200, 0xf000, v200
	v_add_nc_u16 v28, 0xf000, v28
	s_delay_alu instid0(VALU_DEP_3) | instskip(SKIP_1) | instid1(VALU_DEP_3)
	v_lshrrev_b32_e32 v27, 8, v29
	v_bfe_i32 v29, v29, 0, 8
	v_lshrrev_b32_e32 v28, 8, v28
	s_delay_alu instid0(VALU_DEP_3) | instskip(NEXT) | instid1(VALU_DEP_3)
	v_bfe_i32 v27, v27, 0, 8
	v_cvt_f16_i16_e32 v29, v29
	s_delay_alu instid0(VALU_DEP_3) | instskip(NEXT) | instid1(VALU_DEP_3)
	v_bfe_i32 v28, v28, 0, 8
	v_cvt_f16_i16_e32 v27, v27
	s_delay_alu instid0(VALU_DEP_2) | instskip(NEXT) | instid1(VALU_DEP_2)
	v_cvt_f16_i16_e32 v28, v28
	v_pack_b32_f16 v27, v29, v27
	v_ashrrev_i16 v29, 8, v200
	s_delay_alu instid0(VALU_DEP_2) | instskip(NEXT) | instid1(VALU_DEP_2)
	v_pk_mul_f16 v27, v27, v26
	v_cvt_f16_i16_e32 v29, v29
	s_delay_alu instid0(VALU_DEP_2) | instskip(NEXT) | instid1(VALU_DEP_2)
	v_pk_fma_f16 v30, v27, v198, v30
	v_pack_b32_f16 v28, v29, v28
	s_delay_alu instid0(VALU_DEP_1) | instskip(NEXT) | instid1(VALU_DEP_1)
	v_pk_mul_f16 v26, v28, v26
	v_pk_fma_f16 v31, v26, v198, v31
	v_add_nc_u64_e32 v[26:27], v[20:21], v[112:113]
	s_clause 0x2
	global_load_b32 v26, v[26:27], off offset:6
	global_load_b32 v27, v[20:21], off offset:2
	global_load_u16 v20, v[20:21], off
	s_wait_loadcnt 0x2
	v_ashrrev_i32_e32 v26, v192, v26
	s_wait_loadcnt 0x1
	v_dual_lshrrev_b32 v28, v188, v27 :: v_dual_lshrrev_b32 v29, v193, v27
	s_wait_loadcnt 0x0
	v_mul_u32_u24_e32 v20, 0x10001, v20
	v_and_b32_e32 v26, 0xf0f0f0f, v26
	s_delay_alu instid0(VALU_DEP_3) | instskip(NEXT) | instid1(VALU_DEP_1)
	v_dual_lshlrev_b32 v28, 4, v28 :: v_dual_lshlrev_b32 v29, 12, v29
	v_and_b32_e32 v28, 16, v28
	s_delay_alu instid0(VALU_DEP_2) | instskip(NEXT) | instid1(VALU_DEP_1)
	v_and_b32_e32 v29, 0x1000, v29
	v_or3_b32 v28, v28, v26, v29
	v_dual_lshrrev_b32 v29, v194, v27 :: v_dual_lshrrev_b32 v27, v195, v27
	s_delay_alu instid0(VALU_DEP_1) | instskip(NEXT) | instid1(VALU_DEP_1)
	v_dual_lshlrev_b32 v29, 20, v29 :: v_dual_lshlrev_b32 v27, 28, v27
	v_and_b32_e32 v29, 0x100000, v29
	s_delay_alu instid0(VALU_DEP_2) | instskip(NEXT) | instid1(VALU_DEP_1)
	v_and_b32_e32 v27, 0x10000000, v27
	v_or3_b32 v26, v26, v29, v27
	v_lshlrev_b16 v27, 8, v28
	s_delay_alu instid0(VALU_DEP_2) | instskip(NEXT) | instid1(VALU_DEP_2)
	v_lshrrev_b32_e32 v26, 16, v26
	v_add_nc_u16 v27, 0xf000, v27
	s_delay_alu instid0(VALU_DEP_1) | instskip(NEXT) | instid1(VALU_DEP_1)
	v_lshrrev_b16 v27, 8, v27
	v_bitop3_b16 v27, v28, v27, 0x1f00 bitop3:0xec
	s_delay_alu instid0(VALU_DEP_4) | instskip(SKIP_1) | instid1(VALU_DEP_3)
	v_lshlrev_b16 v28, 8, v26
	v_and_b32_e32 v26, 0x1f00, v26
	v_add_nc_u16 v27, 0xf000, v27
	s_delay_alu instid0(VALU_DEP_3) | instskip(NEXT) | instid1(VALU_DEP_3)
	v_add_nc_u16 v28, 0xf000, v28
	v_add_nc_u16 v26, 0xf000, v26
	s_delay_alu instid0(VALU_DEP_3) | instskip(SKIP_1) | instid1(VALU_DEP_3)
	v_lshrrev_b32_e32 v21, 8, v27
	v_bfe_i32 v27, v27, 0, 8
	v_lshrrev_b32_e32 v26, 8, v26
	s_delay_alu instid0(VALU_DEP_3) | instskip(NEXT) | instid1(VALU_DEP_3)
	v_bfe_i32 v21, v21, 0, 8
	v_cvt_f16_i16_e32 v27, v27
	s_delay_alu instid0(VALU_DEP_3) | instskip(NEXT) | instid1(VALU_DEP_3)
	v_bfe_i32 v26, v26, 0, 8
	v_cvt_f16_i16_e32 v21, v21
	s_delay_alu instid0(VALU_DEP_2) | instskip(NEXT) | instid1(VALU_DEP_2)
	v_cvt_f16_i16_e32 v26, v26
	v_pack_b32_f16 v21, v27, v21
	v_ashrrev_i16 v27, 8, v28
	s_delay_alu instid0(VALU_DEP_2) | instskip(NEXT) | instid1(VALU_DEP_2)
	v_pk_mul_f16 v21, v21, v20
	v_cvt_f16_i16_e32 v27, v27
	s_delay_alu instid0(VALU_DEP_2) | instskip(NEXT) | instid1(VALU_DEP_2)
	v_pk_fma_f16 v25, v21, v198, v25
	v_pack_b32_f16 v26, v27, v26
	s_delay_alu instid0(VALU_DEP_1) | instskip(NEXT) | instid1(VALU_DEP_1)
	v_pk_mul_f16 v20, v26, v20
	v_pk_fma_f16 v197, v20, v198, v197
	v_add_nc_u64_e32 v[20:21], s[14:15], v[134:135]
	v_mul_u32_u24_e32 v198, 0x10001, v199
	s_delay_alu instid0(VALU_DEP_2) | instskip(SKIP_1) | instid1(VALU_DEP_2)
	v_add_nc_u64_e32 v[26:27], v[20:21], v[168:169]
	v_add_nc_u64_e32 v[20:21], v[20:21], v[166:167]
	;; [unrolled: 1-line block ×3, first 2 shown]
	s_clause 0x2
	global_load_b32 v28, v[28:29], off offset:6
	global_load_b32 v29, v[26:27], off offset:2
	global_load_u16 v26, v[26:27], off
	s_wait_loadcnt 0x1
	v_dual_lshrrev_b32 v199, v188, v29 :: v_dual_lshrrev_b32 v200, v193, v29
	v_ashrrev_i32_e32 v28, v192, v28
	s_wait_loadcnt 0x0
	v_mul_u32_u24_e32 v26, 0x10001, v26
	s_delay_alu instid0(VALU_DEP_3) | instskip(NEXT) | instid1(VALU_DEP_3)
	v_dual_lshlrev_b32 v199, 4, v199 :: v_dual_lshlrev_b32 v200, 12, v200
	v_and_b32_e32 v28, 0xf0f0f0f, v28
	s_delay_alu instid0(VALU_DEP_2) | instskip(NEXT) | instid1(VALU_DEP_3)
	v_and_b32_e32 v199, 16, v199
	v_and_b32_e32 v200, 0x1000, v200
	s_delay_alu instid0(VALU_DEP_1) | instskip(SKIP_1) | instid1(VALU_DEP_1)
	v_or3_b32 v199, v199, v28, v200
	v_dual_lshrrev_b32 v200, v194, v29 :: v_dual_lshrrev_b32 v29, v195, v29
	v_dual_lshlrev_b32 v200, 20, v200 :: v_dual_lshlrev_b32 v29, 28, v29
	s_delay_alu instid0(VALU_DEP_1) | instskip(NEXT) | instid1(VALU_DEP_2)
	v_and_b32_e32 v200, 0x100000, v200
	v_and_b32_e32 v29, 0x10000000, v29
	s_delay_alu instid0(VALU_DEP_1) | instskip(SKIP_1) | instid1(VALU_DEP_1)
	v_or3_b32 v28, v28, v200, v29
	v_lshlrev_b16 v29, 8, v199
	v_add_nc_u16 v29, 0xf000, v29
	s_delay_alu instid0(VALU_DEP_1) | instskip(NEXT) | instid1(VALU_DEP_1)
	v_lshrrev_b16 v29, 8, v29
	v_bitop3_b16 v29, v199, v29, 0x1f00 bitop3:0xec
	s_delay_alu instid0(VALU_DEP_1) | instskip(NEXT) | instid1(VALU_DEP_1)
	v_add_nc_u16 v29, 0xf000, v29
	v_dual_lshrrev_b32 v28, 16, v28 :: v_dual_lshrrev_b32 v27, 8, v29
	s_delay_alu instid0(VALU_DEP_1) | instskip(SKIP_2) | instid1(VALU_DEP_4)
	v_lshlrev_b16 v199, 8, v28
	v_and_b32_e32 v28, 0x1f00, v28
	v_bfe_i32 v29, v29, 0, 8
	v_bfe_i32 v27, v27, 0, 8
	s_delay_alu instid0(VALU_DEP_4) | instskip(NEXT) | instid1(VALU_DEP_4)
	v_add_nc_u16 v199, 0xf000, v199
	v_add_nc_u16 v28, 0xf000, v28
	s_delay_alu instid0(VALU_DEP_4) | instskip(NEXT) | instid1(VALU_DEP_4)
	v_cvt_f16_i16_e32 v29, v29
	v_cvt_f16_i16_e32 v27, v27
	s_delay_alu instid0(VALU_DEP_3) | instskip(NEXT) | instid1(VALU_DEP_2)
	v_lshrrev_b32_e32 v28, 8, v28
	v_pack_b32_f16 v27, v29, v27
	v_ashrrev_i16 v29, 8, v199
	s_delay_alu instid0(VALU_DEP_3) | instskip(NEXT) | instid1(VALU_DEP_3)
	v_bfe_i32 v28, v28, 0, 8
	v_pk_mul_f16 v27, v27, v26
	s_delay_alu instid0(VALU_DEP_3) | instskip(NEXT) | instid1(VALU_DEP_3)
	v_cvt_f16_i16_e32 v29, v29
	v_cvt_f16_i16_e32 v28, v28
	s_delay_alu instid0(VALU_DEP_3) | instskip(NEXT) | instid1(VALU_DEP_2)
	v_pk_fma_f16 v30, v27, v198, v30
	v_pack_b32_f16 v28, v29, v28
	s_delay_alu instid0(VALU_DEP_1) | instskip(NEXT) | instid1(VALU_DEP_1)
	v_pk_mul_f16 v26, v28, v26
	v_pk_fma_f16 v31, v26, v198, v31
	v_add_nc_u64_e32 v[26:27], v[20:21], v[112:113]
	s_clause 0x2
	global_load_b32 v26, v[26:27], off offset:6
	global_load_b32 v27, v[20:21], off offset:2
	global_load_u16 v20, v[20:21], off
	s_wait_loadcnt 0x2
	v_ashrrev_i32_e32 v26, v192, v26
	s_wait_loadcnt 0x1
	v_dual_lshrrev_b32 v28, v188, v27 :: v_dual_lshrrev_b32 v29, v193, v27
	s_wait_loadcnt 0x0
	v_mul_u32_u24_e32 v20, 0x10001, v20
	v_and_b32_e32 v26, 0xf0f0f0f, v26
	s_delay_alu instid0(VALU_DEP_3) | instskip(NEXT) | instid1(VALU_DEP_1)
	v_dual_lshlrev_b32 v28, 4, v28 :: v_dual_lshlrev_b32 v29, 12, v29
	v_and_b32_e32 v28, 16, v28
	s_delay_alu instid0(VALU_DEP_2) | instskip(NEXT) | instid1(VALU_DEP_1)
	v_and_b32_e32 v29, 0x1000, v29
	v_or3_b32 v28, v28, v26, v29
	v_dual_lshrrev_b32 v29, v194, v27 :: v_dual_lshrrev_b32 v27, v195, v27
	s_delay_alu instid0(VALU_DEP_1) | instskip(NEXT) | instid1(VALU_DEP_1)
	v_dual_lshlrev_b32 v29, 20, v29 :: v_dual_lshlrev_b32 v27, 28, v27
	v_and_b32_e32 v29, 0x100000, v29
	s_delay_alu instid0(VALU_DEP_2) | instskip(NEXT) | instid1(VALU_DEP_1)
	v_and_b32_e32 v27, 0x10000000, v27
	v_or3_b32 v26, v26, v29, v27
	v_lshlrev_b16 v27, 8, v28
	s_delay_alu instid0(VALU_DEP_2) | instskip(NEXT) | instid1(VALU_DEP_2)
	v_lshrrev_b32_e32 v26, 16, v26
	v_add_nc_u16 v27, 0xf000, v27
	s_delay_alu instid0(VALU_DEP_1) | instskip(NEXT) | instid1(VALU_DEP_1)
	v_lshrrev_b16 v27, 8, v27
	v_bitop3_b16 v27, v28, v27, 0x1f00 bitop3:0xec
	s_delay_alu instid0(VALU_DEP_4) | instskip(SKIP_1) | instid1(VALU_DEP_3)
	v_lshlrev_b16 v28, 8, v26
	v_and_b32_e32 v26, 0x1f00, v26
	v_add_nc_u16 v27, 0xf000, v27
	s_delay_alu instid0(VALU_DEP_3) | instskip(NEXT) | instid1(VALU_DEP_3)
	v_add_nc_u16 v28, 0xf000, v28
	v_add_nc_u16 v26, 0xf000, v26
	s_delay_alu instid0(VALU_DEP_3) | instskip(SKIP_1) | instid1(VALU_DEP_3)
	v_lshrrev_b32_e32 v21, 8, v27
	v_bfe_i32 v27, v27, 0, 8
	v_lshrrev_b32_e32 v26, 8, v26
	s_delay_alu instid0(VALU_DEP_3) | instskip(NEXT) | instid1(VALU_DEP_3)
	v_bfe_i32 v21, v21, 0, 8
	v_cvt_f16_i16_e32 v27, v27
	s_delay_alu instid0(VALU_DEP_3) | instskip(NEXT) | instid1(VALU_DEP_3)
	v_bfe_i32 v26, v26, 0, 8
	v_cvt_f16_i16_e32 v21, v21
	s_delay_alu instid0(VALU_DEP_2) | instskip(NEXT) | instid1(VALU_DEP_2)
	v_cvt_f16_i16_e32 v26, v26
	v_pack_b32_f16 v21, v27, v21
	v_ashrrev_i16 v27, 8, v28
	s_delay_alu instid0(VALU_DEP_2) | instskip(NEXT) | instid1(VALU_DEP_2)
	v_pk_mul_f16 v21, v21, v20
	v_cvt_f16_i16_e32 v27, v27
	s_delay_alu instid0(VALU_DEP_2) | instskip(NEXT) | instid1(VALU_DEP_2)
	v_pk_fma_f16 v25, v21, v198, v25
	v_pack_b32_f16 v26, v27, v26
	s_delay_alu instid0(VALU_DEP_1) | instskip(NEXT) | instid1(VALU_DEP_1)
	v_pk_mul_f16 v20, v26, v20
	v_pk_fma_f16 v197, v20, v198, v197
	v_and_b32_e32 v20, 0xffff, v22
	s_delay_alu instid0(VALU_DEP_1) | instskip(SKIP_1) | instid1(VALU_DEP_1)
	v_mul_u32_u24_e32 v22, 0x10001, v20
	v_add_nc_u64_e32 v[20:21], s[14:15], v[136:137]
	v_add_nc_u64_e32 v[26:27], v[20:21], v[168:169]
	v_add_nc_u64_e32 v[20:21], v[20:21], v[166:167]
	s_delay_alu instid0(VALU_DEP_2)
	v_add_nc_u64_e32 v[28:29], v[26:27], v[84:85]
	s_clause 0x2
	global_load_b32 v28, v[28:29], off offset:6
	global_load_b32 v29, v[26:27], off offset:2
	global_load_u16 v26, v[26:27], off
	s_wait_loadcnt 0x1
	v_dual_lshrrev_b32 v198, v188, v29 :: v_dual_lshrrev_b32 v199, v193, v29
	v_ashrrev_i32_e32 v28, v192, v28
	s_wait_loadcnt 0x0
	v_mul_u32_u24_e32 v26, 0x10001, v26
	s_delay_alu instid0(VALU_DEP_3) | instskip(NEXT) | instid1(VALU_DEP_3)
	v_dual_lshlrev_b32 v198, 4, v198 :: v_dual_lshlrev_b32 v199, 12, v199
	v_and_b32_e32 v28, 0xf0f0f0f, v28
	s_delay_alu instid0(VALU_DEP_2) | instskip(NEXT) | instid1(VALU_DEP_3)
	v_and_b32_e32 v198, 16, v198
	v_and_b32_e32 v199, 0x1000, v199
	s_delay_alu instid0(VALU_DEP_1) | instskip(SKIP_1) | instid1(VALU_DEP_1)
	v_or3_b32 v198, v198, v28, v199
	v_dual_lshrrev_b32 v199, v194, v29 :: v_dual_lshrrev_b32 v29, v195, v29
	v_dual_lshlrev_b32 v199, 20, v199 :: v_dual_lshlrev_b32 v29, 28, v29
	s_delay_alu instid0(VALU_DEP_1) | instskip(NEXT) | instid1(VALU_DEP_2)
	v_and_b32_e32 v199, 0x100000, v199
	v_and_b32_e32 v29, 0x10000000, v29
	s_delay_alu instid0(VALU_DEP_1) | instskip(SKIP_1) | instid1(VALU_DEP_1)
	v_or3_b32 v28, v28, v199, v29
	v_lshlrev_b16 v29, 8, v198
	v_add_nc_u16 v29, 0xf000, v29
	s_delay_alu instid0(VALU_DEP_1) | instskip(NEXT) | instid1(VALU_DEP_1)
	v_lshrrev_b16 v29, 8, v29
	v_bitop3_b16 v29, v198, v29, 0x1f00 bitop3:0xec
	s_delay_alu instid0(VALU_DEP_1) | instskip(NEXT) | instid1(VALU_DEP_1)
	v_add_nc_u16 v29, 0xf000, v29
	v_dual_lshrrev_b32 v28, 16, v28 :: v_dual_lshrrev_b32 v27, 8, v29
	s_delay_alu instid0(VALU_DEP_1) | instskip(SKIP_2) | instid1(VALU_DEP_4)
	v_lshlrev_b16 v198, 8, v28
	v_and_b32_e32 v28, 0x1f00, v28
	v_bfe_i32 v29, v29, 0, 8
	v_bfe_i32 v27, v27, 0, 8
	s_delay_alu instid0(VALU_DEP_4) | instskip(NEXT) | instid1(VALU_DEP_4)
	v_add_nc_u16 v198, 0xf000, v198
	v_add_nc_u16 v28, 0xf000, v28
	s_delay_alu instid0(VALU_DEP_4) | instskip(NEXT) | instid1(VALU_DEP_4)
	v_cvt_f16_i16_e32 v29, v29
	v_cvt_f16_i16_e32 v27, v27
	s_delay_alu instid0(VALU_DEP_3) | instskip(NEXT) | instid1(VALU_DEP_2)
	v_lshrrev_b32_e32 v28, 8, v28
	v_pack_b32_f16 v27, v29, v27
	v_ashrrev_i16 v29, 8, v198
	s_delay_alu instid0(VALU_DEP_3) | instskip(NEXT) | instid1(VALU_DEP_3)
	v_bfe_i32 v28, v28, 0, 8
	v_pk_mul_f16 v27, v27, v26
	s_delay_alu instid0(VALU_DEP_3) | instskip(NEXT) | instid1(VALU_DEP_3)
	v_cvt_f16_i16_e32 v29, v29
	v_cvt_f16_i16_e32 v28, v28
	s_delay_alu instid0(VALU_DEP_3) | instskip(NEXT) | instid1(VALU_DEP_2)
	v_pk_fma_f16 v30, v27, v22, v30
	v_pack_b32_f16 v28, v29, v28
	s_delay_alu instid0(VALU_DEP_1) | instskip(NEXT) | instid1(VALU_DEP_1)
	v_pk_mul_f16 v26, v28, v26
	v_pk_fma_f16 v31, v26, v22, v31
	v_add_nc_u64_e32 v[26:27], v[20:21], v[112:113]
	s_clause 0x2
	global_load_b32 v26, v[26:27], off offset:6
	global_load_b32 v27, v[20:21], off offset:2
	global_load_u16 v20, v[20:21], off
	s_wait_loadcnt 0x2
	v_ashrrev_i32_e32 v26, v192, v26
	s_wait_loadcnt 0x1
	v_dual_lshrrev_b32 v28, v188, v27 :: v_dual_lshrrev_b32 v29, v193, v27
	s_wait_loadcnt 0x0
	v_mul_u32_u24_e32 v20, 0x10001, v20
	v_and_b32_e32 v26, 0xf0f0f0f, v26
	s_delay_alu instid0(VALU_DEP_3) | instskip(NEXT) | instid1(VALU_DEP_1)
	v_dual_lshlrev_b32 v28, 4, v28 :: v_dual_lshlrev_b32 v29, 12, v29
	v_and_b32_e32 v28, 16, v28
	s_delay_alu instid0(VALU_DEP_2) | instskip(NEXT) | instid1(VALU_DEP_1)
	v_and_b32_e32 v29, 0x1000, v29
	v_or3_b32 v28, v28, v26, v29
	v_dual_lshrrev_b32 v29, v194, v27 :: v_dual_lshrrev_b32 v27, v195, v27
	s_delay_alu instid0(VALU_DEP_1) | instskip(NEXT) | instid1(VALU_DEP_1)
	v_dual_lshlrev_b32 v29, 20, v29 :: v_dual_lshlrev_b32 v27, 28, v27
	v_and_b32_e32 v29, 0x100000, v29
	s_delay_alu instid0(VALU_DEP_2) | instskip(NEXT) | instid1(VALU_DEP_1)
	v_and_b32_e32 v27, 0x10000000, v27
	v_or3_b32 v26, v26, v29, v27
	v_lshlrev_b16 v27, 8, v28
	s_delay_alu instid0(VALU_DEP_2) | instskip(NEXT) | instid1(VALU_DEP_2)
	v_lshrrev_b32_e32 v26, 16, v26
	v_add_nc_u16 v27, 0xf000, v27
	s_delay_alu instid0(VALU_DEP_1) | instskip(NEXT) | instid1(VALU_DEP_1)
	v_lshrrev_b16 v27, 8, v27
	v_bitop3_b16 v27, v28, v27, 0x1f00 bitop3:0xec
	s_delay_alu instid0(VALU_DEP_4) | instskip(SKIP_1) | instid1(VALU_DEP_3)
	v_lshlrev_b16 v28, 8, v26
	v_and_b32_e32 v26, 0x1f00, v26
	v_add_nc_u16 v27, 0xf000, v27
	s_delay_alu instid0(VALU_DEP_3) | instskip(NEXT) | instid1(VALU_DEP_3)
	v_add_nc_u16 v28, 0xf000, v28
	v_add_nc_u16 v26, 0xf000, v26
	s_delay_alu instid0(VALU_DEP_3) | instskip(SKIP_1) | instid1(VALU_DEP_3)
	v_lshrrev_b32_e32 v21, 8, v27
	v_bfe_i32 v27, v27, 0, 8
	v_lshrrev_b32_e32 v26, 8, v26
	s_delay_alu instid0(VALU_DEP_3) | instskip(NEXT) | instid1(VALU_DEP_3)
	v_bfe_i32 v21, v21, 0, 8
	v_cvt_f16_i16_e32 v27, v27
	s_delay_alu instid0(VALU_DEP_3) | instskip(NEXT) | instid1(VALU_DEP_3)
	v_bfe_i32 v26, v26, 0, 8
	v_cvt_f16_i16_e32 v21, v21
	s_delay_alu instid0(VALU_DEP_2) | instskip(NEXT) | instid1(VALU_DEP_2)
	v_cvt_f16_i16_e32 v26, v26
	v_pack_b32_f16 v21, v27, v21
	v_ashrrev_i16 v27, 8, v28
	s_delay_alu instid0(VALU_DEP_2) | instskip(NEXT) | instid1(VALU_DEP_2)
	v_pk_mul_f16 v21, v21, v20
	v_cvt_f16_i16_e32 v27, v27
	s_delay_alu instid0(VALU_DEP_2) | instskip(NEXT) | instid1(VALU_DEP_2)
	v_pk_fma_f16 v25, v21, v22, v25
	v_pack_b32_f16 v26, v27, v26
	s_delay_alu instid0(VALU_DEP_1) | instskip(NEXT) | instid1(VALU_DEP_1)
	v_pk_mul_f16 v20, v26, v20
	v_pk_fma_f16 v22, v20, v22, v197
	v_add_nc_u64_e32 v[20:21], s[14:15], v[140:141]
	v_mul_u32_u24_e32 v197, 0x10001, v202
	s_delay_alu instid0(VALU_DEP_2) | instskip(SKIP_1) | instid1(VALU_DEP_2)
	v_add_nc_u64_e32 v[26:27], v[20:21], v[168:169]
	v_add_nc_u64_e32 v[20:21], v[20:21], v[166:167]
	;; [unrolled: 1-line block ×3, first 2 shown]
	s_clause 0x2
	global_load_b32 v28, v[28:29], off offset:6
	global_load_b32 v29, v[26:27], off offset:2
	global_load_u16 v26, v[26:27], off
	s_wait_loadcnt 0x1
	v_dual_lshrrev_b32 v198, v188, v29 :: v_dual_lshrrev_b32 v199, v193, v29
	v_ashrrev_i32_e32 v28, v192, v28
	s_wait_loadcnt 0x0
	v_mul_u32_u24_e32 v26, 0x10001, v26
	s_delay_alu instid0(VALU_DEP_3) | instskip(NEXT) | instid1(VALU_DEP_3)
	v_dual_lshlrev_b32 v198, 4, v198 :: v_dual_lshlrev_b32 v199, 12, v199
	v_and_b32_e32 v28, 0xf0f0f0f, v28
	s_delay_alu instid0(VALU_DEP_2) | instskip(NEXT) | instid1(VALU_DEP_3)
	v_and_b32_e32 v198, 16, v198
	v_and_b32_e32 v199, 0x1000, v199
	s_delay_alu instid0(VALU_DEP_1) | instskip(SKIP_1) | instid1(VALU_DEP_1)
	v_or3_b32 v198, v198, v28, v199
	v_dual_lshrrev_b32 v199, v194, v29 :: v_dual_lshrrev_b32 v29, v195, v29
	v_dual_lshlrev_b32 v199, 20, v199 :: v_dual_lshlrev_b32 v29, 28, v29
	s_delay_alu instid0(VALU_DEP_1) | instskip(NEXT) | instid1(VALU_DEP_2)
	v_and_b32_e32 v199, 0x100000, v199
	v_and_b32_e32 v29, 0x10000000, v29
	s_delay_alu instid0(VALU_DEP_1) | instskip(SKIP_1) | instid1(VALU_DEP_1)
	v_or3_b32 v28, v28, v199, v29
	v_lshlrev_b16 v29, 8, v198
	v_add_nc_u16 v29, 0xf000, v29
	s_delay_alu instid0(VALU_DEP_1) | instskip(NEXT) | instid1(VALU_DEP_1)
	v_lshrrev_b16 v29, 8, v29
	v_bitop3_b16 v29, v198, v29, 0x1f00 bitop3:0xec
	s_delay_alu instid0(VALU_DEP_1) | instskip(NEXT) | instid1(VALU_DEP_1)
	v_add_nc_u16 v29, 0xf000, v29
	v_dual_lshrrev_b32 v28, 16, v28 :: v_dual_lshrrev_b32 v27, 8, v29
	s_delay_alu instid0(VALU_DEP_1) | instskip(SKIP_2) | instid1(VALU_DEP_4)
	v_lshlrev_b16 v198, 8, v28
	v_and_b32_e32 v28, 0x1f00, v28
	v_bfe_i32 v29, v29, 0, 8
	v_bfe_i32 v27, v27, 0, 8
	s_delay_alu instid0(VALU_DEP_4) | instskip(NEXT) | instid1(VALU_DEP_4)
	v_add_nc_u16 v198, 0xf000, v198
	v_add_nc_u16 v28, 0xf000, v28
	s_delay_alu instid0(VALU_DEP_4) | instskip(NEXT) | instid1(VALU_DEP_4)
	v_cvt_f16_i16_e32 v29, v29
	v_cvt_f16_i16_e32 v27, v27
	s_delay_alu instid0(VALU_DEP_3) | instskip(NEXT) | instid1(VALU_DEP_2)
	v_lshrrev_b32_e32 v28, 8, v28
	v_pack_b32_f16 v27, v29, v27
	v_ashrrev_i16 v29, 8, v198
	s_delay_alu instid0(VALU_DEP_3) | instskip(NEXT) | instid1(VALU_DEP_3)
	v_bfe_i32 v28, v28, 0, 8
	v_pk_mul_f16 v27, v27, v26
	s_delay_alu instid0(VALU_DEP_3) | instskip(NEXT) | instid1(VALU_DEP_3)
	v_cvt_f16_i16_e32 v29, v29
	v_cvt_f16_i16_e32 v28, v28
	s_delay_alu instid0(VALU_DEP_1) | instskip(NEXT) | instid1(VALU_DEP_1)
	v_pack_b32_f16 v28, v29, v28
	v_pk_mul_f16 v26, v28, v26
	v_pk_fma_f16 v28, v27, v197, v30
	s_delay_alu instid0(VALU_DEP_2)
	v_pk_fma_f16 v29, v26, v197, v31
	v_add_nc_u64_e32 v[26:27], v[20:21], v[112:113]
	s_clause 0x2
	global_load_b32 v26, v[26:27], off offset:6
	global_load_b32 v27, v[20:21], off offset:2
	global_load_u16 v20, v[20:21], off
	s_wait_loadcnt 0x2
	v_ashrrev_i32_e32 v26, v192, v26
	s_wait_loadcnt 0x1
	v_dual_lshrrev_b32 v30, v188, v27 :: v_dual_lshrrev_b32 v31, v193, v27
	s_wait_loadcnt 0x0
	v_mul_u32_u24_e32 v20, 0x10001, v20
	v_and_b32_e32 v26, 0xf0f0f0f, v26
	s_delay_alu instid0(VALU_DEP_3) | instskip(NEXT) | instid1(VALU_DEP_1)
	v_dual_lshlrev_b32 v30, 4, v30 :: v_dual_lshlrev_b32 v31, 12, v31
	v_and_b32_e32 v30, 16, v30
	s_delay_alu instid0(VALU_DEP_2) | instskip(NEXT) | instid1(VALU_DEP_1)
	v_and_b32_e32 v31, 0x1000, v31
	v_or3_b32 v30, v30, v26, v31
	v_dual_lshrrev_b32 v31, v194, v27 :: v_dual_lshrrev_b32 v27, v195, v27
	s_delay_alu instid0(VALU_DEP_1) | instskip(NEXT) | instid1(VALU_DEP_2)
	v_lshlrev_b32_e32 v31, 20, v31
	v_lshlrev_b32_e32 v27, 28, v27
	s_delay_alu instid0(VALU_DEP_2) | instskip(NEXT) | instid1(VALU_DEP_2)
	v_and_b32_e32 v31, 0x100000, v31
	v_and_b32_e32 v27, 0x10000000, v27
	s_delay_alu instid0(VALU_DEP_1) | instskip(SKIP_1) | instid1(VALU_DEP_2)
	v_or3_b32 v26, v26, v31, v27
	v_lshlrev_b16 v27, 8, v30
	v_lshrrev_b32_e32 v26, 16, v26
	s_delay_alu instid0(VALU_DEP_2) | instskip(NEXT) | instid1(VALU_DEP_1)
	v_add_nc_u16 v27, 0xf000, v27
	v_lshrrev_b16 v27, 8, v27
	s_delay_alu instid0(VALU_DEP_1) | instskip(NEXT) | instid1(VALU_DEP_4)
	v_bitop3_b16 v27, v30, v27, 0x1f00 bitop3:0xec
	v_lshlrev_b16 v30, 8, v26
	v_and_b32_e32 v26, 0x1f00, v26
	s_delay_alu instid0(VALU_DEP_3) | instskip(NEXT) | instid1(VALU_DEP_3)
	v_add_nc_u16 v27, 0xf000, v27
	v_add_nc_u16 v30, 0xf000, v30
	s_delay_alu instid0(VALU_DEP_3) | instskip(NEXT) | instid1(VALU_DEP_3)
	v_add_nc_u16 v26, 0xf000, v26
	v_lshrrev_b32_e32 v21, 8, v27
	v_bfe_i32 v27, v27, 0, 8
	s_delay_alu instid0(VALU_DEP_3) | instskip(NEXT) | instid1(VALU_DEP_3)
	v_lshrrev_b32_e32 v26, 8, v26
	v_bfe_i32 v21, v21, 0, 8
	s_delay_alu instid0(VALU_DEP_3) | instskip(NEXT) | instid1(VALU_DEP_3)
	v_cvt_f16_i16_e32 v27, v27
	v_bfe_i32 v26, v26, 0, 8
	s_delay_alu instid0(VALU_DEP_3) | instskip(NEXT) | instid1(VALU_DEP_2)
	v_cvt_f16_i16_e32 v21, v21
	v_cvt_f16_i16_e32 v26, v26
	s_delay_alu instid0(VALU_DEP_2) | instskip(SKIP_1) | instid1(VALU_DEP_2)
	v_pack_b32_f16 v21, v27, v21
	v_ashrrev_i16 v27, 8, v30
	v_pk_mul_f16 v21, v21, v20
	s_delay_alu instid0(VALU_DEP_2) | instskip(NEXT) | instid1(VALU_DEP_2)
	v_cvt_f16_i16_e32 v27, v27
	v_pk_fma_f16 v25, v21, v197, v25
	s_delay_alu instid0(VALU_DEP_2) | instskip(NEXT) | instid1(VALU_DEP_1)
	v_pack_b32_f16 v26, v27, v26
	v_pk_mul_f16 v20, v26, v20
	s_delay_alu instid0(VALU_DEP_1) | instskip(SKIP_1) | instid1(VALU_DEP_1)
	v_pk_fma_f16 v30, v20, v197, v22
	v_and_b32_e32 v20, 0xffff, v23
	v_mul_u32_u24_e32 v31, 0x10001, v20
	v_add_nc_u64_e32 v[20:21], s[14:15], v[142:143]
	s_delay_alu instid0(VALU_DEP_1) | instskip(SKIP_1) | instid1(VALU_DEP_2)
	v_add_nc_u64_e32 v[22:23], v[20:21], v[168:169]
	v_add_nc_u64_e32 v[20:21], v[20:21], v[166:167]
	v_add_nc_u64_e32 v[26:27], v[22:23], v[84:85]
	s_clause 0x2
	global_load_b32 v26, v[26:27], off offset:6
	global_load_b32 v27, v[22:23], off offset:2
	global_load_u16 v22, v[22:23], off
	s_wait_loadcnt 0x2
	v_ashrrev_i32_e32 v26, v192, v26
	s_wait_loadcnt 0x1
	v_dual_lshrrev_b32 v197, v188, v27 :: v_dual_lshrrev_b32 v198, v193, v27
	s_wait_loadcnt 0x0
	v_mul_u32_u24_e32 v22, 0x10001, v22
	v_and_b32_e32 v26, 0xf0f0f0f, v26
	s_delay_alu instid0(VALU_DEP_3) | instskip(NEXT) | instid1(VALU_DEP_1)
	v_dual_lshlrev_b32 v197, 4, v197 :: v_dual_lshlrev_b32 v198, 12, v198
	v_and_b32_e32 v197, 16, v197
	s_delay_alu instid0(VALU_DEP_2) | instskip(NEXT) | instid1(VALU_DEP_1)
	v_and_b32_e32 v198, 0x1000, v198
	v_or3_b32 v197, v197, v26, v198
	v_dual_lshrrev_b32 v198, v194, v27 :: v_dual_lshrrev_b32 v27, v195, v27
	s_delay_alu instid0(VALU_DEP_1) | instskip(NEXT) | instid1(VALU_DEP_1)
	v_dual_lshlrev_b32 v198, 20, v198 :: v_dual_lshlrev_b32 v27, 28, v27
	v_and_b32_e32 v198, 0x100000, v198
	s_delay_alu instid0(VALU_DEP_2) | instskip(NEXT) | instid1(VALU_DEP_1)
	v_and_b32_e32 v27, 0x10000000, v27
	v_or3_b32 v26, v26, v198, v27
	v_lshlrev_b16 v27, 8, v197
	s_wait_dscnt 0x0
	v_lshrrev_b32_e32 v198, 16, v19
	s_delay_alu instid0(VALU_DEP_2) | instskip(NEXT) | instid1(VALU_DEP_1)
	v_add_nc_u16 v27, 0xf000, v27
	v_lshrrev_b16 v27, 8, v27
	s_delay_alu instid0(VALU_DEP_1) | instskip(NEXT) | instid1(VALU_DEP_1)
	v_bitop3_b16 v27, v197, v27, 0x1f00 bitop3:0xec
	v_add_nc_u16 v27, 0xf000, v27
	s_delay_alu instid0(VALU_DEP_1) | instskip(NEXT) | instid1(VALU_DEP_1)
	v_dual_lshrrev_b32 v26, 16, v26 :: v_dual_lshrrev_b32 v23, 8, v27
	v_lshlrev_b16 v197, 8, v26
	v_and_b32_e32 v26, 0x1f00, v26
	v_bfe_i32 v27, v27, 0, 8
	s_delay_alu instid0(VALU_DEP_4) | instskip(NEXT) | instid1(VALU_DEP_4)
	v_bfe_i32 v23, v23, 0, 8
	v_add_nc_u16 v197, 0xf000, v197
	s_delay_alu instid0(VALU_DEP_4) | instskip(NEXT) | instid1(VALU_DEP_4)
	v_add_nc_u16 v26, 0xf000, v26
	v_cvt_f16_i16_e32 v27, v27
	s_delay_alu instid0(VALU_DEP_4) | instskip(NEXT) | instid1(VALU_DEP_3)
	v_cvt_f16_i16_e32 v23, v23
	v_lshrrev_b32_e32 v26, 8, v26
	s_delay_alu instid0(VALU_DEP_2) | instskip(SKIP_1) | instid1(VALU_DEP_3)
	v_pack_b32_f16 v23, v27, v23
	v_ashrrev_i16 v27, 8, v197
	v_bfe_i32 v26, v26, 0, 8
	s_delay_alu instid0(VALU_DEP_3) | instskip(NEXT) | instid1(VALU_DEP_3)
	v_pk_mul_f16 v23, v23, v22
	v_cvt_f16_i16_e32 v27, v27
	s_delay_alu instid0(VALU_DEP_3) | instskip(NEXT) | instid1(VALU_DEP_1)
	v_cvt_f16_i16_e32 v26, v26
	v_pack_b32_f16 v26, v27, v26
	s_delay_alu instid0(VALU_DEP_1) | instskip(SKIP_1) | instid1(VALU_DEP_2)
	v_pk_mul_f16 v22, v26, v22
	v_pk_fma_f16 v26, v23, v31, v28
	v_pk_fma_f16 v27, v22, v31, v29
	v_add_nc_u64_e32 v[22:23], v[20:21], v[112:113]
	s_clause 0x2
	global_load_b32 v22, v[22:23], off offset:6
	global_load_b32 v23, v[20:21], off offset:2
	global_load_u16 v20, v[20:21], off
	s_wait_loadcnt 0x1
	v_lshrrev_b32_e32 v28, v188, v23
	v_dual_ashrrev_i32 v22, v192, v22 :: v_dual_lshrrev_b32 v29, v193, v23
	s_wait_loadcnt 0x0
	v_mul_u32_u24_e32 v20, 0x10001, v20
	s_delay_alu instid0(VALU_DEP_3) | instskip(NEXT) | instid1(VALU_DEP_3)
	v_lshlrev_b32_e32 v28, 4, v28
	v_and_b32_e32 v22, 0xf0f0f0f, v22
	s_delay_alu instid0(VALU_DEP_2) | instskip(NEXT) | instid1(VALU_DEP_1)
	v_dual_lshlrev_b32 v29, 12, v29 :: v_dual_bitop2_b32 v28, 16, v28 bitop3:0x40
	v_and_b32_e32 v29, 0x1000, v29
	s_delay_alu instid0(VALU_DEP_1) | instskip(SKIP_1) | instid1(VALU_DEP_1)
	v_or3_b32 v28, v28, v22, v29
	v_dual_lshrrev_b32 v29, v194, v23 :: v_dual_lshrrev_b32 v23, v195, v23
	v_dual_lshlrev_b32 v23, 28, v23 :: v_dual_lshlrev_b32 v29, 20, v29
	s_delay_alu instid0(VALU_DEP_1) | instskip(NEXT) | instid1(VALU_DEP_2)
	v_and_b32_e32 v23, 0x10000000, v23
	v_and_b32_e32 v29, 0x100000, v29
	s_delay_alu instid0(VALU_DEP_1) | instskip(SKIP_1) | instid1(VALU_DEP_2)
	v_or3_b32 v22, v22, v29, v23
	v_lshlrev_b16 v23, 8, v28
	v_lshrrev_b32_e32 v22, 16, v22
	s_delay_alu instid0(VALU_DEP_2) | instskip(NEXT) | instid1(VALU_DEP_1)
	v_add_nc_u16 v23, 0xf000, v23
	v_lshrrev_b16 v23, 8, v23
	s_delay_alu instid0(VALU_DEP_1) | instskip(NEXT) | instid1(VALU_DEP_4)
	v_bitop3_b16 v23, v28, v23, 0x1f00 bitop3:0xec
	v_lshlrev_b16 v28, 8, v22
	v_and_b32_e32 v22, 0x1f00, v22
	s_delay_alu instid0(VALU_DEP_3) | instskip(NEXT) | instid1(VALU_DEP_3)
	v_add_nc_u16 v23, 0xf000, v23
	v_add_nc_u16 v28, 0xf000, v28
	s_delay_alu instid0(VALU_DEP_3) | instskip(NEXT) | instid1(VALU_DEP_3)
	v_add_nc_u16 v22, 0xf000, v22
	v_lshrrev_b32_e32 v21, 8, v23
	v_bfe_i32 v23, v23, 0, 8
	s_delay_alu instid0(VALU_DEP_3) | instskip(NEXT) | instid1(VALU_DEP_3)
	v_lshrrev_b32_e32 v22, 8, v22
	v_bfe_i32 v21, v21, 0, 8
	s_delay_alu instid0(VALU_DEP_3) | instskip(NEXT) | instid1(VALU_DEP_3)
	v_cvt_f16_i16_e32 v23, v23
	v_bfe_i32 v22, v22, 0, 8
	s_delay_alu instid0(VALU_DEP_3) | instskip(NEXT) | instid1(VALU_DEP_2)
	v_cvt_f16_i16_e32 v21, v21
	v_cvt_f16_i16_e32 v22, v22
	s_delay_alu instid0(VALU_DEP_2) | instskip(SKIP_1) | instid1(VALU_DEP_2)
	v_pack_b32_f16 v21, v23, v21
	v_ashrrev_i16 v23, 8, v28
	v_pk_mul_f16 v21, v21, v20
	s_delay_alu instid0(VALU_DEP_2) | instskip(NEXT) | instid1(VALU_DEP_2)
	v_cvt_f16_i16_e32 v23, v23
	v_pk_fma_f16 v28, v21, v31, v25
	s_delay_alu instid0(VALU_DEP_2) | instskip(NEXT) | instid1(VALU_DEP_1)
	v_pack_b32_f16 v22, v23, v22
	v_pk_mul_f16 v20, v22, v20
	s_delay_alu instid0(VALU_DEP_1) | instskip(SKIP_2) | instid1(VALU_DEP_2)
	v_pk_fma_f16 v29, v20, v31, v30
	v_add_nc_u64_e32 v[20:21], s[14:15], v[144:145]
	v_mul_u32_u24_e32 v30, 0x10001, v24
	v_add_nc_u64_e32 v[22:23], v[20:21], v[168:169]
	v_add_nc_u64_e32 v[20:21], v[20:21], v[166:167]
	s_delay_alu instid0(VALU_DEP_2)
	v_add_nc_u64_e32 v[24:25], v[22:23], v[84:85]
	s_clause 0x2
	global_load_b32 v24, v[24:25], off offset:6
	global_load_b32 v25, v[22:23], off offset:2
	global_load_u16 v22, v[22:23], off
	s_wait_loadcnt 0x1
	v_dual_lshrrev_b32 v31, v188, v25 :: v_dual_lshrrev_b32 v197, v193, v25
	v_ashrrev_i32_e32 v24, v192, v24
	s_wait_loadcnt 0x0
	v_mul_u32_u24_e32 v22, 0x10001, v22
	s_delay_alu instid0(VALU_DEP_3) | instskip(NEXT) | instid1(VALU_DEP_3)
	v_dual_lshlrev_b32 v31, 4, v31 :: v_dual_lshlrev_b32 v197, 12, v197
	v_and_b32_e32 v24, 0xf0f0f0f, v24
	s_delay_alu instid0(VALU_DEP_2) | instskip(NEXT) | instid1(VALU_DEP_3)
	v_and_b32_e32 v31, 16, v31
	v_and_b32_e32 v197, 0x1000, v197
	s_delay_alu instid0(VALU_DEP_1) | instskip(SKIP_1) | instid1(VALU_DEP_1)
	v_or3_b32 v31, v31, v24, v197
	v_dual_lshrrev_b32 v197, v194, v25 :: v_dual_lshrrev_b32 v25, v195, v25
	v_lshlrev_b32_e32 v197, 20, v197
	s_delay_alu instid0(VALU_DEP_2) | instskip(NEXT) | instid1(VALU_DEP_2)
	v_lshlrev_b32_e32 v25, 28, v25
	v_and_b32_e32 v197, 0x100000, v197
	s_delay_alu instid0(VALU_DEP_2) | instskip(NEXT) | instid1(VALU_DEP_1)
	v_and_b32_e32 v25, 0x10000000, v25
	v_or3_b32 v24, v24, v197, v25
	v_lshlrev_b16 v25, 8, v31
	s_delay_alu instid0(VALU_DEP_2) | instskip(NEXT) | instid1(VALU_DEP_2)
	v_dual_lshrrev_b32 v197, 16, v18 :: v_dual_lshrrev_b32 v24, 16, v24
	v_add_nc_u16 v25, 0xf000, v25
	s_delay_alu instid0(VALU_DEP_1) | instskip(NEXT) | instid1(VALU_DEP_1)
	v_lshrrev_b16 v25, 8, v25
	v_bitop3_b16 v25, v31, v25, 0x1f00 bitop3:0xec
	s_delay_alu instid0(VALU_DEP_4) | instskip(SKIP_1) | instid1(VALU_DEP_3)
	v_lshlrev_b16 v31, 8, v24
	v_and_b32_e32 v24, 0x1f00, v24
	v_add_nc_u16 v25, 0xf000, v25
	s_delay_alu instid0(VALU_DEP_3) | instskip(NEXT) | instid1(VALU_DEP_3)
	v_add_nc_u16 v31, 0xf000, v31
	v_add_nc_u16 v24, 0xf000, v24
	s_delay_alu instid0(VALU_DEP_3) | instskip(SKIP_1) | instid1(VALU_DEP_3)
	v_lshrrev_b32_e32 v23, 8, v25
	v_bfe_i32 v25, v25, 0, 8
	v_lshrrev_b32_e32 v24, 8, v24
	s_delay_alu instid0(VALU_DEP_3) | instskip(NEXT) | instid1(VALU_DEP_3)
	v_bfe_i32 v23, v23, 0, 8
	v_cvt_f16_i16_e32 v25, v25
	s_delay_alu instid0(VALU_DEP_3) | instskip(NEXT) | instid1(VALU_DEP_3)
	v_bfe_i32 v24, v24, 0, 8
	v_cvt_f16_i16_e32 v23, v23
	s_delay_alu instid0(VALU_DEP_2) | instskip(NEXT) | instid1(VALU_DEP_2)
	v_cvt_f16_i16_e32 v24, v24
	v_pack_b32_f16 v23, v25, v23
	v_ashrrev_i16 v25, 8, v31
	v_lshrrev_b32_e32 v31, 16, v17
	s_delay_alu instid0(VALU_DEP_3) | instskip(NEXT) | instid1(VALU_DEP_3)
	v_pk_mul_f16 v23, v23, v22
	v_cvt_f16_i16_e32 v25, v25
	s_delay_alu instid0(VALU_DEP_2) | instskip(NEXT) | instid1(VALU_DEP_2)
	v_pk_fma_f16 v26, v23, v30, v26
	v_pack_b32_f16 v24, v25, v24
	s_delay_alu instid0(VALU_DEP_1) | instskip(NEXT) | instid1(VALU_DEP_1)
	v_pk_mul_f16 v22, v24, v22
	v_pk_fma_f16 v27, v22, v30, v27
	v_add_nc_u64_e32 v[22:23], v[20:21], v[112:113]
	s_clause 0x2
	global_load_b32 v22, v[22:23], off offset:6
	global_load_b32 v23, v[20:21], off offset:2
	global_load_u16 v20, v[20:21], off
	s_wait_loadcnt 0x2
	v_ashrrev_i32_e32 v22, v192, v22
	s_wait_loadcnt 0x1
	v_dual_lshrrev_b32 v24, v188, v23 :: v_dual_lshrrev_b32 v25, v193, v23
	s_wait_loadcnt 0x0
	v_mul_u32_u24_e32 v20, 0x10001, v20
	v_and_b32_e32 v22, 0xf0f0f0f, v22
	s_delay_alu instid0(VALU_DEP_3) | instskip(NEXT) | instid1(VALU_DEP_1)
	v_dual_lshlrev_b32 v24, 4, v24 :: v_dual_lshlrev_b32 v25, 12, v25
	v_and_b32_e32 v24, 16, v24
	s_delay_alu instid0(VALU_DEP_2) | instskip(NEXT) | instid1(VALU_DEP_1)
	v_and_b32_e32 v25, 0x1000, v25
	v_or3_b32 v24, v24, v22, v25
	v_dual_lshrrev_b32 v25, v194, v23 :: v_dual_lshrrev_b32 v23, v195, v23
	s_delay_alu instid0(VALU_DEP_1) | instskip(NEXT) | instid1(VALU_DEP_1)
	v_dual_lshlrev_b32 v25, 20, v25 :: v_dual_lshlrev_b32 v23, 28, v23
	v_and_b32_e32 v25, 0x100000, v25
	s_delay_alu instid0(VALU_DEP_2) | instskip(NEXT) | instid1(VALU_DEP_1)
	v_and_b32_e32 v23, 0x10000000, v23
	v_or3_b32 v22, v22, v25, v23
	v_lshlrev_b16 v23, 8, v24
	s_delay_alu instid0(VALU_DEP_2) | instskip(NEXT) | instid1(VALU_DEP_2)
	v_lshrrev_b32_e32 v22, 16, v22
	v_add_nc_u16 v23, 0xf000, v23
	s_delay_alu instid0(VALU_DEP_1) | instskip(NEXT) | instid1(VALU_DEP_1)
	v_lshrrev_b16 v23, 8, v23
	v_bitop3_b16 v23, v24, v23, 0x1f00 bitop3:0xec
	s_delay_alu instid0(VALU_DEP_4) | instskip(SKIP_1) | instid1(VALU_DEP_3)
	v_lshlrev_b16 v24, 8, v22
	v_and_b32_e32 v22, 0x1f00, v22
	v_add_nc_u16 v23, 0xf000, v23
	s_delay_alu instid0(VALU_DEP_3) | instskip(NEXT) | instid1(VALU_DEP_3)
	v_add_nc_u16 v24, 0xf000, v24
	v_add_nc_u16 v22, 0xf000, v22
	s_delay_alu instid0(VALU_DEP_3) | instskip(SKIP_1) | instid1(VALU_DEP_3)
	v_lshrrev_b32_e32 v21, 8, v23
	v_bfe_i32 v23, v23, 0, 8
	v_lshrrev_b32_e32 v22, 8, v22
	s_delay_alu instid0(VALU_DEP_3) | instskip(NEXT) | instid1(VALU_DEP_3)
	v_bfe_i32 v21, v21, 0, 8
	v_cvt_f16_i16_e32 v23, v23
	s_delay_alu instid0(VALU_DEP_3) | instskip(NEXT) | instid1(VALU_DEP_3)
	v_bfe_i32 v22, v22, 0, 8
	v_cvt_f16_i16_e32 v21, v21
	s_delay_alu instid0(VALU_DEP_2) | instskip(NEXT) | instid1(VALU_DEP_2)
	v_cvt_f16_i16_e32 v22, v22
	v_pack_b32_f16 v21, v23, v21
	v_ashrrev_i16 v23, 8, v24
	s_delay_alu instid0(VALU_DEP_2) | instskip(NEXT) | instid1(VALU_DEP_2)
	v_pk_mul_f16 v21, v21, v20
	v_cvt_f16_i16_e32 v23, v23
	s_delay_alu instid0(VALU_DEP_2) | instskip(NEXT) | instid1(VALU_DEP_2)
	v_pk_fma_f16 v28, v21, v30, v28
	v_pack_b32_f16 v22, v23, v22
	s_delay_alu instid0(VALU_DEP_1) | instskip(NEXT) | instid1(VALU_DEP_1)
	v_pk_mul_f16 v20, v22, v20
	v_pk_fma_f16 v29, v20, v30, v29
	v_add_nc_u64_e32 v[20:21], s[14:15], v[146:147]
	v_lshrrev_b32_e32 v30, 16, v16
	v_and_b32_e32 v16, 0xffff, v16
	s_delay_alu instid0(VALU_DEP_3) | instskip(SKIP_1) | instid1(VALU_DEP_3)
	v_add_nc_u64_e32 v[22:23], v[20:21], v[168:169]
	v_add_nc_u64_e32 v[20:21], v[20:21], v[166:167]
	v_mul_u32_u24_e32 v16, 0x10001, v16
	s_delay_alu instid0(VALU_DEP_3)
	v_add_nc_u64_e32 v[24:25], v[22:23], v[84:85]
	s_clause 0x2
	global_load_b32 v24, v[24:25], off offset:6
	global_load_b32 v25, v[22:23], off offset:2
	global_load_u16 v22, v[22:23], off
	s_wait_loadcnt 0x1
	v_dual_lshrrev_b32 v199, v188, v25 :: v_dual_lshrrev_b32 v200, v193, v25
	v_ashrrev_i32_e32 v24, v192, v24
	s_wait_loadcnt 0x0
	v_mul_u32_u24_e32 v22, 0x10001, v22
	s_delay_alu instid0(VALU_DEP_3) | instskip(NEXT) | instid1(VALU_DEP_3)
	v_dual_lshlrev_b32 v199, 4, v199 :: v_dual_lshlrev_b32 v200, 12, v200
	v_and_b32_e32 v24, 0xf0f0f0f, v24
	s_delay_alu instid0(VALU_DEP_2) | instskip(NEXT) | instid1(VALU_DEP_3)
	v_and_b32_e32 v199, 16, v199
	v_and_b32_e32 v200, 0x1000, v200
	s_delay_alu instid0(VALU_DEP_1) | instskip(SKIP_1) | instid1(VALU_DEP_1)
	v_or3_b32 v199, v199, v24, v200
	v_dual_lshrrev_b32 v200, v194, v25 :: v_dual_lshrrev_b32 v25, v195, v25
	v_dual_lshlrev_b32 v200, 20, v200 :: v_dual_lshlrev_b32 v25, 28, v25
	s_delay_alu instid0(VALU_DEP_1) | instskip(NEXT) | instid1(VALU_DEP_2)
	v_and_b32_e32 v200, 0x100000, v200
	v_and_b32_e32 v25, 0x10000000, v25
	s_delay_alu instid0(VALU_DEP_1) | instskip(SKIP_1) | instid1(VALU_DEP_1)
	v_or3_b32 v24, v24, v200, v25
	v_lshlrev_b16 v25, 8, v199
	v_add_nc_u16 v25, 0xf000, v25
	s_delay_alu instid0(VALU_DEP_1) | instskip(NEXT) | instid1(VALU_DEP_1)
	v_lshrrev_b16 v25, 8, v25
	v_bitop3_b16 v25, v199, v25, 0x1f00 bitop3:0xec
	s_delay_alu instid0(VALU_DEP_1) | instskip(NEXT) | instid1(VALU_DEP_1)
	v_add_nc_u16 v25, 0xf000, v25
	v_dual_lshrrev_b32 v24, 16, v24 :: v_dual_lshrrev_b32 v23, 8, v25
	s_delay_alu instid0(VALU_DEP_1) | instskip(SKIP_2) | instid1(VALU_DEP_4)
	v_lshlrev_b16 v199, 8, v24
	v_and_b32_e32 v24, 0x1f00, v24
	v_bfe_i32 v25, v25, 0, 8
	v_bfe_i32 v23, v23, 0, 8
	s_delay_alu instid0(VALU_DEP_4) | instskip(NEXT) | instid1(VALU_DEP_4)
	v_add_nc_u16 v199, 0xf000, v199
	v_add_nc_u16 v24, 0xf000, v24
	s_delay_alu instid0(VALU_DEP_4) | instskip(NEXT) | instid1(VALU_DEP_4)
	v_cvt_f16_i16_e32 v25, v25
	v_cvt_f16_i16_e32 v23, v23
	s_delay_alu instid0(VALU_DEP_3) | instskip(NEXT) | instid1(VALU_DEP_2)
	v_lshrrev_b32_e32 v24, 8, v24
	v_pack_b32_f16 v23, v25, v23
	v_ashrrev_i16 v25, 8, v199
	s_delay_alu instid0(VALU_DEP_3) | instskip(NEXT) | instid1(VALU_DEP_3)
	v_bfe_i32 v24, v24, 0, 8
	v_pk_mul_f16 v23, v23, v22
	s_delay_alu instid0(VALU_DEP_3) | instskip(NEXT) | instid1(VALU_DEP_3)
	v_cvt_f16_i16_e32 v25, v25
	v_cvt_f16_i16_e32 v24, v24
	s_delay_alu instid0(VALU_DEP_3) | instskip(NEXT) | instid1(VALU_DEP_2)
	v_pk_fma_f16 v26, v23, v16, v26
	v_pack_b32_f16 v24, v25, v24
	s_delay_alu instid0(VALU_DEP_1) | instskip(NEXT) | instid1(VALU_DEP_1)
	v_pk_mul_f16 v22, v24, v22
	v_pk_fma_f16 v27, v22, v16, v27
	v_add_nc_u64_e32 v[22:23], v[20:21], v[112:113]
	s_clause 0x2
	global_load_b32 v22, v[22:23], off offset:6
	global_load_b32 v23, v[20:21], off offset:2
	global_load_u16 v20, v[20:21], off
	s_wait_loadcnt 0x2
	v_ashrrev_i32_e32 v22, v192, v22
	s_wait_loadcnt 0x1
	v_dual_lshrrev_b32 v24, v188, v23 :: v_dual_lshrrev_b32 v25, v193, v23
	s_wait_loadcnt 0x0
	v_mul_u32_u24_e32 v20, 0x10001, v20
	v_and_b32_e32 v22, 0xf0f0f0f, v22
	s_delay_alu instid0(VALU_DEP_3) | instskip(NEXT) | instid1(VALU_DEP_1)
	v_dual_lshlrev_b32 v24, 4, v24 :: v_dual_lshlrev_b32 v25, 12, v25
	v_and_b32_e32 v24, 16, v24
	s_delay_alu instid0(VALU_DEP_2) | instskip(NEXT) | instid1(VALU_DEP_1)
	v_and_b32_e32 v25, 0x1000, v25
	v_or3_b32 v24, v24, v22, v25
	v_dual_lshrrev_b32 v25, v194, v23 :: v_dual_lshrrev_b32 v23, v195, v23
	s_delay_alu instid0(VALU_DEP_1) | instskip(NEXT) | instid1(VALU_DEP_1)
	v_dual_lshlrev_b32 v25, 20, v25 :: v_dual_lshlrev_b32 v23, 28, v23
	v_and_b32_e32 v25, 0x100000, v25
	s_delay_alu instid0(VALU_DEP_2) | instskip(NEXT) | instid1(VALU_DEP_1)
	v_and_b32_e32 v23, 0x10000000, v23
	v_or3_b32 v22, v22, v25, v23
	v_lshlrev_b16 v23, 8, v24
	s_delay_alu instid0(VALU_DEP_2) | instskip(NEXT) | instid1(VALU_DEP_2)
	v_lshrrev_b32_e32 v22, 16, v22
	v_add_nc_u16 v23, 0xf000, v23
	s_delay_alu instid0(VALU_DEP_1) | instskip(NEXT) | instid1(VALU_DEP_1)
	v_lshrrev_b16 v23, 8, v23
	v_bitop3_b16 v23, v24, v23, 0x1f00 bitop3:0xec
	s_delay_alu instid0(VALU_DEP_4) | instskip(SKIP_1) | instid1(VALU_DEP_3)
	v_lshlrev_b16 v24, 8, v22
	v_and_b32_e32 v22, 0x1f00, v22
	v_add_nc_u16 v23, 0xf000, v23
	s_delay_alu instid0(VALU_DEP_3) | instskip(NEXT) | instid1(VALU_DEP_3)
	v_add_nc_u16 v24, 0xf000, v24
	v_add_nc_u16 v22, 0xf000, v22
	s_delay_alu instid0(VALU_DEP_3) | instskip(SKIP_1) | instid1(VALU_DEP_3)
	v_lshrrev_b32_e32 v21, 8, v23
	v_bfe_i32 v23, v23, 0, 8
	v_lshrrev_b32_e32 v22, 8, v22
	s_delay_alu instid0(VALU_DEP_3) | instskip(NEXT) | instid1(VALU_DEP_3)
	v_bfe_i32 v21, v21, 0, 8
	v_cvt_f16_i16_e32 v23, v23
	s_delay_alu instid0(VALU_DEP_3) | instskip(NEXT) | instid1(VALU_DEP_3)
	v_bfe_i32 v22, v22, 0, 8
	v_cvt_f16_i16_e32 v21, v21
	s_delay_alu instid0(VALU_DEP_2) | instskip(NEXT) | instid1(VALU_DEP_2)
	v_cvt_f16_i16_e32 v22, v22
	v_pack_b32_f16 v21, v23, v21
	v_ashrrev_i16 v23, 8, v24
	s_delay_alu instid0(VALU_DEP_2) | instskip(NEXT) | instid1(VALU_DEP_2)
	v_pk_mul_f16 v21, v21, v20
	v_cvt_f16_i16_e32 v23, v23
	s_delay_alu instid0(VALU_DEP_2) | instskip(NEXT) | instid1(VALU_DEP_2)
	v_pk_fma_f16 v28, v21, v16, v28
	v_pack_b32_f16 v22, v23, v22
	s_delay_alu instid0(VALU_DEP_1) | instskip(NEXT) | instid1(VALU_DEP_1)
	v_pk_mul_f16 v20, v22, v20
	v_pk_fma_f16 v16, v20, v16, v29
	v_add_nc_u64_e32 v[20:21], s[14:15], v[148:149]
	v_mul_u32_u24_e32 v29, 0x10001, v30
	s_delay_alu instid0(VALU_DEP_2) | instskip(SKIP_1) | instid1(VALU_DEP_2)
	v_add_nc_u64_e32 v[22:23], v[20:21], v[168:169]
	v_add_nc_u64_e32 v[20:21], v[20:21], v[166:167]
	;; [unrolled: 1-line block ×3, first 2 shown]
	s_clause 0x2
	global_load_b32 v24, v[24:25], off offset:6
	global_load_b32 v25, v[22:23], off offset:2
	global_load_u16 v22, v[22:23], off
	s_wait_loadcnt 0x1
	v_dual_lshrrev_b32 v30, v188, v25 :: v_dual_lshrrev_b32 v199, v193, v25
	v_ashrrev_i32_e32 v24, v192, v24
	s_wait_loadcnt 0x0
	v_mul_u32_u24_e32 v22, 0x10001, v22
	s_delay_alu instid0(VALU_DEP_3) | instskip(NEXT) | instid1(VALU_DEP_3)
	v_dual_lshlrev_b32 v30, 4, v30 :: v_dual_lshlrev_b32 v199, 12, v199
	v_and_b32_e32 v24, 0xf0f0f0f, v24
	s_delay_alu instid0(VALU_DEP_2) | instskip(NEXT) | instid1(VALU_DEP_3)
	v_and_b32_e32 v30, 16, v30
	v_and_b32_e32 v199, 0x1000, v199
	s_delay_alu instid0(VALU_DEP_1) | instskip(SKIP_1) | instid1(VALU_DEP_1)
	v_or3_b32 v30, v30, v24, v199
	v_dual_lshrrev_b32 v199, v194, v25 :: v_dual_lshrrev_b32 v25, v195, v25
	v_dual_lshlrev_b32 v199, 20, v199 :: v_dual_lshlrev_b32 v25, 28, v25
	s_delay_alu instid0(VALU_DEP_1) | instskip(NEXT) | instid1(VALU_DEP_2)
	v_and_b32_e32 v199, 0x100000, v199
	v_and_b32_e32 v25, 0x10000000, v25
	s_delay_alu instid0(VALU_DEP_1) | instskip(SKIP_1) | instid1(VALU_DEP_1)
	v_or3_b32 v24, v24, v199, v25
	v_lshlrev_b16 v25, 8, v30
	v_add_nc_u16 v25, 0xf000, v25
	s_delay_alu instid0(VALU_DEP_1) | instskip(NEXT) | instid1(VALU_DEP_1)
	v_lshrrev_b16 v25, 8, v25
	v_bitop3_b16 v25, v30, v25, 0x1f00 bitop3:0xec
	s_delay_alu instid0(VALU_DEP_1) | instskip(NEXT) | instid1(VALU_DEP_1)
	v_add_nc_u16 v25, 0xf000, v25
	v_dual_lshrrev_b32 v24, 16, v24 :: v_dual_lshrrev_b32 v23, 8, v25
	s_delay_alu instid0(VALU_DEP_1) | instskip(SKIP_2) | instid1(VALU_DEP_4)
	v_lshlrev_b16 v30, 8, v24
	v_and_b32_e32 v24, 0x1f00, v24
	v_bfe_i32 v25, v25, 0, 8
	v_bfe_i32 v23, v23, 0, 8
	s_delay_alu instid0(VALU_DEP_4) | instskip(NEXT) | instid1(VALU_DEP_4)
	v_add_nc_u16 v30, 0xf000, v30
	v_add_nc_u16 v24, 0xf000, v24
	s_delay_alu instid0(VALU_DEP_4) | instskip(NEXT) | instid1(VALU_DEP_4)
	v_cvt_f16_i16_e32 v25, v25
	v_cvt_f16_i16_e32 v23, v23
	s_delay_alu instid0(VALU_DEP_3) | instskip(NEXT) | instid1(VALU_DEP_2)
	v_lshrrev_b32_e32 v24, 8, v24
	v_pack_b32_f16 v23, v25, v23
	v_ashrrev_i16 v25, 8, v30
	s_delay_alu instid0(VALU_DEP_3) | instskip(NEXT) | instid1(VALU_DEP_3)
	v_bfe_i32 v24, v24, 0, 8
	v_pk_mul_f16 v23, v23, v22
	s_delay_alu instid0(VALU_DEP_3) | instskip(NEXT) | instid1(VALU_DEP_3)
	v_cvt_f16_i16_e32 v25, v25
	v_cvt_f16_i16_e32 v24, v24
	s_delay_alu instid0(VALU_DEP_1) | instskip(NEXT) | instid1(VALU_DEP_1)
	v_pack_b32_f16 v24, v25, v24
	v_pk_mul_f16 v22, v24, v22
	v_pk_fma_f16 v24, v23, v29, v26
	s_delay_alu instid0(VALU_DEP_2)
	v_pk_fma_f16 v25, v22, v29, v27
	v_add_nc_u64_e32 v[22:23], v[20:21], v[112:113]
	s_clause 0x2
	global_load_b32 v22, v[22:23], off offset:6
	global_load_b32 v23, v[20:21], off offset:2
	global_load_u16 v20, v[20:21], off
	s_wait_loadcnt 0x2
	v_ashrrev_i32_e32 v22, v192, v22
	s_wait_loadcnt 0x1
	v_dual_lshrrev_b32 v26, v188, v23 :: v_dual_lshrrev_b32 v27, v193, v23
	s_wait_loadcnt 0x0
	v_mul_u32_u24_e32 v20, 0x10001, v20
	v_and_b32_e32 v22, 0xf0f0f0f, v22
	s_delay_alu instid0(VALU_DEP_3) | instskip(NEXT) | instid1(VALU_DEP_1)
	v_dual_lshlrev_b32 v26, 4, v26 :: v_dual_lshlrev_b32 v27, 12, v27
	v_and_b32_e32 v26, 16, v26
	s_delay_alu instid0(VALU_DEP_2) | instskip(NEXT) | instid1(VALU_DEP_1)
	v_and_b32_e32 v27, 0x1000, v27
	v_or3_b32 v26, v26, v22, v27
	v_dual_lshrrev_b32 v27, v194, v23 :: v_dual_lshrrev_b32 v23, v195, v23
	s_delay_alu instid0(VALU_DEP_1) | instskip(NEXT) | instid1(VALU_DEP_2)
	v_lshlrev_b32_e32 v27, 20, v27
	v_lshlrev_b32_e32 v23, 28, v23
	s_delay_alu instid0(VALU_DEP_2) | instskip(NEXT) | instid1(VALU_DEP_2)
	v_and_b32_e32 v27, 0x100000, v27
	v_and_b32_e32 v23, 0x10000000, v23
	s_delay_alu instid0(VALU_DEP_1) | instskip(SKIP_1) | instid1(VALU_DEP_2)
	v_or3_b32 v22, v22, v27, v23
	v_lshlrev_b16 v23, 8, v26
	v_lshrrev_b32_e32 v22, 16, v22
	s_delay_alu instid0(VALU_DEP_2) | instskip(NEXT) | instid1(VALU_DEP_1)
	v_add_nc_u16 v23, 0xf000, v23
	v_lshrrev_b16 v23, 8, v23
	s_delay_alu instid0(VALU_DEP_1) | instskip(NEXT) | instid1(VALU_DEP_4)
	v_bitop3_b16 v23, v26, v23, 0x1f00 bitop3:0xec
	v_lshlrev_b16 v26, 8, v22
	v_and_b32_e32 v22, 0x1f00, v22
	s_delay_alu instid0(VALU_DEP_3) | instskip(NEXT) | instid1(VALU_DEP_3)
	v_add_nc_u16 v23, 0xf000, v23
	v_add_nc_u16 v26, 0xf000, v26
	s_delay_alu instid0(VALU_DEP_3) | instskip(NEXT) | instid1(VALU_DEP_3)
	v_add_nc_u16 v22, 0xf000, v22
	v_lshrrev_b32_e32 v21, 8, v23
	v_bfe_i32 v23, v23, 0, 8
	s_delay_alu instid0(VALU_DEP_3) | instskip(NEXT) | instid1(VALU_DEP_3)
	v_lshrrev_b32_e32 v22, 8, v22
	v_bfe_i32 v21, v21, 0, 8
	s_delay_alu instid0(VALU_DEP_3) | instskip(NEXT) | instid1(VALU_DEP_3)
	v_cvt_f16_i16_e32 v23, v23
	v_bfe_i32 v22, v22, 0, 8
	s_delay_alu instid0(VALU_DEP_3) | instskip(NEXT) | instid1(VALU_DEP_2)
	v_cvt_f16_i16_e32 v21, v21
	v_cvt_f16_i16_e32 v22, v22
	s_delay_alu instid0(VALU_DEP_2) | instskip(SKIP_1) | instid1(VALU_DEP_2)
	v_pack_b32_f16 v21, v23, v21
	v_ashrrev_i16 v23, 8, v26
	v_pk_mul_f16 v21, v21, v20
	s_delay_alu instid0(VALU_DEP_2) | instskip(NEXT) | instid1(VALU_DEP_2)
	v_cvt_f16_i16_e32 v23, v23
	v_pk_fma_f16 v26, v21, v29, v28
	s_delay_alu instid0(VALU_DEP_2) | instskip(NEXT) | instid1(VALU_DEP_1)
	v_pack_b32_f16 v22, v23, v22
	v_pk_mul_f16 v20, v22, v20
	s_delay_alu instid0(VALU_DEP_1) | instskip(SKIP_1) | instid1(VALU_DEP_1)
	v_pk_fma_f16 v27, v20, v29, v16
	v_and_b32_e32 v16, 0xffff, v17
	v_mul_u32_u24_e32 v28, 0x10001, v16
	v_add_nc_u64_e32 v[16:17], s[14:15], v[150:151]
	s_delay_alu instid0(VALU_DEP_1) | instskip(SKIP_1) | instid1(VALU_DEP_2)
	v_add_nc_u64_e32 v[20:21], v[16:17], v[168:169]
	v_add_nc_u64_e32 v[16:17], v[16:17], v[166:167]
	;; [unrolled: 1-line block ×3, first 2 shown]
	s_clause 0x2
	global_load_b32 v22, v[22:23], off offset:6
	global_load_b32 v23, v[20:21], off offset:2
	global_load_u16 v20, v[20:21], off
	s_wait_loadcnt 0x2
	v_ashrrev_i32_e32 v22, v192, v22
	s_wait_loadcnt 0x1
	v_dual_lshrrev_b32 v29, v188, v23 :: v_dual_lshrrev_b32 v30, v193, v23
	s_wait_loadcnt 0x0
	v_mul_u32_u24_e32 v20, 0x10001, v20
	v_and_b32_e32 v22, 0xf0f0f0f, v22
	s_delay_alu instid0(VALU_DEP_3) | instskip(NEXT) | instid1(VALU_DEP_1)
	v_dual_lshlrev_b32 v29, 4, v29 :: v_dual_lshlrev_b32 v30, 12, v30
	v_and_b32_e32 v29, 16, v29
	s_delay_alu instid0(VALU_DEP_2) | instskip(NEXT) | instid1(VALU_DEP_1)
	v_and_b32_e32 v30, 0x1000, v30
	v_or3_b32 v29, v29, v22, v30
	v_dual_lshrrev_b32 v30, v194, v23 :: v_dual_lshrrev_b32 v23, v195, v23
	s_delay_alu instid0(VALU_DEP_1) | instskip(NEXT) | instid1(VALU_DEP_1)
	v_dual_lshlrev_b32 v30, 20, v30 :: v_dual_lshlrev_b32 v23, 28, v23
	v_and_b32_e32 v30, 0x100000, v30
	s_delay_alu instid0(VALU_DEP_2) | instskip(NEXT) | instid1(VALU_DEP_1)
	v_and_b32_e32 v23, 0x10000000, v23
	v_or3_b32 v22, v22, v30, v23
	v_lshlrev_b16 v23, 8, v29
	s_delay_alu instid0(VALU_DEP_1) | instskip(NEXT) | instid1(VALU_DEP_1)
	v_add_nc_u16 v23, 0xf000, v23
	v_lshrrev_b16 v23, 8, v23
	s_delay_alu instid0(VALU_DEP_1) | instskip(NEXT) | instid1(VALU_DEP_1)
	v_bitop3_b16 v23, v29, v23, 0x1f00 bitop3:0xec
	v_add_nc_u16 v23, 0xf000, v23
	s_delay_alu instid0(VALU_DEP_1) | instskip(NEXT) | instid1(VALU_DEP_1)
	v_dual_lshrrev_b32 v22, 16, v22 :: v_dual_lshrrev_b32 v21, 8, v23
	v_lshlrev_b16 v29, 8, v22
	v_and_b32_e32 v22, 0x1f00, v22
	v_bfe_i32 v23, v23, 0, 8
	s_delay_alu instid0(VALU_DEP_4) | instskip(NEXT) | instid1(VALU_DEP_4)
	v_bfe_i32 v21, v21, 0, 8
	v_add_nc_u16 v29, 0xf000, v29
	s_delay_alu instid0(VALU_DEP_4) | instskip(NEXT) | instid1(VALU_DEP_4)
	v_add_nc_u16 v22, 0xf000, v22
	v_cvt_f16_i16_e32 v23, v23
	s_delay_alu instid0(VALU_DEP_4) | instskip(NEXT) | instid1(VALU_DEP_3)
	v_cvt_f16_i16_e32 v21, v21
	v_lshrrev_b32_e32 v22, 8, v22
	s_delay_alu instid0(VALU_DEP_2) | instskip(SKIP_1) | instid1(VALU_DEP_3)
	v_pack_b32_f16 v21, v23, v21
	v_ashrrev_i16 v23, 8, v29
	v_bfe_i32 v22, v22, 0, 8
	s_delay_alu instid0(VALU_DEP_3) | instskip(NEXT) | instid1(VALU_DEP_3)
	v_pk_mul_f16 v21, v21, v20
	v_cvt_f16_i16_e32 v23, v23
	s_delay_alu instid0(VALU_DEP_3) | instskip(NEXT) | instid1(VALU_DEP_3)
	v_cvt_f16_i16_e32 v22, v22
	v_pk_fma_f16 v24, v21, v28, v24
	s_delay_alu instid0(VALU_DEP_2) | instskip(NEXT) | instid1(VALU_DEP_1)
	v_pack_b32_f16 v22, v23, v22
	v_pk_mul_f16 v20, v22, v20
	s_delay_alu instid0(VALU_DEP_1)
	v_pk_fma_f16 v25, v20, v28, v25
	v_add_nc_u64_e32 v[20:21], v[16:17], v[112:113]
	s_clause 0x2
	global_load_b32 v20, v[20:21], off offset:6
	global_load_b32 v21, v[16:17], off offset:2
	global_load_u16 v16, v[16:17], off
	s_wait_loadcnt 0x2
	v_ashrrev_i32_e32 v20, v192, v20
	s_wait_loadcnt 0x1
	v_dual_lshrrev_b32 v22, v188, v21 :: v_dual_lshrrev_b32 v23, v193, v21
	s_wait_loadcnt 0x0
	v_mul_u32_u24_e32 v16, 0x10001, v16
	v_and_b32_e32 v20, 0xf0f0f0f, v20
	s_delay_alu instid0(VALU_DEP_3) | instskip(NEXT) | instid1(VALU_DEP_1)
	v_dual_lshlrev_b32 v22, 4, v22 :: v_dual_lshlrev_b32 v23, 12, v23
	v_and_b32_e32 v22, 16, v22
	s_delay_alu instid0(VALU_DEP_2) | instskip(NEXT) | instid1(VALU_DEP_1)
	v_and_b32_e32 v23, 0x1000, v23
	v_or3_b32 v22, v22, v20, v23
	v_dual_lshrrev_b32 v23, v194, v21 :: v_dual_lshrrev_b32 v21, v195, v21
	s_delay_alu instid0(VALU_DEP_1) | instskip(NEXT) | instid1(VALU_DEP_1)
	v_dual_lshlrev_b32 v23, 20, v23 :: v_dual_lshlrev_b32 v21, 28, v21
	v_and_b32_e32 v23, 0x100000, v23
	s_delay_alu instid0(VALU_DEP_2) | instskip(NEXT) | instid1(VALU_DEP_1)
	v_and_b32_e32 v21, 0x10000000, v21
	v_or3_b32 v20, v20, v23, v21
	v_lshlrev_b16 v21, 8, v22
	s_delay_alu instid0(VALU_DEP_2) | instskip(NEXT) | instid1(VALU_DEP_2)
	v_lshrrev_b32_e32 v20, 16, v20
	v_add_nc_u16 v21, 0xf000, v21
	s_delay_alu instid0(VALU_DEP_1) | instskip(NEXT) | instid1(VALU_DEP_1)
	v_lshrrev_b16 v21, 8, v21
	v_bitop3_b16 v21, v22, v21, 0x1f00 bitop3:0xec
	s_delay_alu instid0(VALU_DEP_4) | instskip(SKIP_1) | instid1(VALU_DEP_3)
	v_lshlrev_b16 v22, 8, v20
	v_and_b32_e32 v20, 0x1f00, v20
	v_add_nc_u16 v21, 0xf000, v21
	s_delay_alu instid0(VALU_DEP_3) | instskip(NEXT) | instid1(VALU_DEP_3)
	v_add_nc_u16 v22, 0xf000, v22
	v_add_nc_u16 v20, 0xf000, v20
	s_delay_alu instid0(VALU_DEP_3) | instskip(SKIP_1) | instid1(VALU_DEP_3)
	v_lshrrev_b32_e32 v17, 8, v21
	v_bfe_i32 v21, v21, 0, 8
	v_lshrrev_b32_e32 v20, 8, v20
	s_delay_alu instid0(VALU_DEP_3) | instskip(NEXT) | instid1(VALU_DEP_3)
	v_bfe_i32 v17, v17, 0, 8
	v_cvt_f16_i16_e32 v21, v21
	s_delay_alu instid0(VALU_DEP_3) | instskip(NEXT) | instid1(VALU_DEP_3)
	v_bfe_i32 v20, v20, 0, 8
	v_cvt_f16_i16_e32 v17, v17
	s_delay_alu instid0(VALU_DEP_2) | instskip(NEXT) | instid1(VALU_DEP_2)
	v_cvt_f16_i16_e32 v20, v20
	v_pack_b32_f16 v17, v21, v17
	v_ashrrev_i16 v21, 8, v22
	s_delay_alu instid0(VALU_DEP_2) | instskip(NEXT) | instid1(VALU_DEP_2)
	v_pk_mul_f16 v17, v17, v16
	v_cvt_f16_i16_e32 v21, v21
	s_delay_alu instid0(VALU_DEP_2) | instskip(NEXT) | instid1(VALU_DEP_2)
	v_pk_fma_f16 v26, v17, v28, v26
	v_pack_b32_f16 v20, v21, v20
	s_delay_alu instid0(VALU_DEP_1) | instskip(NEXT) | instid1(VALU_DEP_1)
	v_pk_mul_f16 v16, v20, v16
	v_pk_fma_f16 v27, v16, v28, v27
	v_add_nc_u64_e32 v[16:17], s[14:15], v[152:153]
	v_mul_u32_u24_e32 v28, 0x10001, v31
	s_delay_alu instid0(VALU_DEP_2) | instskip(SKIP_1) | instid1(VALU_DEP_2)
	v_add_nc_u64_e32 v[20:21], v[16:17], v[168:169]
	v_add_nc_u64_e32 v[16:17], v[16:17], v[166:167]
	;; [unrolled: 1-line block ×3, first 2 shown]
	s_clause 0x2
	global_load_b32 v22, v[22:23], off offset:6
	global_load_b32 v23, v[20:21], off offset:2
	global_load_u16 v20, v[20:21], off
	s_wait_loadcnt 0x1
	v_dual_lshrrev_b32 v29, v188, v23 :: v_dual_lshrrev_b32 v30, v193, v23
	v_ashrrev_i32_e32 v22, v192, v22
	s_wait_loadcnt 0x0
	v_mul_u32_u24_e32 v20, 0x10001, v20
	s_delay_alu instid0(VALU_DEP_3) | instskip(NEXT) | instid1(VALU_DEP_3)
	v_dual_lshlrev_b32 v29, 4, v29 :: v_dual_lshlrev_b32 v30, 12, v30
	v_and_b32_e32 v22, 0xf0f0f0f, v22
	s_delay_alu instid0(VALU_DEP_2) | instskip(NEXT) | instid1(VALU_DEP_3)
	v_and_b32_e32 v29, 16, v29
	v_and_b32_e32 v30, 0x1000, v30
	s_delay_alu instid0(VALU_DEP_1) | instskip(SKIP_1) | instid1(VALU_DEP_1)
	v_or3_b32 v29, v29, v22, v30
	v_dual_lshrrev_b32 v30, v194, v23 :: v_dual_lshrrev_b32 v23, v195, v23
	v_dual_lshlrev_b32 v30, 20, v30 :: v_dual_lshlrev_b32 v23, 28, v23
	s_delay_alu instid0(VALU_DEP_1) | instskip(NEXT) | instid1(VALU_DEP_2)
	v_and_b32_e32 v30, 0x100000, v30
	v_and_b32_e32 v23, 0x10000000, v23
	s_delay_alu instid0(VALU_DEP_1) | instskip(SKIP_1) | instid1(VALU_DEP_1)
	v_or3_b32 v22, v22, v30, v23
	v_lshlrev_b16 v23, 8, v29
	v_add_nc_u16 v23, 0xf000, v23
	s_delay_alu instid0(VALU_DEP_1) | instskip(NEXT) | instid1(VALU_DEP_1)
	v_lshrrev_b16 v23, 8, v23
	v_bitop3_b16 v23, v29, v23, 0x1f00 bitop3:0xec
	s_delay_alu instid0(VALU_DEP_1) | instskip(NEXT) | instid1(VALU_DEP_1)
	v_add_nc_u16 v23, 0xf000, v23
	v_dual_lshrrev_b32 v22, 16, v22 :: v_dual_lshrrev_b32 v21, 8, v23
	s_delay_alu instid0(VALU_DEP_1) | instskip(SKIP_2) | instid1(VALU_DEP_4)
	v_lshlrev_b16 v29, 8, v22
	v_and_b32_e32 v22, 0x1f00, v22
	v_bfe_i32 v23, v23, 0, 8
	v_bfe_i32 v21, v21, 0, 8
	s_delay_alu instid0(VALU_DEP_4) | instskip(NEXT) | instid1(VALU_DEP_4)
	v_add_nc_u16 v29, 0xf000, v29
	v_add_nc_u16 v22, 0xf000, v22
	s_delay_alu instid0(VALU_DEP_4) | instskip(NEXT) | instid1(VALU_DEP_4)
	v_cvt_f16_i16_e32 v23, v23
	v_cvt_f16_i16_e32 v21, v21
	s_delay_alu instid0(VALU_DEP_3) | instskip(NEXT) | instid1(VALU_DEP_2)
	v_lshrrev_b32_e32 v22, 8, v22
	v_pack_b32_f16 v21, v23, v21
	v_ashrrev_i16 v23, 8, v29
	s_delay_alu instid0(VALU_DEP_3) | instskip(NEXT) | instid1(VALU_DEP_3)
	v_bfe_i32 v22, v22, 0, 8
	v_pk_mul_f16 v21, v21, v20
	s_delay_alu instid0(VALU_DEP_3) | instskip(NEXT) | instid1(VALU_DEP_3)
	v_cvt_f16_i16_e32 v23, v23
	v_cvt_f16_i16_e32 v22, v22
	s_delay_alu instid0(VALU_DEP_3) | instskip(NEXT) | instid1(VALU_DEP_2)
	v_pk_fma_f16 v24, v21, v28, v24
	v_pack_b32_f16 v22, v23, v22
	s_delay_alu instid0(VALU_DEP_1) | instskip(NEXT) | instid1(VALU_DEP_1)
	v_pk_mul_f16 v20, v22, v20
	v_pk_fma_f16 v25, v20, v28, v25
	v_add_nc_u64_e32 v[20:21], v[16:17], v[112:113]
	s_clause 0x2
	global_load_b32 v20, v[20:21], off offset:6
	global_load_b32 v21, v[16:17], off offset:2
	global_load_u16 v16, v[16:17], off
	s_wait_loadcnt 0x2
	v_ashrrev_i32_e32 v20, v192, v20
	s_wait_loadcnt 0x1
	v_dual_lshrrev_b32 v22, v188, v21 :: v_dual_lshrrev_b32 v23, v193, v21
	s_wait_loadcnt 0x0
	v_mul_u32_u24_e32 v16, 0x10001, v16
	v_and_b32_e32 v20, 0xf0f0f0f, v20
	s_delay_alu instid0(VALU_DEP_3) | instskip(NEXT) | instid1(VALU_DEP_1)
	v_dual_lshlrev_b32 v22, 4, v22 :: v_dual_lshlrev_b32 v23, 12, v23
	v_and_b32_e32 v22, 16, v22
	s_delay_alu instid0(VALU_DEP_2) | instskip(NEXT) | instid1(VALU_DEP_1)
	v_and_b32_e32 v23, 0x1000, v23
	v_or3_b32 v22, v22, v20, v23
	v_dual_lshrrev_b32 v23, v194, v21 :: v_dual_lshrrev_b32 v21, v195, v21
	s_delay_alu instid0(VALU_DEP_1) | instskip(NEXT) | instid1(VALU_DEP_1)
	v_dual_lshlrev_b32 v23, 20, v23 :: v_dual_lshlrev_b32 v21, 28, v21
	v_and_b32_e32 v23, 0x100000, v23
	s_delay_alu instid0(VALU_DEP_2) | instskip(NEXT) | instid1(VALU_DEP_1)
	v_and_b32_e32 v21, 0x10000000, v21
	v_or3_b32 v20, v20, v23, v21
	v_lshlrev_b16 v21, 8, v22
	s_delay_alu instid0(VALU_DEP_2) | instskip(NEXT) | instid1(VALU_DEP_2)
	v_lshrrev_b32_e32 v20, 16, v20
	v_add_nc_u16 v21, 0xf000, v21
	s_delay_alu instid0(VALU_DEP_1) | instskip(NEXT) | instid1(VALU_DEP_1)
	v_lshrrev_b16 v21, 8, v21
	v_bitop3_b16 v21, v22, v21, 0x1f00 bitop3:0xec
	s_delay_alu instid0(VALU_DEP_4) | instskip(SKIP_1) | instid1(VALU_DEP_3)
	v_lshlrev_b16 v22, 8, v20
	v_and_b32_e32 v20, 0x1f00, v20
	v_add_nc_u16 v21, 0xf000, v21
	s_delay_alu instid0(VALU_DEP_3) | instskip(NEXT) | instid1(VALU_DEP_3)
	v_add_nc_u16 v22, 0xf000, v22
	v_add_nc_u16 v20, 0xf000, v20
	s_delay_alu instid0(VALU_DEP_3) | instskip(SKIP_1) | instid1(VALU_DEP_3)
	v_lshrrev_b32_e32 v17, 8, v21
	v_bfe_i32 v21, v21, 0, 8
	v_lshrrev_b32_e32 v20, 8, v20
	s_delay_alu instid0(VALU_DEP_3) | instskip(NEXT) | instid1(VALU_DEP_3)
	v_bfe_i32 v17, v17, 0, 8
	v_cvt_f16_i16_e32 v21, v21
	s_delay_alu instid0(VALU_DEP_3) | instskip(NEXT) | instid1(VALU_DEP_3)
	v_bfe_i32 v20, v20, 0, 8
	v_cvt_f16_i16_e32 v17, v17
	s_delay_alu instid0(VALU_DEP_2) | instskip(NEXT) | instid1(VALU_DEP_2)
	v_cvt_f16_i16_e32 v20, v20
	v_pack_b32_f16 v17, v21, v17
	v_ashrrev_i16 v21, 8, v22
	s_delay_alu instid0(VALU_DEP_2) | instskip(NEXT) | instid1(VALU_DEP_2)
	v_pk_mul_f16 v17, v17, v16
	v_cvt_f16_i16_e32 v21, v21
	s_delay_alu instid0(VALU_DEP_2) | instskip(NEXT) | instid1(VALU_DEP_2)
	v_pk_fma_f16 v26, v17, v28, v26
	v_pack_b32_f16 v20, v21, v20
	s_delay_alu instid0(VALU_DEP_1) | instskip(NEXT) | instid1(VALU_DEP_1)
	v_pk_mul_f16 v16, v20, v16
	v_pk_fma_f16 v27, v16, v28, v27
	v_and_b32_e32 v16, 0xffff, v18
	s_delay_alu instid0(VALU_DEP_1) | instskip(SKIP_1) | instid1(VALU_DEP_1)
	v_mul_u32_u24_e32 v18, 0x10001, v16
	v_add_nc_u64_e32 v[16:17], s[14:15], v[154:155]
	v_add_nc_u64_e32 v[20:21], v[16:17], v[168:169]
	;; [unrolled: 1-line block ×3, first 2 shown]
	s_delay_alu instid0(VALU_DEP_2)
	v_add_nc_u64_e32 v[22:23], v[20:21], v[84:85]
	s_clause 0x2
	global_load_b32 v22, v[22:23], off offset:6
	global_load_b32 v23, v[20:21], off offset:2
	global_load_u16 v20, v[20:21], off
	s_wait_loadcnt 0x1
	v_dual_lshrrev_b32 v28, v188, v23 :: v_dual_lshrrev_b32 v29, v193, v23
	v_ashrrev_i32_e32 v22, v192, v22
	s_wait_loadcnt 0x0
	v_mul_u32_u24_e32 v20, 0x10001, v20
	s_delay_alu instid0(VALU_DEP_3) | instskip(NEXT) | instid1(VALU_DEP_3)
	v_dual_lshlrev_b32 v28, 4, v28 :: v_dual_lshlrev_b32 v29, 12, v29
	v_and_b32_e32 v22, 0xf0f0f0f, v22
	s_delay_alu instid0(VALU_DEP_2) | instskip(NEXT) | instid1(VALU_DEP_3)
	v_and_b32_e32 v28, 16, v28
	v_and_b32_e32 v29, 0x1000, v29
	s_delay_alu instid0(VALU_DEP_1) | instskip(SKIP_1) | instid1(VALU_DEP_1)
	v_or3_b32 v28, v28, v22, v29
	v_dual_lshrrev_b32 v29, v194, v23 :: v_dual_lshrrev_b32 v23, v195, v23
	v_dual_lshlrev_b32 v29, 20, v29 :: v_dual_lshlrev_b32 v23, 28, v23
	s_delay_alu instid0(VALU_DEP_1) | instskip(NEXT) | instid1(VALU_DEP_2)
	v_and_b32_e32 v29, 0x100000, v29
	v_and_b32_e32 v23, 0x10000000, v23
	s_delay_alu instid0(VALU_DEP_1) | instskip(SKIP_1) | instid1(VALU_DEP_1)
	v_or3_b32 v22, v22, v29, v23
	v_lshlrev_b16 v23, 8, v28
	v_add_nc_u16 v23, 0xf000, v23
	s_delay_alu instid0(VALU_DEP_1) | instskip(NEXT) | instid1(VALU_DEP_1)
	v_lshrrev_b16 v23, 8, v23
	v_bitop3_b16 v23, v28, v23, 0x1f00 bitop3:0xec
	s_delay_alu instid0(VALU_DEP_1) | instskip(NEXT) | instid1(VALU_DEP_1)
	v_add_nc_u16 v23, 0xf000, v23
	v_dual_lshrrev_b32 v22, 16, v22 :: v_dual_lshrrev_b32 v21, 8, v23
	s_delay_alu instid0(VALU_DEP_1) | instskip(SKIP_2) | instid1(VALU_DEP_4)
	v_lshlrev_b16 v28, 8, v22
	v_and_b32_e32 v22, 0x1f00, v22
	v_bfe_i32 v23, v23, 0, 8
	v_bfe_i32 v21, v21, 0, 8
	s_delay_alu instid0(VALU_DEP_4) | instskip(NEXT) | instid1(VALU_DEP_4)
	v_add_nc_u16 v28, 0xf000, v28
	v_add_nc_u16 v22, 0xf000, v22
	s_delay_alu instid0(VALU_DEP_4) | instskip(NEXT) | instid1(VALU_DEP_4)
	v_cvt_f16_i16_e32 v23, v23
	v_cvt_f16_i16_e32 v21, v21
	s_delay_alu instid0(VALU_DEP_3) | instskip(NEXT) | instid1(VALU_DEP_2)
	v_lshrrev_b32_e32 v22, 8, v22
	v_pack_b32_f16 v21, v23, v21
	v_ashrrev_i16 v23, 8, v28
	s_delay_alu instid0(VALU_DEP_3) | instskip(NEXT) | instid1(VALU_DEP_3)
	v_bfe_i32 v22, v22, 0, 8
	v_pk_mul_f16 v21, v21, v20
	s_delay_alu instid0(VALU_DEP_3) | instskip(NEXT) | instid1(VALU_DEP_3)
	v_cvt_f16_i16_e32 v23, v23
	v_cvt_f16_i16_e32 v22, v22
	s_delay_alu instid0(VALU_DEP_3) | instskip(NEXT) | instid1(VALU_DEP_2)
	v_pk_fma_f16 v24, v21, v18, v24
	v_pack_b32_f16 v22, v23, v22
	s_delay_alu instid0(VALU_DEP_1) | instskip(NEXT) | instid1(VALU_DEP_1)
	v_pk_mul_f16 v20, v22, v20
	v_pk_fma_f16 v25, v20, v18, v25
	v_add_nc_u64_e32 v[20:21], v[16:17], v[112:113]
	s_clause 0x2
	global_load_b32 v20, v[20:21], off offset:6
	global_load_b32 v21, v[16:17], off offset:2
	global_load_u16 v16, v[16:17], off
	s_wait_loadcnt 0x2
	v_ashrrev_i32_e32 v20, v192, v20
	s_wait_loadcnt 0x1
	v_dual_lshrrev_b32 v22, v188, v21 :: v_dual_lshrrev_b32 v23, v193, v21
	s_wait_loadcnt 0x0
	v_mul_u32_u24_e32 v16, 0x10001, v16
	v_and_b32_e32 v20, 0xf0f0f0f, v20
	s_delay_alu instid0(VALU_DEP_3) | instskip(NEXT) | instid1(VALU_DEP_1)
	v_dual_lshlrev_b32 v22, 4, v22 :: v_dual_lshlrev_b32 v23, 12, v23
	v_and_b32_e32 v22, 16, v22
	s_delay_alu instid0(VALU_DEP_2) | instskip(NEXT) | instid1(VALU_DEP_1)
	v_and_b32_e32 v23, 0x1000, v23
	v_or3_b32 v22, v22, v20, v23
	v_dual_lshrrev_b32 v23, v194, v21 :: v_dual_lshrrev_b32 v21, v195, v21
	s_delay_alu instid0(VALU_DEP_1) | instskip(NEXT) | instid1(VALU_DEP_1)
	v_dual_lshlrev_b32 v23, 20, v23 :: v_dual_lshlrev_b32 v21, 28, v21
	v_and_b32_e32 v23, 0x100000, v23
	s_delay_alu instid0(VALU_DEP_2) | instskip(NEXT) | instid1(VALU_DEP_1)
	v_and_b32_e32 v21, 0x10000000, v21
	v_or3_b32 v20, v20, v23, v21
	v_lshlrev_b16 v21, 8, v22
	s_delay_alu instid0(VALU_DEP_2) | instskip(NEXT) | instid1(VALU_DEP_2)
	v_lshrrev_b32_e32 v20, 16, v20
	v_add_nc_u16 v21, 0xf000, v21
	s_delay_alu instid0(VALU_DEP_1) | instskip(NEXT) | instid1(VALU_DEP_1)
	v_lshrrev_b16 v21, 8, v21
	v_bitop3_b16 v21, v22, v21, 0x1f00 bitop3:0xec
	s_delay_alu instid0(VALU_DEP_4) | instskip(SKIP_1) | instid1(VALU_DEP_3)
	v_lshlrev_b16 v22, 8, v20
	v_and_b32_e32 v20, 0x1f00, v20
	v_add_nc_u16 v21, 0xf000, v21
	s_delay_alu instid0(VALU_DEP_3) | instskip(NEXT) | instid1(VALU_DEP_3)
	v_add_nc_u16 v22, 0xf000, v22
	v_add_nc_u16 v20, 0xf000, v20
	s_delay_alu instid0(VALU_DEP_3) | instskip(SKIP_1) | instid1(VALU_DEP_3)
	v_lshrrev_b32_e32 v17, 8, v21
	v_bfe_i32 v21, v21, 0, 8
	v_lshrrev_b32_e32 v20, 8, v20
	s_delay_alu instid0(VALU_DEP_3) | instskip(NEXT) | instid1(VALU_DEP_3)
	v_bfe_i32 v17, v17, 0, 8
	v_cvt_f16_i16_e32 v21, v21
	s_delay_alu instid0(VALU_DEP_3) | instskip(NEXT) | instid1(VALU_DEP_3)
	v_bfe_i32 v20, v20, 0, 8
	v_cvt_f16_i16_e32 v17, v17
	s_delay_alu instid0(VALU_DEP_2) | instskip(NEXT) | instid1(VALU_DEP_2)
	v_cvt_f16_i16_e32 v20, v20
	v_pack_b32_f16 v17, v21, v17
	v_ashrrev_i16 v21, 8, v22
	s_delay_alu instid0(VALU_DEP_2) | instskip(NEXT) | instid1(VALU_DEP_2)
	v_pk_mul_f16 v17, v17, v16
	v_cvt_f16_i16_e32 v21, v21
	s_delay_alu instid0(VALU_DEP_2) | instskip(NEXT) | instid1(VALU_DEP_2)
	v_pk_fma_f16 v26, v17, v18, v26
	v_pack_b32_f16 v20, v21, v20
	s_delay_alu instid0(VALU_DEP_1) | instskip(NEXT) | instid1(VALU_DEP_1)
	v_pk_mul_f16 v16, v20, v16
	v_pk_fma_f16 v18, v16, v18, v27
	v_add_nc_u64_e32 v[16:17], s[14:15], v[156:157]
	v_mul_u32_u24_e32 v27, 0x10001, v197
	s_delay_alu instid0(VALU_DEP_2) | instskip(SKIP_1) | instid1(VALU_DEP_2)
	v_add_nc_u64_e32 v[20:21], v[16:17], v[168:169]
	v_add_nc_u64_e32 v[16:17], v[16:17], v[166:167]
	v_add_nc_u64_e32 v[22:23], v[20:21], v[84:85]
	s_clause 0x2
	global_load_b32 v22, v[22:23], off offset:6
	global_load_b32 v23, v[20:21], off offset:2
	global_load_u16 v20, v[20:21], off
	s_wait_loadcnt 0x1
	v_dual_lshrrev_b32 v28, v188, v23 :: v_dual_lshrrev_b32 v29, v193, v23
	v_ashrrev_i32_e32 v22, v192, v22
	s_wait_loadcnt 0x0
	v_mul_u32_u24_e32 v20, 0x10001, v20
	s_delay_alu instid0(VALU_DEP_3) | instskip(NEXT) | instid1(VALU_DEP_3)
	v_dual_lshlrev_b32 v28, 4, v28 :: v_dual_lshlrev_b32 v29, 12, v29
	v_and_b32_e32 v22, 0xf0f0f0f, v22
	s_delay_alu instid0(VALU_DEP_2) | instskip(NEXT) | instid1(VALU_DEP_3)
	v_and_b32_e32 v28, 16, v28
	v_and_b32_e32 v29, 0x1000, v29
	s_delay_alu instid0(VALU_DEP_1) | instskip(SKIP_1) | instid1(VALU_DEP_1)
	v_or3_b32 v28, v28, v22, v29
	v_dual_lshrrev_b32 v29, v194, v23 :: v_dual_lshrrev_b32 v23, v195, v23
	v_dual_lshlrev_b32 v29, 20, v29 :: v_dual_lshlrev_b32 v23, 28, v23
	s_delay_alu instid0(VALU_DEP_1) | instskip(NEXT) | instid1(VALU_DEP_2)
	v_and_b32_e32 v29, 0x100000, v29
	v_and_b32_e32 v23, 0x10000000, v23
	s_delay_alu instid0(VALU_DEP_1) | instskip(SKIP_1) | instid1(VALU_DEP_1)
	v_or3_b32 v22, v22, v29, v23
	v_lshlrev_b16 v23, 8, v28
	v_add_nc_u16 v23, 0xf000, v23
	s_delay_alu instid0(VALU_DEP_1) | instskip(NEXT) | instid1(VALU_DEP_1)
	v_lshrrev_b16 v23, 8, v23
	v_bitop3_b16 v23, v28, v23, 0x1f00 bitop3:0xec
	s_delay_alu instid0(VALU_DEP_1) | instskip(NEXT) | instid1(VALU_DEP_1)
	v_add_nc_u16 v23, 0xf000, v23
	v_dual_lshrrev_b32 v22, 16, v22 :: v_dual_lshrrev_b32 v21, 8, v23
	s_delay_alu instid0(VALU_DEP_1) | instskip(SKIP_2) | instid1(VALU_DEP_4)
	v_lshlrev_b16 v28, 8, v22
	v_and_b32_e32 v22, 0x1f00, v22
	v_bfe_i32 v23, v23, 0, 8
	v_bfe_i32 v21, v21, 0, 8
	s_delay_alu instid0(VALU_DEP_4) | instskip(NEXT) | instid1(VALU_DEP_4)
	v_add_nc_u16 v28, 0xf000, v28
	v_add_nc_u16 v22, 0xf000, v22
	s_delay_alu instid0(VALU_DEP_4) | instskip(NEXT) | instid1(VALU_DEP_4)
	v_cvt_f16_i16_e32 v23, v23
	v_cvt_f16_i16_e32 v21, v21
	s_delay_alu instid0(VALU_DEP_3) | instskip(NEXT) | instid1(VALU_DEP_2)
	v_lshrrev_b32_e32 v22, 8, v22
	v_pack_b32_f16 v21, v23, v21
	v_ashrrev_i16 v23, 8, v28
	s_delay_alu instid0(VALU_DEP_3) | instskip(NEXT) | instid1(VALU_DEP_3)
	v_bfe_i32 v22, v22, 0, 8
	v_pk_mul_f16 v21, v21, v20
	s_delay_alu instid0(VALU_DEP_3) | instskip(NEXT) | instid1(VALU_DEP_3)
	v_cvt_f16_i16_e32 v23, v23
	v_cvt_f16_i16_e32 v22, v22
	s_delay_alu instid0(VALU_DEP_1) | instskip(NEXT) | instid1(VALU_DEP_1)
	v_pack_b32_f16 v22, v23, v22
	v_pk_mul_f16 v20, v22, v20
	v_pk_fma_f16 v22, v21, v27, v24
	s_delay_alu instid0(VALU_DEP_2)
	v_pk_fma_f16 v23, v20, v27, v25
	v_add_nc_u64_e32 v[20:21], v[16:17], v[112:113]
	s_clause 0x2
	global_load_b32 v20, v[20:21], off offset:6
	global_load_b32 v21, v[16:17], off offset:2
	global_load_u16 v16, v[16:17], off
	s_wait_loadcnt 0x2
	v_ashrrev_i32_e32 v20, v192, v20
	s_wait_loadcnt 0x1
	v_dual_lshrrev_b32 v24, v188, v21 :: v_dual_lshrrev_b32 v25, v193, v21
	s_wait_loadcnt 0x0
	v_mul_u32_u24_e32 v16, 0x10001, v16
	v_and_b32_e32 v20, 0xf0f0f0f, v20
	s_delay_alu instid0(VALU_DEP_3) | instskip(NEXT) | instid1(VALU_DEP_1)
	v_dual_lshlrev_b32 v24, 4, v24 :: v_dual_lshlrev_b32 v25, 12, v25
	v_and_b32_e32 v24, 16, v24
	s_delay_alu instid0(VALU_DEP_2) | instskip(NEXT) | instid1(VALU_DEP_1)
	v_and_b32_e32 v25, 0x1000, v25
	v_or3_b32 v24, v24, v20, v25
	v_dual_lshrrev_b32 v25, v194, v21 :: v_dual_lshrrev_b32 v21, v195, v21
	s_delay_alu instid0(VALU_DEP_1) | instskip(NEXT) | instid1(VALU_DEP_2)
	v_lshlrev_b32_e32 v25, 20, v25
	v_lshlrev_b32_e32 v21, 28, v21
	s_delay_alu instid0(VALU_DEP_2) | instskip(NEXT) | instid1(VALU_DEP_2)
	v_and_b32_e32 v25, 0x100000, v25
	v_and_b32_e32 v21, 0x10000000, v21
	s_delay_alu instid0(VALU_DEP_1) | instskip(SKIP_1) | instid1(VALU_DEP_2)
	v_or3_b32 v20, v20, v25, v21
	v_lshlrev_b16 v21, 8, v24
	v_lshrrev_b32_e32 v20, 16, v20
	s_delay_alu instid0(VALU_DEP_2) | instskip(NEXT) | instid1(VALU_DEP_1)
	v_add_nc_u16 v21, 0xf000, v21
	v_lshrrev_b16 v21, 8, v21
	s_delay_alu instid0(VALU_DEP_1) | instskip(NEXT) | instid1(VALU_DEP_4)
	v_bitop3_b16 v21, v24, v21, 0x1f00 bitop3:0xec
	v_lshlrev_b16 v24, 8, v20
	v_and_b32_e32 v20, 0x1f00, v20
	s_delay_alu instid0(VALU_DEP_3) | instskip(NEXT) | instid1(VALU_DEP_3)
	v_add_nc_u16 v21, 0xf000, v21
	v_add_nc_u16 v24, 0xf000, v24
	s_delay_alu instid0(VALU_DEP_3) | instskip(NEXT) | instid1(VALU_DEP_3)
	v_add_nc_u16 v20, 0xf000, v20
	v_lshrrev_b32_e32 v17, 8, v21
	v_bfe_i32 v21, v21, 0, 8
	s_delay_alu instid0(VALU_DEP_3) | instskip(NEXT) | instid1(VALU_DEP_3)
	v_lshrrev_b32_e32 v20, 8, v20
	v_bfe_i32 v17, v17, 0, 8
	s_delay_alu instid0(VALU_DEP_3) | instskip(NEXT) | instid1(VALU_DEP_3)
	v_cvt_f16_i16_e32 v21, v21
	v_bfe_i32 v20, v20, 0, 8
	s_delay_alu instid0(VALU_DEP_3) | instskip(NEXT) | instid1(VALU_DEP_2)
	v_cvt_f16_i16_e32 v17, v17
	v_cvt_f16_i16_e32 v20, v20
	s_delay_alu instid0(VALU_DEP_2) | instskip(SKIP_1) | instid1(VALU_DEP_2)
	v_pack_b32_f16 v17, v21, v17
	v_ashrrev_i16 v21, 8, v24
	v_pk_mul_f16 v17, v17, v16
	s_delay_alu instid0(VALU_DEP_2) | instskip(NEXT) | instid1(VALU_DEP_2)
	v_cvt_f16_i16_e32 v21, v21
	v_pk_fma_f16 v24, v17, v27, v26
	s_delay_alu instid0(VALU_DEP_2) | instskip(NEXT) | instid1(VALU_DEP_1)
	v_pack_b32_f16 v20, v21, v20
	v_pk_mul_f16 v16, v20, v16
	s_delay_alu instid0(VALU_DEP_1) | instskip(SKIP_1) | instid1(VALU_DEP_1)
	v_pk_fma_f16 v25, v16, v27, v18
	v_and_b32_e32 v16, 0xffff, v19
	v_mul_u32_u24_e32 v26, 0x10001, v16
	v_add_nc_u64_e32 v[16:17], s[14:15], v[158:159]
	s_delay_alu instid0(VALU_DEP_1) | instskip(SKIP_1) | instid1(VALU_DEP_2)
	v_add_nc_u64_e32 v[18:19], v[16:17], v[168:169]
	v_add_nc_u64_e32 v[16:17], v[16:17], v[166:167]
	;; [unrolled: 1-line block ×3, first 2 shown]
	s_clause 0x2
	global_load_b32 v20, v[20:21], off offset:6
	global_load_b32 v21, v[18:19], off offset:2
	global_load_u16 v18, v[18:19], off
	s_wait_loadcnt 0x2
	v_ashrrev_i32_e32 v20, v192, v20
	s_wait_loadcnt 0x1
	v_dual_lshrrev_b32 v27, v188, v21 :: v_dual_lshrrev_b32 v28, v193, v21
	s_wait_loadcnt 0x0
	v_mul_u32_u24_e32 v18, 0x10001, v18
	v_and_b32_e32 v20, 0xf0f0f0f, v20
	s_delay_alu instid0(VALU_DEP_3) | instskip(NEXT) | instid1(VALU_DEP_1)
	v_dual_lshlrev_b32 v27, 4, v27 :: v_dual_lshlrev_b32 v28, 12, v28
	v_and_b32_e32 v27, 16, v27
	s_delay_alu instid0(VALU_DEP_2) | instskip(NEXT) | instid1(VALU_DEP_1)
	v_and_b32_e32 v28, 0x1000, v28
	v_or3_b32 v27, v27, v20, v28
	v_dual_lshrrev_b32 v28, v194, v21 :: v_dual_lshrrev_b32 v21, v195, v21
	s_delay_alu instid0(VALU_DEP_1) | instskip(NEXT) | instid1(VALU_DEP_1)
	v_dual_lshlrev_b32 v28, 20, v28 :: v_dual_lshlrev_b32 v21, 28, v21
	v_and_b32_e32 v28, 0x100000, v28
	s_delay_alu instid0(VALU_DEP_2) | instskip(NEXT) | instid1(VALU_DEP_1)
	v_and_b32_e32 v21, 0x10000000, v21
	v_or3_b32 v20, v20, v28, v21
	v_lshlrev_b16 v21, 8, v27
	s_delay_alu instid0(VALU_DEP_1) | instskip(NEXT) | instid1(VALU_DEP_1)
	v_add_nc_u16 v21, 0xf000, v21
	v_lshrrev_b16 v21, 8, v21
	s_delay_alu instid0(VALU_DEP_1) | instskip(NEXT) | instid1(VALU_DEP_1)
	v_bitop3_b16 v21, v27, v21, 0x1f00 bitop3:0xec
	v_add_nc_u16 v21, 0xf000, v21
	s_delay_alu instid0(VALU_DEP_1) | instskip(NEXT) | instid1(VALU_DEP_1)
	v_dual_lshrrev_b32 v20, 16, v20 :: v_dual_lshrrev_b32 v19, 8, v21
	v_lshlrev_b16 v27, 8, v20
	v_and_b32_e32 v20, 0x1f00, v20
	v_bfe_i32 v21, v21, 0, 8
	s_delay_alu instid0(VALU_DEP_4) | instskip(NEXT) | instid1(VALU_DEP_4)
	v_bfe_i32 v19, v19, 0, 8
	v_add_nc_u16 v27, 0xf000, v27
	s_delay_alu instid0(VALU_DEP_4) | instskip(NEXT) | instid1(VALU_DEP_4)
	v_add_nc_u16 v20, 0xf000, v20
	v_cvt_f16_i16_e32 v21, v21
	s_delay_alu instid0(VALU_DEP_4) | instskip(NEXT) | instid1(VALU_DEP_3)
	v_cvt_f16_i16_e32 v19, v19
	v_lshrrev_b32_e32 v20, 8, v20
	s_delay_alu instid0(VALU_DEP_2) | instskip(SKIP_1) | instid1(VALU_DEP_3)
	v_pack_b32_f16 v19, v21, v19
	v_ashrrev_i16 v21, 8, v27
	v_bfe_i32 v20, v20, 0, 8
	v_mul_u32_u24_e32 v27, 0x10001, v198
	s_delay_alu instid0(VALU_DEP_4) | instskip(NEXT) | instid1(VALU_DEP_4)
	v_pk_mul_f16 v19, v19, v18
	v_cvt_f16_i16_e32 v21, v21
	s_delay_alu instid0(VALU_DEP_4) | instskip(NEXT) | instid1(VALU_DEP_3)
	v_cvt_f16_i16_e32 v20, v20
	v_pk_fma_f16 v22, v19, v26, v22
	s_delay_alu instid0(VALU_DEP_2) | instskip(NEXT) | instid1(VALU_DEP_1)
	v_pack_b32_f16 v20, v21, v20
	v_pk_mul_f16 v18, v20, v18
	s_delay_alu instid0(VALU_DEP_1)
	v_pk_fma_f16 v23, v18, v26, v23
	v_add_nc_u64_e32 v[18:19], v[16:17], v[112:113]
	s_clause 0x2
	global_load_b32 v18, v[18:19], off offset:6
	global_load_b32 v19, v[16:17], off offset:2
	global_load_u16 v16, v[16:17], off
	s_wait_loadcnt 0x2
	v_ashrrev_i32_e32 v18, v192, v18
	s_wait_loadcnt 0x1
	v_dual_lshrrev_b32 v20, v188, v19 :: v_dual_lshrrev_b32 v21, v193, v19
	s_wait_loadcnt 0x0
	v_mul_u32_u24_e32 v16, 0x10001, v16
	v_and_b32_e32 v18, 0xf0f0f0f, v18
	s_delay_alu instid0(VALU_DEP_3) | instskip(NEXT) | instid1(VALU_DEP_1)
	v_dual_lshlrev_b32 v20, 4, v20 :: v_dual_lshlrev_b32 v21, 12, v21
	v_and_b32_e32 v20, 16, v20
	s_delay_alu instid0(VALU_DEP_2) | instskip(NEXT) | instid1(VALU_DEP_1)
	v_and_b32_e32 v21, 0x1000, v21
	v_or3_b32 v20, v20, v18, v21
	v_dual_lshrrev_b32 v21, v194, v19 :: v_dual_lshrrev_b32 v19, v195, v19
	s_delay_alu instid0(VALU_DEP_1) | instskip(NEXT) | instid1(VALU_DEP_1)
	v_dual_lshlrev_b32 v21, 20, v21 :: v_dual_lshlrev_b32 v19, 28, v19
	v_and_b32_e32 v21, 0x100000, v21
	s_delay_alu instid0(VALU_DEP_2) | instskip(NEXT) | instid1(VALU_DEP_1)
	v_and_b32_e32 v19, 0x10000000, v19
	v_or3_b32 v18, v18, v21, v19
	v_lshlrev_b16 v19, 8, v20
	s_delay_alu instid0(VALU_DEP_2) | instskip(NEXT) | instid1(VALU_DEP_2)
	v_lshrrev_b32_e32 v18, 16, v18
	v_add_nc_u16 v19, 0xf000, v19
	s_delay_alu instid0(VALU_DEP_1) | instskip(NEXT) | instid1(VALU_DEP_1)
	v_lshrrev_b16 v19, 8, v19
	v_bitop3_b16 v19, v20, v19, 0x1f00 bitop3:0xec
	s_delay_alu instid0(VALU_DEP_4) | instskip(SKIP_1) | instid1(VALU_DEP_3)
	v_lshlrev_b16 v20, 8, v18
	v_and_b32_e32 v18, 0x1f00, v18
	v_add_nc_u16 v19, 0xf000, v19
	s_delay_alu instid0(VALU_DEP_3) | instskip(NEXT) | instid1(VALU_DEP_3)
	v_add_nc_u16 v20, 0xf000, v20
	v_add_nc_u16 v18, 0xf000, v18
	s_delay_alu instid0(VALU_DEP_3) | instskip(SKIP_1) | instid1(VALU_DEP_3)
	v_lshrrev_b32_e32 v17, 8, v19
	v_bfe_i32 v19, v19, 0, 8
	v_lshrrev_b32_e32 v18, 8, v18
	s_delay_alu instid0(VALU_DEP_3) | instskip(NEXT) | instid1(VALU_DEP_3)
	v_bfe_i32 v17, v17, 0, 8
	v_cvt_f16_i16_e32 v19, v19
	s_delay_alu instid0(VALU_DEP_3) | instskip(NEXT) | instid1(VALU_DEP_3)
	v_bfe_i32 v18, v18, 0, 8
	v_cvt_f16_i16_e32 v17, v17
	s_delay_alu instid0(VALU_DEP_2) | instskip(NEXT) | instid1(VALU_DEP_2)
	v_cvt_f16_i16_e32 v18, v18
	v_pack_b32_f16 v17, v19, v17
	v_ashrrev_i16 v19, 8, v20
	s_delay_alu instid0(VALU_DEP_2) | instskip(NEXT) | instid1(VALU_DEP_2)
	v_pk_mul_f16 v17, v17, v16
	v_cvt_f16_i16_e32 v19, v19
	s_delay_alu instid0(VALU_DEP_2) | instskip(NEXT) | instid1(VALU_DEP_2)
	v_pk_fma_f16 v24, v17, v26, v24
	v_pack_b32_f16 v18, v19, v18
	s_delay_alu instid0(VALU_DEP_1) | instskip(NEXT) | instid1(VALU_DEP_1)
	v_pk_mul_f16 v16, v18, v16
	v_pk_fma_f16 v26, v16, v26, v25
	v_add_nc_u64_e32 v[16:17], s[14:15], v[160:161]
	s_add_nc_u64 s[14:15], s[14:15], s[10:11]
	s_delay_alu instid0(VALU_DEP_1) | instskip(SKIP_1) | instid1(VALU_DEP_2)
	v_add_nc_u64_e32 v[18:19], v[16:17], v[168:169]
	v_add_nc_u64_e32 v[16:17], v[16:17], v[166:167]
	;; [unrolled: 1-line block ×3, first 2 shown]
	s_clause 0x2
	global_load_b32 v20, v[20:21], off offset:6
	global_load_b32 v21, v[18:19], off offset:2
	global_load_u16 v18, v[18:19], off
	s_wait_loadcnt 0x1
	v_dual_lshrrev_b32 v25, v188, v21 :: v_dual_lshrrev_b32 v28, v193, v21
	v_ashrrev_i32_e32 v20, v192, v20
	s_wait_loadcnt 0x0
	v_mul_u32_u24_e32 v18, 0x10001, v18
	s_delay_alu instid0(VALU_DEP_3) | instskip(NEXT) | instid1(VALU_DEP_3)
	v_dual_lshlrev_b32 v25, 4, v25 :: v_dual_lshlrev_b32 v28, 12, v28
	v_and_b32_e32 v20, 0xf0f0f0f, v20
	s_delay_alu instid0(VALU_DEP_2) | instskip(NEXT) | instid1(VALU_DEP_3)
	v_and_b32_e32 v25, 16, v25
	v_and_b32_e32 v28, 0x1000, v28
	s_delay_alu instid0(VALU_DEP_1) | instskip(SKIP_1) | instid1(VALU_DEP_1)
	v_or3_b32 v25, v25, v20, v28
	v_dual_lshrrev_b32 v28, v194, v21 :: v_dual_lshrrev_b32 v21, v195, v21
	v_dual_lshlrev_b32 v28, 20, v28 :: v_dual_lshlrev_b32 v21, 28, v21
	s_delay_alu instid0(VALU_DEP_1) | instskip(NEXT) | instid1(VALU_DEP_2)
	v_and_b32_e32 v28, 0x100000, v28
	v_and_b32_e32 v21, 0x10000000, v21
	s_delay_alu instid0(VALU_DEP_1) | instskip(SKIP_1) | instid1(VALU_DEP_1)
	v_or3_b32 v20, v20, v28, v21
	v_lshlrev_b16 v21, 8, v25
	v_add_nc_u16 v21, 0xf000, v21
	s_delay_alu instid0(VALU_DEP_1) | instskip(NEXT) | instid1(VALU_DEP_1)
	v_lshrrev_b16 v21, 8, v21
	v_bitop3_b16 v21, v25, v21, 0x1f00 bitop3:0xec
	s_delay_alu instid0(VALU_DEP_1) | instskip(NEXT) | instid1(VALU_DEP_1)
	v_add_nc_u16 v21, 0xf000, v21
	v_dual_lshrrev_b32 v20, 16, v20 :: v_dual_lshrrev_b32 v19, 8, v21
	s_delay_alu instid0(VALU_DEP_1) | instskip(SKIP_2) | instid1(VALU_DEP_4)
	v_lshlrev_b16 v25, 8, v20
	v_and_b32_e32 v20, 0x1f00, v20
	v_bfe_i32 v21, v21, 0, 8
	v_bfe_i32 v19, v19, 0, 8
	s_delay_alu instid0(VALU_DEP_4) | instskip(NEXT) | instid1(VALU_DEP_4)
	v_add_nc_u16 v25, 0xf000, v25
	v_add_nc_u16 v20, 0xf000, v20
	s_delay_alu instid0(VALU_DEP_4) | instskip(NEXT) | instid1(VALU_DEP_4)
	v_cvt_f16_i16_e32 v21, v21
	v_cvt_f16_i16_e32 v19, v19
	s_delay_alu instid0(VALU_DEP_3) | instskip(NEXT) | instid1(VALU_DEP_2)
	v_lshrrev_b32_e32 v20, 8, v20
	v_pack_b32_f16 v19, v21, v19
	v_ashrrev_i16 v21, 8, v25
	s_delay_alu instid0(VALU_DEP_3) | instskip(NEXT) | instid1(VALU_DEP_3)
	v_bfe_i32 v20, v20, 0, 8
	v_pk_mul_f16 v19, v19, v18
	s_delay_alu instid0(VALU_DEP_3) | instskip(NEXT) | instid1(VALU_DEP_3)
	v_cvt_f16_i16_e32 v21, v21
	v_cvt_f16_i16_e32 v20, v20
	s_delay_alu instid0(VALU_DEP_3) | instskip(NEXT) | instid1(VALU_DEP_2)
	v_pk_fma_f16 v22, v19, v27, v22
	v_pack_b32_f16 v20, v21, v20
	s_delay_alu instid0(VALU_DEP_1) | instskip(NEXT) | instid1(VALU_DEP_1)
	v_pk_mul_f16 v18, v20, v18
	v_pk_fma_f16 v23, v18, v27, v23
	v_add_nc_u64_e32 v[18:19], v[16:17], v[112:113]
	s_clause 0x2
	global_load_b32 v18, v[18:19], off offset:6
	global_load_b32 v19, v[16:17], off offset:2
	global_load_u16 v16, v[16:17], off
	s_wait_loadcnt 0x2
	v_ashrrev_i32_e32 v18, v192, v18
	s_wait_loadcnt 0x1
	v_dual_lshrrev_b32 v20, v188, v19 :: v_dual_lshrrev_b32 v21, v193, v19
	s_wait_loadcnt 0x0
	v_mul_u32_u24_e32 v16, 0x10001, v16
	v_and_b32_e32 v18, 0xf0f0f0f, v18
	s_delay_alu instid0(VALU_DEP_3) | instskip(NEXT) | instid1(VALU_DEP_1)
	v_dual_lshlrev_b32 v20, 4, v20 :: v_dual_lshlrev_b32 v21, 12, v21
	v_and_b32_e32 v20, 16, v20
	s_delay_alu instid0(VALU_DEP_2) | instskip(NEXT) | instid1(VALU_DEP_1)
	v_and_b32_e32 v21, 0x1000, v21
	v_or3_b32 v20, v20, v18, v21
	v_dual_lshrrev_b32 v21, v194, v19 :: v_dual_lshrrev_b32 v19, v195, v19
	s_delay_alu instid0(VALU_DEP_1) | instskip(NEXT) | instid1(VALU_DEP_1)
	v_dual_lshlrev_b32 v21, 20, v21 :: v_dual_lshlrev_b32 v19, 28, v19
	v_and_b32_e32 v21, 0x100000, v21
	s_delay_alu instid0(VALU_DEP_2) | instskip(NEXT) | instid1(VALU_DEP_1)
	v_and_b32_e32 v19, 0x10000000, v19
	v_or3_b32 v18, v18, v21, v19
	v_lshlrev_b16 v19, 8, v20
	s_delay_alu instid0(VALU_DEP_2) | instskip(NEXT) | instid1(VALU_DEP_2)
	v_lshrrev_b32_e32 v18, 16, v18
	v_add_nc_u16 v19, 0xf000, v19
	s_delay_alu instid0(VALU_DEP_1) | instskip(NEXT) | instid1(VALU_DEP_1)
	v_lshrrev_b16 v19, 8, v19
	v_bitop3_b16 v19, v20, v19, 0x1f00 bitop3:0xec
	s_delay_alu instid0(VALU_DEP_4) | instskip(SKIP_1) | instid1(VALU_DEP_3)
	v_lshlrev_b16 v20, 8, v18
	v_and_b32_e32 v18, 0x1f00, v18
	v_add_nc_u16 v19, 0xf000, v19
	s_delay_alu instid0(VALU_DEP_3) | instskip(NEXT) | instid1(VALU_DEP_3)
	v_add_nc_u16 v20, 0xf000, v20
	v_add_nc_u16 v18, 0xf000, v18
	s_delay_alu instid0(VALU_DEP_3) | instskip(SKIP_1) | instid1(VALU_DEP_3)
	v_lshrrev_b32_e32 v17, 8, v19
	v_bfe_i32 v19, v19, 0, 8
	v_lshrrev_b32_e32 v18, 8, v18
	s_delay_alu instid0(VALU_DEP_3) | instskip(NEXT) | instid1(VALU_DEP_3)
	v_bfe_i32 v17, v17, 0, 8
	v_cvt_f16_i16_e32 v19, v19
	s_delay_alu instid0(VALU_DEP_3) | instskip(NEXT) | instid1(VALU_DEP_3)
	v_bfe_i32 v18, v18, 0, 8
	v_cvt_f16_i16_e32 v17, v17
	s_delay_alu instid0(VALU_DEP_2) | instskip(NEXT) | instid1(VALU_DEP_2)
	v_cvt_f16_i16_e32 v18, v18
	v_pack_b32_f16 v17, v19, v17
	v_ashrrev_i16 v19, 8, v20
	s_delay_alu instid0(VALU_DEP_2) | instskip(NEXT) | instid1(VALU_DEP_2)
	v_pk_mul_f16 v17, v17, v16
	v_cvt_f16_i16_e32 v19, v19
	s_delay_alu instid0(VALU_DEP_2) | instskip(NEXT) | instid1(VALU_DEP_2)
	v_pk_fma_f16 v25, v17, v27, v24
	v_pack_b32_f16 v18, v19, v18
	s_delay_alu instid0(VALU_DEP_1) | instskip(NEXT) | instid1(VALU_DEP_1)
	v_pk_mul_f16 v16, v18, v16
	v_pk_fma_f16 v24, v16, v27, v26
	s_cbranch_scc1 .LBB23_22
; %bb.20:                               ;   in Loop: Header=BB23_15 Depth=1
	v_mov_b32_e32 v26, v196
	s_branch .LBB23_15
.LBB23_21:
	v_dual_mov_b32 v22, 0 :: v_dual_mov_b32 v25, 0
	v_dual_mov_b32 v196, 0xfeffffff :: v_dual_mov_b32 v23, 0
	v_mov_b32_e32 v24, 0
.LBB23_22:
	v_or_b32_e32 v0, s24, v103
	s_cmp_lg_u64 s[16:17], 0
	s_cselect_b32 s3, -1, 0
	s_delay_alu instid0(VALU_DEP_1) | instskip(SKIP_1) | instid1(SALU_CYCLE_1)
	v_cmp_eq_u32_e32 vcc_lo, 0, v0
	s_and_b32 s4, vcc_lo, s3
	s_and_saveexec_b32 s3, s4
	s_cbranch_execz .LBB23_24
; %bb.23:
	s_lshl_b64 s[4:5], s[34:35], 2
	v_max_num_f32_e32 v0, v196, v196
	s_add_nc_u64 s[4:5], s[16:17], s[4:5]
	s_load_b32 s4, s[4:5], 0x0
	s_wait_kmcnt 0x0
	v_max_num_f32_e64 v1, s4, s4
	s_delay_alu instid0(VALU_DEP_1) | instskip(NEXT) | instid1(VALU_DEP_1)
	v_max_num_f32_e32 v0, v0, v1
	v_sub_f32_e32 v1, v196, v0
	s_delay_alu instid0(VALU_DEP_1) | instskip(NEXT) | instid1(VALU_DEP_1)
	v_mul_f32_e32 v3, 0x3fb8aa3b, v1
	v_fma_f32 v5, 0x3fb8aa3b, v1, -v3
	v_rndne_f32_e32 v6, v3
	s_delay_alu instid0(VALU_DEP_2) | instskip(NEXT) | instid1(VALU_DEP_2)
	v_dual_fmac_f32 v5, 0x32a5705f, v1 :: v_dual_sub_f32 v2, s4, v0
	v_sub_f32_e32 v3, v3, v6
	v_cmp_ngt_f32_e32 vcc_lo, 0xc2ce8ed0, v1
	v_mov_b32_e32 v196, v0
	s_delay_alu instid0(VALU_DEP_3) | instskip(SKIP_1) | instid1(VALU_DEP_2)
	v_dual_mul_f32 v4, 0x3fb8aa3b, v2 :: v_dual_add_f32 v3, v3, v5
	v_cvt_i32_f32_e32 v5, v6
	v_fma_f32 v7, 0x3fb8aa3b, v2, -v4
	s_delay_alu instid0(VALU_DEP_3) | instskip(SKIP_1) | instid1(VALU_DEP_1)
	v_exp_f32_e32 v3, v3
	v_rndne_f32_e32 v8, v4
	v_sub_f32_e32 v4, v4, v8
	s_delay_alu instid0(TRANS32_DEP_1) | instskip(SKIP_1) | instid1(VALU_DEP_2)
	v_ldexp_f32 v3, v3, v5
	v_cvt_i32_f32_e32 v6, v8
	v_cndmask_b32_e32 v3, 0, v3, vcc_lo
	v_cmp_ngt_f32_e32 vcc_lo, 0xc2ce8ed0, v2
	v_fmac_f32_e32 v7, 0x32a5705f, v2
	s_delay_alu instid0(VALU_DEP_1) | instskip(NEXT) | instid1(VALU_DEP_1)
	v_add_f32_e32 v4, v4, v7
	v_exp_f32_e32 v4, v4
	v_nop
	s_delay_alu instid0(TRANS32_DEP_1) | instskip(NEXT) | instid1(VALU_DEP_1)
	v_ldexp_f32 v4, v4, v6
	v_cndmask_b32_e32 v4, 0, v4, vcc_lo
	v_cmp_nlt_f32_e32 vcc_lo, 0x42b17218, v1
	v_cndmask_b32_e32 v1, 0x7f800000, v3, vcc_lo
	v_cmp_nlt_f32_e32 vcc_lo, 0x42b17218, v2
	s_delay_alu instid0(VALU_DEP_2) | instskip(SKIP_2) | instid1(VALU_DEP_3)
	v_cvt_f16_f32_e32 v3, v1
	v_cndmask_b32_e32 v2, 0x7f800000, v4, vcc_lo
	v_cmp_eq_u32_e32 vcc_lo, 0, v163
	v_and_b32_e32 v3, 0xffff, v3
	s_delay_alu instid0(VALU_DEP_3) | instskip(NEXT) | instid1(VALU_DEP_1)
	v_cndmask_b32_e32 v2, 0, v2, vcc_lo
	v_fmac_f32_e32 v2, v175, v1
	s_delay_alu instid0(VALU_DEP_3) | instskip(NEXT) | instid1(VALU_DEP_2)
	v_mul_u32_u24_e32 v1, 0x10001, v3
	v_mov_b32_e32 v175, v2
	s_delay_alu instid0(VALU_DEP_2)
	v_pk_mul_f16 v22, v22, v1
	v_pk_mul_f16 v23, v23, v1
	;; [unrolled: 1-line block ×4, first 2 shown]
.LBB23_24:
	s_or_b32 exec_lo, exec_lo, s3
	s_and_saveexec_b32 s3, s2
; %bb.25:
	v_dual_mov_b32 v0, 0xfeffffff :: v_dual_mov_b32 v1, 0
	v_add_nc_u32_e32 v2, 0x800, v173
	ds_store_2addr_b32 v2, v0, v1 offset1:32
; %bb.26:
	s_or_b32 exec_lo, exec_lo, s3
	v_cmp_eq_u32_e32 vcc_lo, 0, v163
	v_lshlrev_b32_e32 v2, 2, v103
	s_wait_dscnt 0x0
	s_barrier_signal -1
	s_barrier_wait -1
	s_and_saveexec_b32 s2, vcc_lo
; %bb.27:
	ds_store_b32 v2, v196 offset:2048
; %bb.28:
	s_or_b32 exec_lo, exec_lo, s2
	s_wait_dscnt 0x0
	s_barrier_signal -1
	s_barrier_wait -1
	ds_load_b32 v0, v173 offset:2048
	v_xor_b32_e32 v6, 2, v165
	v_xor_b32_e32 v4, 8, v165
	;; [unrolled: 1-line block ×5, first 2 shown]
	s_load_b32 s1, s[0:1], 0xd4
	v_lshlrev_b32_e32 v14, 3, v163
	v_cmp_gt_i32_e64 s2, 32, v1
	s_delay_alu instid0(VALU_DEP_1) | instskip(SKIP_1) | instid1(VALU_DEP_1)
	v_cndmask_b32_e64 v1, v165, v1, s2
	v_cmp_gt_i32_e64 s2, 32, v4
	v_dual_lshlrev_b32 v3, 2, v1 :: v_dual_cndmask_b32 v4, v165, v4, s2
	v_cmp_gt_i32_e64 s2, 32, v5
	s_wait_dscnt 0x0
	ds_bpermute_b32 v1, v3, v0
	v_dual_max_num_f32 v0, v0, v0 :: v_dual_cndmask_b32 v5, v165, v5, s2
	v_cmp_gt_i32_e64 s2, 32, v6
	s_delay_alu instid0(VALU_DEP_1) | instskip(SKIP_1) | instid1(VALU_DEP_1)
	v_cndmask_b32_e64 v6, v165, v6, s2
	v_cmp_gt_i32_e64 s2, 32, v7
	v_dual_lshlrev_b32 v6, 2, v6 :: v_dual_cndmask_b32 v7, v165, v7, s2
	v_lshlrev_b32_e32 v5, 2, v5
	s_wait_dscnt 0x0
	v_dual_max_num_f32 v1, v1, v1 :: v_dual_lshlrev_b32 v4, 2, v4
	s_delay_alu instid0(VALU_DEP_1) | instskip(SKIP_3) | instid1(VALU_DEP_1)
	v_max_num_f32_e32 v0, v0, v1
	ds_bpermute_b32 v1, v4, v0
	s_wait_dscnt 0x0
	v_max_num_f32_e32 v1, v1, v1
	v_max_num_f32_e32 v0, v0, v1
	ds_bpermute_b32 v1, v5, v0
	s_wait_dscnt 0x0
	v_max_num_f32_e32 v1, v1, v1
	s_delay_alu instid0(VALU_DEP_1) | instskip(SKIP_3) | instid1(VALU_DEP_1)
	v_max_num_f32_e32 v0, v0, v1
	ds_bpermute_b32 v1, v6, v0
	s_wait_dscnt 0x0
	v_dual_max_num_f32 v8, v1, v1 :: v_dual_lshlrev_b32 v1, 2, v7
	v_max_num_f32_e32 v0, v0, v8
	ds_bpermute_b32 v7, v1, v0
	s_wait_dscnt 0x0
	v_max_num_f32_e32 v7, v7, v7
	s_delay_alu instid0(VALU_DEP_1) | instskip(NEXT) | instid1(VALU_DEP_1)
	v_max_num_f32_e32 v0, v0, v7
	v_sub_f32_e32 v7, v196, v0
	s_delay_alu instid0(VALU_DEP_1) | instskip(SKIP_1) | instid1(VALU_DEP_2)
	v_mul_f32_e32 v8, 0x3fb8aa3b, v7
	v_cmp_ngt_f32_e64 s2, 0xc2ce8ed0, v7
	v_fma_f32 v9, 0x3fb8aa3b, v7, -v8
	v_rndne_f32_e32 v10, v8
	s_delay_alu instid0(VALU_DEP_1) | instskip(NEXT) | instid1(VALU_DEP_1)
	v_dual_fmamk_f32 v9, v7, 0x32a5705f, v9 :: v_dual_sub_f32 v8, v8, v10
	v_add_f32_e32 v8, v8, v9
	v_cvt_i32_f32_e32 v9, v10
	s_delay_alu instid0(VALU_DEP_2) | instskip(SKIP_1) | instid1(TRANS32_DEP_1)
	v_exp_f32_e32 v8, v8
	v_nop
	v_ldexp_f32 v8, v8, v9
	s_delay_alu instid0(VALU_DEP_1) | instskip(SKIP_1) | instid1(VALU_DEP_1)
	v_cndmask_b32_e64 v8, 0, v8, s2
	v_cmp_nlt_f32_e64 s2, 0x42b17218, v7
	v_cndmask_b32_e64 v7, 0x7f800000, v8, s2
	s_delay_alu instid0(VALU_DEP_1)
	v_mul_f32_e32 v8, v175, v7
	v_cvt_f16_f32_e32 v10, v7
	ds_bpermute_b32 v8, v3, v8
	s_wait_dscnt 0x0
	v_fmac_f32_e32 v8, v175, v7
	ds_bpermute_b32 v9, v4, v8
	s_wait_dscnt 0x0
	v_add_f32_e32 v8, v8, v9
	ds_bpermute_b32 v9, v5, v8
	s_wait_dscnt 0x0
	v_add_f32_e32 v8, v8, v9
	;; [unrolled: 3-line block ×3, first 2 shown]
	v_and_b32_e32 v9, 0xffff, v10
	ds_bpermute_b32 v8, v1, v7
	v_mul_u32_u24_e32 v9, 0x10001, v9
	s_delay_alu instid0(VALU_DEP_1)
	v_pk_mul_f16 v10, v22, v9
	v_pk_mul_f16 v11, v23, v9
	;; [unrolled: 1-line block ×4, first 2 shown]
	v_lshl_add_u32 v9, v103, 9, v14
	ds_store_2addr_b64 v9, v[10:11], v[12:13] offset1:32
	s_wait_xcnt 0x0
	s_and_saveexec_b32 s0, vcc_lo
	s_cbranch_execz .LBB23_30
; %bb.29:
	s_wait_dscnt 0x1
	v_add_f32_e32 v7, v7, v8
	ds_store_b32 v2, v7 offset:2176
.LBB23_30:
	s_or_b32 exec_lo, exec_lo, s0
	s_wait_dscnt 0x0
	s_barrier_signal -1
	s_barrier_wait -1
	ds_load_b32 v2, v173 offset:2176
	s_mul_i32 s2, s30, s28
	s_delay_alu instid0(SALU_CYCLE_1) | instskip(NEXT) | instid1(SALU_CYCLE_1)
	s_add_co_i32 s2, s2, s33
	s_mul_i32 s2, s2, s29
	s_delay_alu instid0(SALU_CYCLE_1) | instskip(SKIP_2) | instid1(SALU_CYCLE_1)
	s_add_co_i32 s2, s2, s34
	s_wait_kmcnt 0x0
	s_mul_i32 s2, s1, s2
	s_add_co_i32 s2, s2, s24
	s_cmp_eq_u32 s1, 1
	s_wait_dscnt 0x0
	ds_bpermute_b32 v3, v3, v2
	s_wait_dscnt 0x0
	v_add_f32_e32 v2, v2, v3
	ds_bpermute_b32 v3, v4, v2
	s_wait_dscnt 0x0
	v_add_f32_e32 v2, v2, v3
	;; [unrolled: 3-line block ×3, first 2 shown]
	ds_bpermute_b32 v3, v6, v2
	ds_load_u16 v4, v172
	ds_load_u16 v5, v172 offset:1792
	ds_load_u16 v6, v172 offset:1280
	;; [unrolled: 1-line block ×7, first 2 shown]
	s_wait_dscnt 0x6
	v_cvt_f32_f16_e32 v5, v5
	s_wait_dscnt 0x5
	v_cvt_f32_f16_e32 v6, v6
	;; [unrolled: 2-line block ×3, first 2 shown]
	v_add_f32_e32 v2, v2, v3
	v_cvt_f32_f16_e32 v3, v4
	s_wait_dscnt 0x3
	v_cvt_f32_f16_e32 v4, v8
	s_wait_dscnt 0x2
	;; [unrolled: 2-line block ×3, first 2 shown]
	v_cvt_f32_f16_e32 v9, v10
	v_dual_add_f32 v3, 0, v3 :: v_dual_add_f32 v4, 0, v4
	s_delay_alu instid0(VALU_DEP_1) | instskip(NEXT) | instid1(VALU_DEP_1)
	v_add_f32_e32 v3, v3, v8
	v_add_f32_e32 v3, v3, v9
	ds_bpermute_b32 v1, v1, v2
	v_add_f32_e32 v4, v4, v7
	s_wait_dscnt 0x1
	v_cvt_f32_f16_e32 v7, v11
	s_delay_alu instid0(VALU_DEP_1) | instskip(SKIP_2) | instid1(VALU_DEP_2)
	v_dual_add_f32 v3, v3, v7 :: v_dual_add_f32 v4, v4, v6
	s_wait_dscnt 0x0
	v_add_f32_e32 v1, v2, v1
	v_add_f32_e32 v2, v4, v5
	s_delay_alu instid0(VALU_DEP_2) | instskip(NEXT) | instid1(VALU_DEP_2)
	v_div_scale_f32 v4, null, v1, v1, v3
	v_div_scale_f32 v5, null, v1, v1, v2
	v_div_scale_f32 v10, vcc_lo, v3, v1, v3
	s_delay_alu instid0(VALU_DEP_3) | instskip(NEXT) | instid1(VALU_DEP_2)
	v_rcp_f32_e32 v6, v4
	v_rcp_f32_e32 v7, v5
	s_delay_alu instid0(TRANS32_DEP_2) | instskip(NEXT) | instid1(TRANS32_DEP_1)
	v_fma_f32 v8, -v4, v6, 1.0
	v_fma_f32 v9, -v5, v7, 1.0
	s_delay_alu instid0(VALU_DEP_1) | instskip(SKIP_1) | instid1(VALU_DEP_1)
	v_dual_fmac_f32 v7, v9, v7 :: v_dual_fmac_f32 v6, v8, v6
	v_div_scale_f32 v8, s0, v2, v1, v2
	v_dual_mul_f32 v11, v8, v7 :: v_dual_mul_f32 v9, v10, v6
	s_delay_alu instid0(VALU_DEP_1) | instskip(NEXT) | instid1(VALU_DEP_1)
	v_dual_fma_f32 v13, -v5, v11, v8 :: v_dual_fma_f32 v12, -v4, v9, v10
	v_dual_fmac_f32 v11, v13, v7 :: v_dual_fmac_f32 v9, v12, v6
	s_delay_alu instid0(VALU_DEP_1) | instskip(NEXT) | instid1(VALU_DEP_1)
	v_dual_fma_f32 v5, -v5, v11, v8 :: v_dual_fma_f32 v4, -v4, v9, v10
	v_div_fmas_f32 v4, v4, v6, v9
	s_mov_b32 vcc_lo, s0
	v_cmp_eq_u32_e64 s0, 0, v171
	s_delay_alu instid0(VALU_DEP_3)
	v_div_fmas_f32 v5, v5, v7, v11
	s_cselect_b32 vcc_lo, -1, 0
	v_div_fixup_f32 v4, v4, v1, v3
	s_cmp_lg_u32 s1, 1
	v_lshl_or_b32 v6, s2, 8, v171
	v_div_fixup_f32 v5, v5, v1, v2
	s_cselect_b32 s1, -1, 0
	v_cndmask_b32_e32 v3, v3, v4, vcc_lo
	s_and_b32 s0, s0, s1
	s_delay_alu instid0(VALU_DEP_2)
	v_cndmask_b32_e32 v2, v2, v5, vcc_lo
	s_clause 0x1
	global_store_b32 v6, v3, s[20:21] scale_offset
	global_store_b32 v6, v2, s[20:21] offset:512 scale_offset
	s_wait_xcnt 0x0
	s_and_saveexec_b32 s1, s0
	s_cbranch_execz .LBB23_32
; %bb.31:
	v_mov_b32_e32 v2, s2
	global_store_b64 v2, v[0:1], s[22:23] scale_offset
.LBB23_32:
	s_sendmsg sendmsg(MSG_DEALLOC_VGPRS)
	s_endpgm
	.section	.rodata,"a",@progbits
	.p2align	6, 0x0
	.amdhsa_kernel _ZL18flash_attn_ext_vecILi256ELi1EL9ggml_type6ELS0_6ELb0EEvPKcS2_S2_S2_S2_PKiPfP15HIP_vector_typeIfLj2EEffffjfiS6_IjLj3EEiiiiiiiiiiiliiliiiiil
		.amdhsa_group_segment_fixed_size 2304
		.amdhsa_private_segment_fixed_size 0
		.amdhsa_kernarg_size 464
		.amdhsa_user_sgpr_count 2
		.amdhsa_user_sgpr_dispatch_ptr 0
		.amdhsa_user_sgpr_queue_ptr 0
		.amdhsa_user_sgpr_kernarg_segment_ptr 1
		.amdhsa_user_sgpr_dispatch_id 0
		.amdhsa_user_sgpr_kernarg_preload_length 0
		.amdhsa_user_sgpr_kernarg_preload_offset 0
		.amdhsa_user_sgpr_private_segment_size 0
		.amdhsa_wavefront_size32 1
		.amdhsa_uses_dynamic_stack 0
		.amdhsa_enable_private_segment 0
		.amdhsa_system_sgpr_workgroup_id_x 1
		.amdhsa_system_sgpr_workgroup_id_y 1
		.amdhsa_system_sgpr_workgroup_id_z 1
		.amdhsa_system_sgpr_workgroup_info 0
		.amdhsa_system_vgpr_workitem_id 1
		.amdhsa_next_free_vgpr 212
		.amdhsa_next_free_sgpr 55
		.amdhsa_named_barrier_count 0
		.amdhsa_reserve_vcc 1
		.amdhsa_float_round_mode_32 0
		.amdhsa_float_round_mode_16_64 0
		.amdhsa_float_denorm_mode_32 3
		.amdhsa_float_denorm_mode_16_64 3
		.amdhsa_fp16_overflow 0
		.amdhsa_memory_ordered 1
		.amdhsa_forward_progress 1
		.amdhsa_inst_pref_size 255
		.amdhsa_round_robin_scheduling 0
		.amdhsa_exception_fp_ieee_invalid_op 0
		.amdhsa_exception_fp_denorm_src 0
		.amdhsa_exception_fp_ieee_div_zero 0
		.amdhsa_exception_fp_ieee_overflow 0
		.amdhsa_exception_fp_ieee_underflow 0
		.amdhsa_exception_fp_ieee_inexact 0
		.amdhsa_exception_int_div_zero 0
	.end_amdhsa_kernel
	.section	.text._ZL18flash_attn_ext_vecILi256ELi1EL9ggml_type6ELS0_6ELb0EEvPKcS2_S2_S2_S2_PKiPfP15HIP_vector_typeIfLj2EEffffjfiS6_IjLj3EEiiiiiiiiiiiliiliiiiil,"axG",@progbits,_ZL18flash_attn_ext_vecILi256ELi1EL9ggml_type6ELS0_6ELb0EEvPKcS2_S2_S2_S2_PKiPfP15HIP_vector_typeIfLj2EEffffjfiS6_IjLj3EEiiiiiiiiiiiliiliiiiil,comdat
.Lfunc_end23:
	.size	_ZL18flash_attn_ext_vecILi256ELi1EL9ggml_type6ELS0_6ELb0EEvPKcS2_S2_S2_S2_PKiPfP15HIP_vector_typeIfLj2EEffffjfiS6_IjLj3EEiiiiiiiiiiiliiliiiiil, .Lfunc_end23-_ZL18flash_attn_ext_vecILi256ELi1EL9ggml_type6ELS0_6ELb0EEvPKcS2_S2_S2_S2_PKiPfP15HIP_vector_typeIfLj2EEffffjfiS6_IjLj3EEiiiiiiiiiiiliiliiiiil
                                        ; -- End function
	.set _ZL18flash_attn_ext_vecILi256ELi1EL9ggml_type6ELS0_6ELb0EEvPKcS2_S2_S2_S2_PKiPfP15HIP_vector_typeIfLj2EEffffjfiS6_IjLj3EEiiiiiiiiiiiliiliiiiil.num_vgpr, 212
	.set _ZL18flash_attn_ext_vecILi256ELi1EL9ggml_type6ELS0_6ELb0EEvPKcS2_S2_S2_S2_PKiPfP15HIP_vector_typeIfLj2EEffffjfiS6_IjLj3EEiiiiiiiiiiiliiliiiiil.num_agpr, 0
	.set _ZL18flash_attn_ext_vecILi256ELi1EL9ggml_type6ELS0_6ELb0EEvPKcS2_S2_S2_S2_PKiPfP15HIP_vector_typeIfLj2EEffffjfiS6_IjLj3EEiiiiiiiiiiiliiliiiiil.numbered_sgpr, 55
	.set _ZL18flash_attn_ext_vecILi256ELi1EL9ggml_type6ELS0_6ELb0EEvPKcS2_S2_S2_S2_PKiPfP15HIP_vector_typeIfLj2EEffffjfiS6_IjLj3EEiiiiiiiiiiiliiliiiiil.num_named_barrier, 0
	.set _ZL18flash_attn_ext_vecILi256ELi1EL9ggml_type6ELS0_6ELb0EEvPKcS2_S2_S2_S2_PKiPfP15HIP_vector_typeIfLj2EEffffjfiS6_IjLj3EEiiiiiiiiiiiliiliiiiil.private_seg_size, 0
	.set _ZL18flash_attn_ext_vecILi256ELi1EL9ggml_type6ELS0_6ELb0EEvPKcS2_S2_S2_S2_PKiPfP15HIP_vector_typeIfLj2EEffffjfiS6_IjLj3EEiiiiiiiiiiiliiliiiiil.uses_vcc, 1
	.set _ZL18flash_attn_ext_vecILi256ELi1EL9ggml_type6ELS0_6ELb0EEvPKcS2_S2_S2_S2_PKiPfP15HIP_vector_typeIfLj2EEffffjfiS6_IjLj3EEiiiiiiiiiiiliiliiiiil.uses_flat_scratch, 0
	.set _ZL18flash_attn_ext_vecILi256ELi1EL9ggml_type6ELS0_6ELb0EEvPKcS2_S2_S2_S2_PKiPfP15HIP_vector_typeIfLj2EEffffjfiS6_IjLj3EEiiiiiiiiiiiliiliiiiil.has_dyn_sized_stack, 0
	.set _ZL18flash_attn_ext_vecILi256ELi1EL9ggml_type6ELS0_6ELb0EEvPKcS2_S2_S2_S2_PKiPfP15HIP_vector_typeIfLj2EEffffjfiS6_IjLj3EEiiiiiiiiiiiliiliiiiil.has_recursion, 0
	.set _ZL18flash_attn_ext_vecILi256ELi1EL9ggml_type6ELS0_6ELb0EEvPKcS2_S2_S2_S2_PKiPfP15HIP_vector_typeIfLj2EEffffjfiS6_IjLj3EEiiiiiiiiiiiliiliiiiil.has_indirect_call, 0
	.section	.AMDGPU.csdata,"",@progbits
; Kernel info:
; codeLenInByte = 46500
; TotalNumSgprs: 57
; NumVgprs: 212
; ScratchSize: 0
; MemoryBound: 0
; FloatMode: 240
; IeeeMode: 1
; LDSByteSize: 2304 bytes/workgroup (compile time only)
; SGPRBlocks: 0
; VGPRBlocks: 13
; NumSGPRsForWavesPerEU: 57
; NumVGPRsForWavesPerEU: 212
; NamedBarCnt: 0
; Occupancy: 4
; WaveLimiterHint : 0
; COMPUTE_PGM_RSRC2:SCRATCH_EN: 0
; COMPUTE_PGM_RSRC2:USER_SGPR: 2
; COMPUTE_PGM_RSRC2:TRAP_HANDLER: 0
; COMPUTE_PGM_RSRC2:TGID_X_EN: 1
; COMPUTE_PGM_RSRC2:TGID_Y_EN: 1
; COMPUTE_PGM_RSRC2:TGID_Z_EN: 1
; COMPUTE_PGM_RSRC2:TIDIG_COMP_CNT: 1
	.section	.text._ZL33flash_attn_stream_k_fixup_uniformILi256ELi1ELi1EEvPfPK15HIP_vector_typeIfLj2EEiiiiiiS1_IjLj3EES5_S5_,"axG",@progbits,_ZL33flash_attn_stream_k_fixup_uniformILi256ELi1ELi1EEvPfPK15HIP_vector_typeIfLj2EEiiiiiiS1_IjLj3EES5_S5_,comdat
	.globl	_ZL33flash_attn_stream_k_fixup_uniformILi256ELi1ELi1EEvPfPK15HIP_vector_typeIfLj2EEiiiiiiS1_IjLj3EES5_S5_ ; -- Begin function _ZL33flash_attn_stream_k_fixup_uniformILi256ELi1ELi1EEvPfPK15HIP_vector_typeIfLj2EEiiiiiiS1_IjLj3EES5_S5_
	.p2align	8
	.type	_ZL33flash_attn_stream_k_fixup_uniformILi256ELi1ELi1EEvPfPK15HIP_vector_typeIfLj2EEiiiiiiS1_IjLj3EES5_S5_,@function
_ZL33flash_attn_stream_k_fixup_uniformILi256ELi1ELi1EEvPfPK15HIP_vector_typeIfLj2EEiiiiiiS1_IjLj3EES5_S5_: ; @_ZL33flash_attn_stream_k_fixup_uniformILi256ELi1ELi1EEvPfPK15HIP_vector_typeIfLj2EEiiiiiiS1_IjLj3EES5_S5_
; %bb.0:
	s_load_b256 s[4:11], s[0:1], 0x1c
	s_bfe_u32 s2, ttmp6, 0x40014
	s_lshr_b32 s3, ttmp7, 16
	s_add_co_i32 s2, s2, 1
	s_bfe_u32 s13, ttmp6, 0x40010
	s_mul_i32 s2, s3, s2
	s_bfe_u32 s12, ttmp6, 0x40008
	s_and_b32 s14, ttmp7, 0xffff
	s_add_co_i32 s13, s13, 1
	s_bfe_u32 s15, ttmp6, 0x4000c
	s_add_co_i32 s2, s12, s2
	s_mul_i32 s12, s14, s13
	s_bfe_u32 s13, ttmp6, 0x40004
	s_add_co_i32 s15, s15, 1
	s_add_co_i32 s13, s13, s12
	s_and_b32 s12, ttmp6, 15
	s_mul_i32 s15, ttmp9, s15
	s_getreg_b32 s20, hwreg(HW_REG_IB_STS2, 6, 4)
	s_add_co_i32 s12, s12, s15
	s_load_b128 s[16:19], s[0:1], 0x3c
	s_cmp_eq_u32 s20, 0
	s_cselect_b32 s12, ttmp9, s12
	s_cselect_b32 s13, s14, s13
	s_wait_kmcnt 0x0
	s_mul_hi_u32 s14, s7, s12
	s_cselect_b32 s7, s3, s2
	s_add_co_i32 s2, s12, s14
	s_delay_alu instid0(SALU_CYCLE_1) | instskip(NEXT) | instid1(SALU_CYCLE_1)
	s_lshr_b32 s14, s2, s8
	s_mul_i32 s2, s14, s9
	s_delay_alu instid0(SALU_CYCLE_1) | instskip(SKIP_2) | instid1(SALU_CYCLE_1)
	s_sub_co_i32 s8, s12, s2
	s_load_b64 s[2:3], s[0:1], 0x10
	s_mul_hi_u32 s9, s8, s10
	s_add_co_i32 s9, s8, s9
	s_delay_alu instid0(SALU_CYCLE_1) | instskip(NEXT) | instid1(SALU_CYCLE_1)
	s_lshr_b32 s15, s9, s11
	s_mul_i32 s9, s15, s16
	s_delay_alu instid0(SALU_CYCLE_1) | instskip(NEXT) | instid1(SALU_CYCLE_1)
	s_sub_co_i32 s8, s8, s9
	s_mul_hi_u32 s9, s8, s17
	s_delay_alu instid0(SALU_CYCLE_1) | instskip(NEXT) | instid1(SALU_CYCLE_1)
	s_add_co_i32 s9, s8, s9
	s_lshr_b32 s17, s9, s18
	s_delay_alu instid0(SALU_CYCLE_1) | instskip(NEXT) | instid1(SALU_CYCLE_1)
	s_mul_i32 s9, s17, s19
	s_sub_co_i32 s16, s8, s9
	s_delay_alu instid0(SALU_CYCLE_1) | instskip(SKIP_4) | instid1(SALU_CYCLE_1)
	s_add_co_i32 s16, s16, s13
	s_wait_kmcnt 0x0
	s_cmp_lt_i32 s16, s2
	s_cselect_b32 s8, -1, 0
	s_add_co_i32 s17, s17, s7
	s_cmp_lt_i32 s17, s5
	s_cselect_b32 s9, -1, 0
	s_delay_alu instid0(SALU_CYCLE_1) | instskip(NEXT) | instid1(SALU_CYCLE_1)
	s_and_b32 s8, s8, s9
	s_and_not1_b32 vcc_lo, exec_lo, s8
	s_cbranch_vccnz .LBB24_6
; %bb.1:
	s_load_b128 s[8:11], s[0:1], 0x0
	s_mul_i32 s14, s14, s2
	s_mul_i32 s15, s15, s5
	s_wait_xcnt 0x0
	s_add_co_i32 s0, s16, s14
	s_add_co_i32 s1, s17, s15
	s_mul_i32 s0, s0, s3
	s_mul_i32 s5, s6, s12
	s_add_co_i32 s1, s1, s0
	s_add_co_i32 s7, s13, s7
	v_lshl_or_b32 v4, s1, 8, v0
	s_add_co_i32 s6, s5, s6
	s_delay_alu instid0(SALU_CYCLE_1) | instskip(SKIP_4) | instid1(SALU_CYCLE_1)
	s_add_co_i32 s2, s7, s6
	s_add_co_i32 s12, s6, -2
	s_add_co_i32 s0, s2, -1
	v_ashrrev_i32_e32 v5, 31, v4
	s_ashr_i32 s1, s0, 31
	s_lshl_b64 s[0:1], s[0:1], 3
	s_cmp_lt_i32 s12, s5
	s_wait_kmcnt 0x0
	global_load_b32 v3, v4, s[8:9] scale_offset
	s_add_nc_u64 s[0:1], s[10:11], s[0:1]
	s_load_b32 s3, s[0:1], 0x4
	s_cbranch_scc1 .LBB24_4
; %bb.2:
	s_wait_xcnt 0x0
	s_load_b32 s0, s[0:1], 0x0
	v_lshl_or_b32 v0, s2, 8, v0
	s_lshl_b32 s12, s4, 2
	s_wait_kmcnt 0x0
	v_mov_b32_e32 v2, s3
	s_ashr_i32 s13, s12, 31
	s_add_co_i32 s1, s6, -1
	v_add_nc_u32_e32 v0, 0xfffffe00, v0
	s_lshl_b64 s[12:13], s[12:13], 2
	s_add_co_i32 s4, s7, s4
	s_add_nc_u64 s[2:3], s[10:11], s[12:13]
.LBB24_3:                               ; =>This Inner Loop Header: Depth=1
	global_load_b32 v7, v0, s[2:3] scale_offset
	s_add_co_i32 s1, s1, -1
	v_max_num_f32_e64 v1, s0, s0
	s_add_co_i32 s6, s1, s4
	s_delay_alu instid0(SALU_CYCLE_1) | instskip(NEXT) | instid1(SALU_CYCLE_1)
	s_ashr_i32 s7, s6, 31
	s_lshl_b64 s[6:7], s[6:7], 3
	s_delay_alu instid0(VALU_DEP_1)
	v_readfirstlane_b32 s12, v1
	s_add_nc_u64 s[6:7], s[10:11], s[6:7]
	s_load_b64 s[6:7], s[6:7], 0x0
	v_add_nc_u32_e32 v0, 0xffffff00, v0
	s_wait_kmcnt 0x0
	v_max_num_f32_e64 v1, s6, s6
	s_delay_alu instid0(VALU_DEP_1) | instskip(SKIP_1) | instid1(SALU_CYCLE_3)
	v_readfirstlane_b32 s13, v1
	s_max_num_f32 s12, s12, s13
	s_sub_f32 s0, s0, s12
	s_sub_f32 s6, s6, s12
	s_delay_alu instid0(SALU_CYCLE_2) | instskip(NEXT) | instid1(SALU_CYCLE_2)
	s_mul_f32 s13, s0, 0x3fb8aa3b
	s_mul_f32 s14, s6, 0x3fb8aa3b
	s_delay_alu instid0(SALU_CYCLE_2)
	s_xor_b32 s15, s13, 0x80000000
	s_rndne_f32 s16, s13
	s_fmamk_f32 s15, s0, 0x3fb8aa3b, s15
	s_cmp_nlt_f32 s0, 0xc2ce8ed0
	s_rndne_f32 s17, s14
	s_sub_f32 s13, s13, s16
	s_fmamk_f32 s15, s0, 0x32a5705f, s15
	s_cselect_b32 vcc_lo, -1, 0
	s_cmp_ngt_f32 s0, 0x42b17218
	s_delay_alu instid0(SALU_CYCLE_1) | instskip(SKIP_2) | instid1(SALU_CYCLE_1)
	s_add_f32 s13, s13, s15
	s_cvt_i32_f32 s15, s16
	s_sub_f32 s16, s14, s17
	v_s_exp_f32 s13, s13
	v_nop
	s_delay_alu instid0(TRANS32_DEP_1) | instskip(SKIP_1) | instid1(VALU_DEP_1)
	v_ldexp_f32 v1, s13, s15
	s_cvt_i32_f32 s13, s17
	v_cndmask_b32_e32 v1, 0, v1, vcc_lo
	s_cselect_b32 vcc_lo, -1, 0
	s_cmp_ge_f32 s0, 0xc1a00000
	s_delay_alu instid0(VALU_DEP_1)
	v_cndmask_b32_e32 v1, 0x7f800000, v1, vcc_lo
	s_cselect_b32 vcc_lo, -1, 0
	s_xor_b32 s0, s14, 0x80000000
	s_cmp_nlt_f32 s6, 0xc2ce8ed0
	s_fmamk_f32 s0, s6, 0x3fb8aa3b, s0
	v_cndmask_b32_e32 v10, 0, v1, vcc_lo
	s_delay_alu instid0(SALU_CYCLE_2) | instskip(NEXT) | instid1(SALU_CYCLE_3)
	s_fmamk_f32 s0, s6, 0x32a5705f, s0
	s_add_f32 s0, s16, s0
	s_delay_alu instid0(SALU_CYCLE_3) | instskip(SKIP_1) | instid1(TRANS32_DEP_1)
	v_s_exp_f32 s0, s0
	v_nop
	v_ldexp_f32 v6, s0, s13
	s_cselect_b32 s0, -1, 0
	s_cmp_ngt_f32 s6, 0x42b17218
	s_delay_alu instid0(VALU_DEP_1) | instskip(SKIP_2) | instid1(VALU_DEP_1)
	v_cndmask_b32_e64 v6, 0, v6, s0
	s_cselect_b32 s0, -1, 0
	s_cmp_ge_f32 s6, 0xc1a00000
	v_cndmask_b32_e64 v8, 0x7f800000, v6, s0
	s_cselect_b32 s0, -1, 0
	v_mov_b32_e32 v6, s7
	s_cmp_le_i32 s1, s5
	s_delay_alu instid0(VALU_DEP_2) | instskip(SKIP_2) | instid1(VALU_DEP_1)
	v_cndmask_b32_e64 v8, 0, v8, s0
	s_mov_b32 s0, s12
	s_wait_loadcnt 0x0
	v_pk_mul_f32 v[6:7], v[6:7], v[8:9] op_sel_hi:[1,0]
	s_delay_alu instid0(VALU_DEP_1)
	v_pk_fma_f32 v[2:3], v[2:3], v[10:11], v[6:7] op_sel_hi:[1,0,1]
	s_cbranch_scc0 .LBB24_3
	s_branch .LBB24_5
.LBB24_4:
	s_wait_kmcnt 0x0
	v_mov_b32_e32 v2, s3
.LBB24_5:
	v_lshl_add_u64 v[0:1], v[4:5], 2, s[8:9]
	s_wait_loadcnt 0x0
	s_delay_alu instid0(VALU_DEP_2) | instskip(NEXT) | instid1(VALU_DEP_1)
	v_div_scale_f32 v4, null, v2, v2, v3
	v_rcp_f32_e32 v5, v4
	v_nop
	s_delay_alu instid0(TRANS32_DEP_1) | instskip(NEXT) | instid1(VALU_DEP_1)
	v_fma_f32 v6, -v4, v5, 1.0
	v_fmac_f32_e32 v5, v6, v5
	v_div_scale_f32 v6, vcc_lo, v3, v2, v3
	s_delay_alu instid0(VALU_DEP_1) | instskip(NEXT) | instid1(VALU_DEP_1)
	v_mul_f32_e32 v7, v6, v5
	v_fma_f32 v8, -v4, v7, v6
	s_delay_alu instid0(VALU_DEP_1) | instskip(NEXT) | instid1(VALU_DEP_1)
	v_fmac_f32_e32 v7, v8, v5
	v_fma_f32 v4, -v4, v7, v6
	s_delay_alu instid0(VALU_DEP_1) | instskip(NEXT) | instid1(VALU_DEP_1)
	v_div_fmas_f32 v4, v4, v5, v7
	v_div_fixup_f32 v2, v4, v2, v3
	global_store_b32 v[0:1], v2, off
.LBB24_6:
	s_endpgm
	.section	.rodata,"a",@progbits
	.p2align	6, 0x0
	.amdhsa_kernel _ZL33flash_attn_stream_k_fixup_uniformILi256ELi1ELi1EEvPfPK15HIP_vector_typeIfLj2EEiiiiiiS1_IjLj3EES5_S5_
		.amdhsa_group_segment_fixed_size 0
		.amdhsa_private_segment_fixed_size 0
		.amdhsa_kernarg_size 76
		.amdhsa_user_sgpr_count 2
		.amdhsa_user_sgpr_dispatch_ptr 0
		.amdhsa_user_sgpr_queue_ptr 0
		.amdhsa_user_sgpr_kernarg_segment_ptr 1
		.amdhsa_user_sgpr_dispatch_id 0
		.amdhsa_user_sgpr_kernarg_preload_length 0
		.amdhsa_user_sgpr_kernarg_preload_offset 0
		.amdhsa_user_sgpr_private_segment_size 0
		.amdhsa_wavefront_size32 1
		.amdhsa_uses_dynamic_stack 0
		.amdhsa_enable_private_segment 0
		.amdhsa_system_sgpr_workgroup_id_x 1
		.amdhsa_system_sgpr_workgroup_id_y 1
		.amdhsa_system_sgpr_workgroup_id_z 1
		.amdhsa_system_sgpr_workgroup_info 0
		.amdhsa_system_vgpr_workitem_id 0
		.amdhsa_next_free_vgpr 12
		.amdhsa_next_free_sgpr 21
		.amdhsa_named_barrier_count 0
		.amdhsa_reserve_vcc 1
		.amdhsa_float_round_mode_32 0
		.amdhsa_float_round_mode_16_64 0
		.amdhsa_float_denorm_mode_32 3
		.amdhsa_float_denorm_mode_16_64 3
		.amdhsa_fp16_overflow 0
		.amdhsa_memory_ordered 1
		.amdhsa_forward_progress 1
		.amdhsa_inst_pref_size 8
		.amdhsa_round_robin_scheduling 0
		.amdhsa_exception_fp_ieee_invalid_op 0
		.amdhsa_exception_fp_denorm_src 0
		.amdhsa_exception_fp_ieee_div_zero 0
		.amdhsa_exception_fp_ieee_overflow 0
		.amdhsa_exception_fp_ieee_underflow 0
		.amdhsa_exception_fp_ieee_inexact 0
		.amdhsa_exception_int_div_zero 0
	.end_amdhsa_kernel
	.section	.text._ZL33flash_attn_stream_k_fixup_uniformILi256ELi1ELi1EEvPfPK15HIP_vector_typeIfLj2EEiiiiiiS1_IjLj3EES5_S5_,"axG",@progbits,_ZL33flash_attn_stream_k_fixup_uniformILi256ELi1ELi1EEvPfPK15HIP_vector_typeIfLj2EEiiiiiiS1_IjLj3EES5_S5_,comdat
.Lfunc_end24:
	.size	_ZL33flash_attn_stream_k_fixup_uniformILi256ELi1ELi1EEvPfPK15HIP_vector_typeIfLj2EEiiiiiiS1_IjLj3EES5_S5_, .Lfunc_end24-_ZL33flash_attn_stream_k_fixup_uniformILi256ELi1ELi1EEvPfPK15HIP_vector_typeIfLj2EEiiiiiiS1_IjLj3EES5_S5_
                                        ; -- End function
	.set _ZL33flash_attn_stream_k_fixup_uniformILi256ELi1ELi1EEvPfPK15HIP_vector_typeIfLj2EEiiiiiiS1_IjLj3EES5_S5_.num_vgpr, 12
	.set _ZL33flash_attn_stream_k_fixup_uniformILi256ELi1ELi1EEvPfPK15HIP_vector_typeIfLj2EEiiiiiiS1_IjLj3EES5_S5_.num_agpr, 0
	.set _ZL33flash_attn_stream_k_fixup_uniformILi256ELi1ELi1EEvPfPK15HIP_vector_typeIfLj2EEiiiiiiS1_IjLj3EES5_S5_.numbered_sgpr, 21
	.set _ZL33flash_attn_stream_k_fixup_uniformILi256ELi1ELi1EEvPfPK15HIP_vector_typeIfLj2EEiiiiiiS1_IjLj3EES5_S5_.num_named_barrier, 0
	.set _ZL33flash_attn_stream_k_fixup_uniformILi256ELi1ELi1EEvPfPK15HIP_vector_typeIfLj2EEiiiiiiS1_IjLj3EES5_S5_.private_seg_size, 0
	.set _ZL33flash_attn_stream_k_fixup_uniformILi256ELi1ELi1EEvPfPK15HIP_vector_typeIfLj2EEiiiiiiS1_IjLj3EES5_S5_.uses_vcc, 1
	.set _ZL33flash_attn_stream_k_fixup_uniformILi256ELi1ELi1EEvPfPK15HIP_vector_typeIfLj2EEiiiiiiS1_IjLj3EES5_S5_.uses_flat_scratch, 0
	.set _ZL33flash_attn_stream_k_fixup_uniformILi256ELi1ELi1EEvPfPK15HIP_vector_typeIfLj2EEiiiiiiS1_IjLj3EES5_S5_.has_dyn_sized_stack, 0
	.set _ZL33flash_attn_stream_k_fixup_uniformILi256ELi1ELi1EEvPfPK15HIP_vector_typeIfLj2EEiiiiiiS1_IjLj3EES5_S5_.has_recursion, 0
	.set _ZL33flash_attn_stream_k_fixup_uniformILi256ELi1ELi1EEvPfPK15HIP_vector_typeIfLj2EEiiiiiiS1_IjLj3EES5_S5_.has_indirect_call, 0
	.section	.AMDGPU.csdata,"",@progbits
; Kernel info:
; codeLenInByte = 1016
; TotalNumSgprs: 23
; NumVgprs: 12
; ScratchSize: 0
; MemoryBound: 0
; FloatMode: 240
; IeeeMode: 1
; LDSByteSize: 0 bytes/workgroup (compile time only)
; SGPRBlocks: 0
; VGPRBlocks: 0
; NumSGPRsForWavesPerEU: 23
; NumVGPRsForWavesPerEU: 12
; NamedBarCnt: 0
; Occupancy: 16
; WaveLimiterHint : 0
; COMPUTE_PGM_RSRC2:SCRATCH_EN: 0
; COMPUTE_PGM_RSRC2:USER_SGPR: 2
; COMPUTE_PGM_RSRC2:TRAP_HANDLER: 0
; COMPUTE_PGM_RSRC2:TGID_X_EN: 1
; COMPUTE_PGM_RSRC2:TGID_Y_EN: 1
; COMPUTE_PGM_RSRC2:TGID_Z_EN: 1
; COMPUTE_PGM_RSRC2:TIDIG_COMP_CNT: 0
	.section	.text._ZL33flash_attn_stream_k_fixup_generalILi256ELi1ELi1EEvPfPK15HIP_vector_typeIfLj2EEiiiiS1_IjLj3EES5_S5_S5_,"axG",@progbits,_ZL33flash_attn_stream_k_fixup_generalILi256ELi1ELi1EEvPfPK15HIP_vector_typeIfLj2EEiiiiS1_IjLj3EES5_S5_S5_,comdat
	.globl	_ZL33flash_attn_stream_k_fixup_generalILi256ELi1ELi1EEvPfPK15HIP_vector_typeIfLj2EEiiiiS1_IjLj3EES5_S5_S5_ ; -- Begin function _ZL33flash_attn_stream_k_fixup_generalILi256ELi1ELi1EEvPfPK15HIP_vector_typeIfLj2EEiiiiS1_IjLj3EES5_S5_S5_
	.p2align	8
	.type	_ZL33flash_attn_stream_k_fixup_generalILi256ELi1ELi1EEvPfPK15HIP_vector_typeIfLj2EEiiiiS1_IjLj3EES5_S5_S5_,@function
_ZL33flash_attn_stream_k_fixup_generalILi256ELi1ELi1EEvPfPK15HIP_vector_typeIfLj2EEiiiiS1_IjLj3EES5_S5_S5_: ; @_ZL33flash_attn_stream_k_fixup_generalILi256ELi1ELi1EEvPfPK15HIP_vector_typeIfLj2EEiiiiS1_IjLj3EES5_S5_S5_
; %bb.0:
	s_clause 0x1
	s_load_b128 s[4:7], s[0:1], 0x10
	s_load_b32 s16, s[0:1], 0x50
	s_bfe_u32 s2, ttmp6, 0x4000c
	s_and_b32 s3, ttmp6, 15
	s_add_co_i32 s2, s2, 1
	s_getreg_b32 s15, hwreg(HW_REG_IB_STS2, 6, 4)
	s_mul_i32 s2, ttmp9, s2
	s_mov_b32 s17, 0
	s_add_co_i32 s3, s3, s2
	s_cmp_eq_u32 s15, 0
	s_cselect_b32 s2, ttmp9, s3
	s_delay_alu instid0(SALU_CYCLE_1) | instskip(SKIP_3) | instid1(SALU_CYCLE_1)
	s_ashr_i32 s3, s2, 31
	s_wait_kmcnt 0x0
	s_ashr_i32 s19, s7, 31
	s_mov_b32 s18, s7
	s_mul_u64 s[8:9], s[18:19], s[2:3]
	s_delay_alu instid0(SALU_CYCLE_1) | instskip(NEXT) | instid1(SALU_CYCLE_1)
	s_and_b64 s[10:11], s[8:9], 0xffffffff00000000
	s_cmp_lg_u64 s[10:11], 0
	s_cbranch_scc0 .LBB25_21
; %bb.1:
	s_add_nc_u64 s[10:11], s[16:17], 0
	s_mov_b32 s23, s17
	s_xor_b64 s[10:11], s[10:11], 0
	s_mov_b32 s27, s17
	s_cvt_f32_u32 s3, s10
	s_cvt_f32_u32 s7, s11
	s_sub_nc_u64 s[20:21], 0, s[10:11]
	s_delay_alu instid0(SALU_CYCLE_2) | instskip(NEXT) | instid1(SALU_CYCLE_3)
	s_fmamk_f32 s3, s7, 0x4f800000, s3
	v_s_rcp_f32 s3, s3
	s_delay_alu instid0(TRANS32_DEP_1) | instskip(NEXT) | instid1(SALU_CYCLE_3)
	s_mul_f32 s3, s3, 0x5f7ffffc
	s_mul_f32 s7, s3, 0x2f800000
	s_delay_alu instid0(SALU_CYCLE_3) | instskip(NEXT) | instid1(SALU_CYCLE_3)
	s_trunc_f32 s7, s7
	s_fmamk_f32 s3, s7, 0xcf800000, s3
	s_cvt_u32_f32 s13, s7
	s_delay_alu instid0(SALU_CYCLE_2) | instskip(NEXT) | instid1(SALU_CYCLE_3)
	s_cvt_u32_f32 s12, s3
	s_mul_u64 s[24:25], s[20:21], s[12:13]
	s_delay_alu instid0(SALU_CYCLE_1)
	s_mul_hi_u32 s29, s12, s25
	s_mul_i32 s28, s12, s25
	s_mul_hi_u32 s22, s12, s24
	s_mul_i32 s7, s13, s24
	s_add_nc_u64 s[22:23], s[22:23], s[28:29]
	s_mul_hi_u32 s3, s13, s24
	s_mul_hi_u32 s14, s13, s25
	s_add_co_u32 s7, s22, s7
	s_add_co_ci_u32 s26, s23, s3
	s_mul_i32 s24, s13, s25
	s_add_co_ci_u32 s25, s14, 0
	s_delay_alu instid0(SALU_CYCLE_1) | instskip(SKIP_3) | instid1(SALU_CYCLE_1)
	s_add_nc_u64 s[22:23], s[26:27], s[24:25]
	s_mov_b32 s25, s17
	s_add_co_u32 s12, s12, s22
	s_cselect_b32 s3, -1, 0
	s_cmp_lg_u32 s3, 0
	s_add_co_ci_u32 s13, s13, s23
	s_mov_b32 s23, s17
	s_mul_u64 s[20:21], s[20:21], s[12:13]
	s_delay_alu instid0(SALU_CYCLE_1)
	s_mul_hi_u32 s27, s12, s21
	s_mul_i32 s26, s12, s21
	s_mul_hi_u32 s22, s12, s20
	s_mul_i32 s7, s13, s20
	s_add_nc_u64 s[22:23], s[22:23], s[26:27]
	s_mul_hi_u32 s3, s13, s20
	s_mul_hi_u32 s14, s13, s21
	s_add_co_u32 s7, s22, s7
	s_add_co_ci_u32 s24, s23, s3
	s_mul_i32 s20, s13, s21
	s_add_co_ci_u32 s21, s14, 0
	s_mov_b32 s23, s17
	s_add_nc_u64 s[20:21], s[24:25], s[20:21]
	s_delay_alu instid0(SALU_CYCLE_1) | instskip(SKIP_1) | instid1(SALU_CYCLE_1)
	s_add_co_u32 s3, s12, s20
	s_cselect_b32 s7, -1, 0
	s_cmp_lg_u32 s7, 0
	s_add_co_ci_u32 s7, s13, s21
	s_ashr_i32 s12, s9, 31
	s_delay_alu instid0(SALU_CYCLE_1) | instskip(NEXT) | instid1(SALU_CYCLE_1)
	s_mov_b32 s13, s12
	s_add_nc_u64 s[20:21], s[8:9], s[12:13]
	s_delay_alu instid0(SALU_CYCLE_1) | instskip(NEXT) | instid1(SALU_CYCLE_1)
	s_xor_b64 s[20:21], s[20:21], s[12:13]
	s_mul_hi_u32 s27, s20, s7
	s_mul_i32 s26, s20, s7
	s_mul_hi_u32 s22, s20, s3
	s_mul_hi_u32 s14, s21, s3
	s_mul_i32 s3, s21, s3
	s_add_nc_u64 s[22:23], s[22:23], s[26:27]
	s_mul_hi_u32 s9, s21, s7
	s_add_co_u32 s3, s22, s3
	s_add_co_ci_u32 s24, s23, s14
	s_mul_i32 s26, s21, s7
	s_add_co_ci_u32 s27, s9, 0
	s_delay_alu instid0(SALU_CYCLE_1) | instskip(NEXT) | instid1(SALU_CYCLE_1)
	s_add_nc_u64 s[22:23], s[24:25], s[26:27]
	s_and_b64 s[24:25], s[22:23], 0xffffffff00000000
	s_delay_alu instid0(SALU_CYCLE_1) | instskip(NEXT) | instid1(SALU_CYCLE_1)
	s_or_b32 s24, s24, s22
	s_mul_u64 s[22:23], s[10:11], s[24:25]
	s_add_nc_u64 s[26:27], s[24:25], 1
	s_sub_co_u32 s3, s20, s22
	s_cselect_b32 s7, -1, 0
	s_sub_co_i32 s9, s21, s23
	s_cmp_lg_u32 s7, 0
	s_add_nc_u64 s[28:29], s[24:25], 2
	s_sub_co_ci_u32 s9, s9, s11
	s_sub_co_u32 s14, s3, s10
	s_cselect_b32 s20, -1, 0
	s_delay_alu instid0(SALU_CYCLE_1) | instskip(SKIP_1) | instid1(SALU_CYCLE_1)
	s_cmp_lg_u32 s20, 0
	s_sub_co_ci_u32 s9, s9, 0
	s_cmp_ge_u32 s9, s11
	s_cselect_b32 s20, -1, 0
	s_cmp_ge_u32 s14, s10
	s_cselect_b32 s14, -1, 0
	s_cmp_eq_u32 s9, s11
	s_cselect_b32 s9, s14, s20
	s_delay_alu instid0(SALU_CYCLE_1) | instskip(SKIP_4) | instid1(SALU_CYCLE_1)
	s_cmp_lg_u32 s9, 0
	s_cselect_b32 s9, s28, s26
	s_cselect_b32 s14, s29, s27
	s_cmp_lg_u32 s7, 0
	s_sub_co_ci_u32 s7, s21, s23
	s_cmp_ge_u32 s7, s11
	s_cselect_b32 s20, -1, 0
	s_cmp_ge_u32 s3, s10
	s_cselect_b32 s3, -1, 0
	s_cmp_eq_u32 s7, s11
	s_cselect_b32 s3, s3, s20
	s_delay_alu instid0(SALU_CYCLE_1) | instskip(SKIP_4) | instid1(SALU_CYCLE_1)
	s_cmp_lg_u32 s3, 0
	s_mov_b32 s3, s17
	s_cselect_b32 s11, s14, s25
	s_cselect_b32 s10, s9, s24
	s_xor_b64 s[12:13], s[12:13], 0
	s_xor_b64 s[10:11], s[10:11], s[12:13]
	s_delay_alu instid0(SALU_CYCLE_1)
	s_sub_nc_u64 s[20:21], s[10:11], s[12:13]
	s_and_not1_b32 vcc_lo, exec_lo, s3
	s_cbranch_vccnz .LBB25_3
.LBB25_2:
	v_cvt_f32_u32_e32 v1, s16
	s_sub_co_i32 s7, 0, s16
	s_mov_b32 s21, 0
	s_delay_alu instid0(VALU_DEP_1) | instskip(SKIP_1) | instid1(TRANS32_DEP_1)
	v_rcp_iflag_f32_e32 v1, v1
	v_nop
	v_mul_f32_e32 v1, 0x4f7ffffe, v1
	s_delay_alu instid0(VALU_DEP_1) | instskip(NEXT) | instid1(VALU_DEP_1)
	v_cvt_u32_f32_e32 v1, v1
	v_readfirstlane_b32 s3, v1
	s_mul_i32 s7, s7, s3
	s_delay_alu instid0(SALU_CYCLE_1) | instskip(NEXT) | instid1(SALU_CYCLE_1)
	s_mul_hi_u32 s7, s3, s7
	s_add_co_i32 s3, s3, s7
	s_delay_alu instid0(SALU_CYCLE_1) | instskip(NEXT) | instid1(SALU_CYCLE_1)
	s_mul_hi_u32 s3, s8, s3
	s_mul_i32 s7, s3, s16
	s_delay_alu instid0(SALU_CYCLE_1)
	s_sub_co_i32 s7, s8, s7
	s_add_co_i32 s8, s3, 1
	s_sub_co_i32 s9, s7, s16
	s_cmp_ge_u32 s7, s16
	s_cselect_b32 s3, s8, s3
	s_cselect_b32 s7, s9, s7
	s_add_co_i32 s8, s3, 1
	s_cmp_ge_u32 s7, s16
	s_cselect_b32 s20, s8, s3
.LBB25_3:
	s_add_co_i32 s8, s2, 1
	s_delay_alu instid0(SALU_CYCLE_1) | instskip(NEXT) | instid1(SALU_CYCLE_1)
	s_ashr_i32 s9, s8, 31
	s_mul_u64 s[8:9], s[18:19], s[8:9]
	s_delay_alu instid0(SALU_CYCLE_1) | instskip(NEXT) | instid1(SALU_CYCLE_1)
	s_and_b64 s[10:11], s[8:9], 0xffffffff00000000
	s_cmp_lg_u64 s[10:11], 0
	s_cbranch_scc0 .LBB25_22
; %bb.4:
	s_add_nc_u64 s[10:11], s[16:17], 0
	s_delay_alu instid0(SALU_CYCLE_1) | instskip(SKIP_4) | instid1(SALU_CYCLE_2)
	s_xor_b64 s[12:13], s[10:11], 0
	s_mov_b32 s11, 0
	s_cvt_f32_u32 s3, s12
	s_cvt_f32_u32 s7, s13
	s_sub_nc_u64 s[24:25], 0, s[12:13]
	s_fmamk_f32 s3, s7, 0x4f800000, s3
	s_delay_alu instid0(SALU_CYCLE_3) | instskip(NEXT) | instid1(TRANS32_DEP_1)
	v_s_rcp_f32 s3, s3
	s_mul_f32 s3, s3, 0x5f7ffffc
	s_delay_alu instid0(SALU_CYCLE_3) | instskip(NEXT) | instid1(SALU_CYCLE_3)
	s_mul_f32 s7, s3, 0x2f800000
	s_trunc_f32 s7, s7
	s_delay_alu instid0(SALU_CYCLE_3) | instskip(SKIP_1) | instid1(SALU_CYCLE_2)
	s_fmamk_f32 s3, s7, 0xcf800000, s3
	s_cvt_u32_f32 s23, s7
	s_cvt_u32_f32 s22, s3
	s_delay_alu instid0(SALU_CYCLE_3) | instskip(NEXT) | instid1(SALU_CYCLE_1)
	s_mul_u64 s[26:27], s[24:25], s[22:23]
	s_mul_hi_u32 s29, s22, s27
	s_mul_i32 s28, s22, s27
	s_mul_hi_u32 s10, s22, s26
	s_mul_i32 s7, s23, s26
	s_add_nc_u64 s[28:29], s[10:11], s[28:29]
	s_mul_hi_u32 s3, s23, s26
	s_mul_hi_u32 s14, s23, s27
	s_add_co_u32 s7, s28, s7
	s_add_co_ci_u32 s10, s29, s3
	s_mul_i32 s26, s23, s27
	s_add_co_ci_u32 s27, s14, 0
	s_delay_alu instid0(SALU_CYCLE_1) | instskip(NEXT) | instid1(SALU_CYCLE_1)
	s_add_nc_u64 s[26:27], s[10:11], s[26:27]
	s_add_co_u32 s22, s22, s26
	s_cselect_b32 s3, -1, 0
	s_delay_alu instid0(SALU_CYCLE_1) | instskip(SKIP_1) | instid1(SALU_CYCLE_1)
	s_cmp_lg_u32 s3, 0
	s_add_co_ci_u32 s23, s23, s27
	s_mul_u64 s[24:25], s[24:25], s[22:23]
	s_delay_alu instid0(SALU_CYCLE_1)
	s_mul_hi_u32 s27, s22, s25
	s_mul_i32 s26, s22, s25
	s_mul_hi_u32 s10, s22, s24
	s_mul_i32 s7, s23, s24
	s_add_nc_u64 s[26:27], s[10:11], s[26:27]
	s_mul_hi_u32 s3, s23, s24
	s_mul_hi_u32 s14, s23, s25
	s_add_co_u32 s7, s26, s7
	s_add_co_ci_u32 s10, s27, s3
	s_mul_i32 s24, s23, s25
	s_add_co_ci_u32 s25, s14, 0
	s_delay_alu instid0(SALU_CYCLE_1) | instskip(NEXT) | instid1(SALU_CYCLE_1)
	s_add_nc_u64 s[24:25], s[10:11], s[24:25]
	s_add_co_u32 s3, s22, s24
	s_cselect_b32 s7, -1, 0
	s_delay_alu instid0(SALU_CYCLE_1) | instskip(SKIP_2) | instid1(SALU_CYCLE_1)
	s_cmp_lg_u32 s7, 0
	s_add_co_ci_u32 s7, s23, s25
	s_ashr_i32 s22, s9, 31
	s_mov_b32 s23, s22
	s_delay_alu instid0(SALU_CYCLE_1) | instskip(NEXT) | instid1(SALU_CYCLE_1)
	s_add_nc_u64 s[24:25], s[8:9], s[22:23]
	s_xor_b64 s[24:25], s[24:25], s[22:23]
	s_delay_alu instid0(SALU_CYCLE_1)
	s_mul_hi_u32 s27, s24, s7
	s_mul_i32 s26, s24, s7
	s_mul_hi_u32 s10, s24, s3
	s_mul_hi_u32 s14, s25, s3
	s_mul_i32 s3, s25, s3
	s_add_nc_u64 s[26:27], s[10:11], s[26:27]
	s_mul_hi_u32 s9, s25, s7
	s_add_co_u32 s3, s26, s3
	s_add_co_ci_u32 s10, s27, s14
	s_mul_i32 s28, s25, s7
	s_add_co_ci_u32 s29, s9, 0
	s_delay_alu instid0(SALU_CYCLE_1) | instskip(NEXT) | instid1(SALU_CYCLE_1)
	s_add_nc_u64 s[26:27], s[10:11], s[28:29]
	s_and_b64 s[28:29], s[26:27], 0xffffffff00000000
	s_delay_alu instid0(SALU_CYCLE_1) | instskip(NEXT) | instid1(SALU_CYCLE_1)
	s_or_b32 s28, s28, s26
	s_mul_u64 s[26:27], s[12:13], s[28:29]
	s_add_nc_u64 s[30:31], s[28:29], 1
	s_sub_co_u32 s3, s24, s26
	s_cselect_b32 s7, -1, 0
	s_sub_co_i32 s9, s25, s27
	s_cmp_lg_u32 s7, 0
	s_add_nc_u64 s[34:35], s[28:29], 2
	s_sub_co_ci_u32 s9, s9, s13
	s_sub_co_u32 s10, s3, s12
	s_cselect_b32 s14, -1, 0
	s_delay_alu instid0(SALU_CYCLE_1) | instskip(SKIP_1) | instid1(SALU_CYCLE_1)
	s_cmp_lg_u32 s14, 0
	s_sub_co_ci_u32 s9, s9, 0
	s_cmp_ge_u32 s9, s13
	s_cselect_b32 s14, -1, 0
	s_cmp_ge_u32 s10, s12
	s_cselect_b32 s10, -1, 0
	s_cmp_eq_u32 s9, s13
	s_cselect_b32 s9, s10, s14
	s_delay_alu instid0(SALU_CYCLE_1) | instskip(SKIP_4) | instid1(SALU_CYCLE_1)
	s_cmp_lg_u32 s9, 0
	s_cselect_b32 s9, s34, s30
	s_cselect_b32 s10, s35, s31
	s_cmp_lg_u32 s7, 0
	s_sub_co_ci_u32 s7, s25, s27
	s_cmp_ge_u32 s7, s13
	s_cselect_b32 s14, -1, 0
	s_cmp_ge_u32 s3, s12
	s_cselect_b32 s3, -1, 0
	s_cmp_eq_u32 s7, s13
	s_cselect_b32 s3, s3, s14
	s_delay_alu instid0(SALU_CYCLE_1) | instskip(SKIP_3) | instid1(SALU_CYCLE_1)
	s_cmp_lg_u32 s3, 0
	s_cselect_b32 s13, s10, s29
	s_cselect_b32 s12, s9, s28
	s_xor_b64 s[22:23], s[22:23], 0
	s_xor_b64 s[12:13], s[12:13], s[22:23]
	s_delay_alu instid0(SALU_CYCLE_1)
	s_sub_nc_u64 s[24:25], s[12:13], s[22:23]
	s_load_b96 s[12:14], s[0:1], 0x44
	s_cbranch_execnz .LBB25_6
.LBB25_5:
	v_cvt_f32_u32_e32 v1, s16
	s_sub_co_i32 s7, 0, s16
	s_delay_alu instid0(VALU_DEP_1) | instskip(SKIP_1) | instid1(TRANS32_DEP_1)
	v_rcp_iflag_f32_e32 v1, v1
	v_nop
	v_mul_f32_e32 v1, 0x4f7ffffe, v1
	s_delay_alu instid0(VALU_DEP_1) | instskip(NEXT) | instid1(VALU_DEP_1)
	v_cvt_u32_f32_e32 v1, v1
	v_readfirstlane_b32 s3, v1
	s_mul_i32 s7, s7, s3
	s_delay_alu instid0(SALU_CYCLE_1) | instskip(NEXT) | instid1(SALU_CYCLE_1)
	s_mul_hi_u32 s7, s3, s7
	s_add_co_i32 s3, s3, s7
	s_delay_alu instid0(SALU_CYCLE_1) | instskip(NEXT) | instid1(SALU_CYCLE_1)
	s_mul_hi_u32 s3, s8, s3
	s_mul_i32 s7, s3, s16
	s_delay_alu instid0(SALU_CYCLE_1)
	s_sub_co_i32 s7, s8, s7
	s_add_co_i32 s8, s3, 1
	s_sub_co_i32 s9, s7, s16
	s_cmp_ge_u32 s7, s16
	s_cselect_b32 s3, s8, s3
	s_cselect_b32 s7, s9, s7
	s_add_co_i32 s8, s3, 1
	s_cmp_ge_u32 s7, s16
	s_cselect_b32 s24, s8, s3
.LBB25_6:
	s_delay_alu instid0(SALU_CYCLE_1)
	s_cmp_eq_u32 s20, s24
	s_mov_b64 s[8:9], 0xffffffff
	s_cselect_b32 s3, -1, 0
	s_and_b64 s[8:9], s[20:21], s[8:9]
	s_mov_b32 s23, 0
	s_wait_kmcnt 0x0
	s_mov_b32 s22, s12
	s_mov_b32 s25, s23
	s_mul_u64 s[10:11], s[8:9], s[22:23]
	s_delay_alu instid0(SALU_CYCLE_1) | instskip(SKIP_2) | instid1(SALU_CYCLE_1)
	s_add_co_i32 s7, s11, s20
	s_mul_u64 s[10:11], s[24:25], s[22:23]
	s_lshr_b32 s12, s7, s13
	s_mul_i32 s7, s12, s14
	s_delay_alu instid0(SALU_CYCLE_1) | instskip(SKIP_2) | instid1(SALU_CYCLE_1)
	s_cmp_eq_u32 s7, s20
	s_cselect_b32 s7, -1, 0
	s_add_co_i32 s10, s11, s24
	s_lshr_b32 s10, s10, s13
	s_delay_alu instid0(SALU_CYCLE_1)
	s_cmp_eq_u32 s12, s10
	s_mul_i32 s10, s10, s14
	s_cselect_b32 s11, -1, 0
	s_cmp_lg_u32 s10, s24
	s_cselect_b32 s10, -1, 0
	s_or_b32 s3, s3, s7
	s_and_b32 s10, s11, s10
	s_delay_alu instid0(SALU_CYCLE_1) | instskip(NEXT) | instid1(SALU_CYCLE_1)
	s_or_b32 s3, s3, s10
	s_and_b32 vcc_lo, exec_lo, s3
	s_cbranch_vccnz .LBB25_24
; %bb.7:
	s_load_b256 s[24:31], s[0:1], 0x20
	s_bfe_u32 s7, ttmp6, 0x40014
	s_bfe_u32 s33, ttmp6, 0x40010
	s_lshr_b32 s3, ttmp7, 16
	s_add_co_i32 s7, s7, 1
	s_and_b32 s21, ttmp7, 0xffff
	s_add_co_i32 s33, s33, 1
	s_bfe_u32 s10, ttmp6, 0x40008
	s_mul_i32 s7, s3, s7
	s_bfe_u32 s34, ttmp6, 0x40004
	s_mul_i32 s33, s21, s33
	s_mov_b32 s11, s23
	s_add_co_i32 s7, s10, s7
	s_add_co_i32 s34, s34, s33
	s_cmp_eq_u32 s15, 0
	s_cselect_b32 s15, s21, s34
	s_cselect_b32 s3, s3, s7
	s_wait_kmcnt 0x0
	s_mov_b32 s10, s24
	s_delay_alu instid0(SALU_CYCLE_1) | instskip(SKIP_2) | instid1(SALU_CYCLE_1)
	s_mul_u64 s[8:9], s[8:9], s[10:11]
	s_load_b32 s8, s[0:1], 0x40
	s_add_co_i32 s7, s9, s20
	s_lshr_b32 s7, s7, s25
	s_delay_alu instid0(SALU_CYCLE_1) | instskip(NEXT) | instid1(SALU_CYCLE_1)
	s_mul_i32 s9, s7, s26
	s_sub_co_i32 s9, s20, s9
	s_delay_alu instid0(SALU_CYCLE_1) | instskip(NEXT) | instid1(SALU_CYCLE_1)
	s_mul_hi_u32 s10, s9, s27
	s_add_co_i32 s10, s9, s10
	s_delay_alu instid0(SALU_CYCLE_1) | instskip(NEXT) | instid1(SALU_CYCLE_1)
	s_lshr_b32 s21, s10, s28
	s_mul_i32 s10, s21, s29
	s_delay_alu instid0(SALU_CYCLE_1) | instskip(NEXT) | instid1(SALU_CYCLE_1)
	s_sub_co_i32 s10, s9, s10
	s_mul_hi_u32 s9, s10, s30
	s_delay_alu instid0(SALU_CYCLE_1) | instskip(NEXT) | instid1(SALU_CYCLE_1)
	s_add_co_i32 s9, s10, s9
	s_lshr_b32 s25, s9, s31
	s_mov_b32 s9, s23
	s_wait_kmcnt 0x0
	s_mul_i32 s8, s25, s8
	s_delay_alu instid0(SALU_CYCLE_1) | instskip(NEXT) | instid1(SALU_CYCLE_1)
	s_sub_co_i32 s8, s10, s8
	s_mul_u64 s[10:11], s[8:9], s[22:23]
	s_delay_alu instid0(SALU_CYCLE_1) | instskip(NEXT) | instid1(SALU_CYCLE_1)
	s_add_co_i32 s8, s8, s11
	s_lshr_b32 s24, s8, s13
	s_delay_alu instid0(SALU_CYCLE_1) | instskip(NEXT) | instid1(SALU_CYCLE_1)
	s_add_co_i32 s24, s24, s15
	s_cmp_lt_i32 s24, s4
	s_cselect_b32 s8, -1, 0
	s_add_co_i32 s25, s25, s3
	s_delay_alu instid0(SALU_CYCLE_1) | instskip(SKIP_1) | instid1(SALU_CYCLE_1)
	s_cmp_lt_i32 s25, s6
	s_cselect_b32 s9, -1, 0
	s_and_b32 s8, s8, s9
	s_delay_alu instid0(SALU_CYCLE_1)
	s_and_not1_b32 vcc_lo, exec_lo, s8
	s_cbranch_vccnz .LBB25_24
; %bb.8:
	s_load_b128 s[8:11], s[0:1], 0x0
	s_mul_i32 s7, s7, s4
	s_mul_i32 s21, s21, s6
	s_wait_xcnt 0x0
	s_add_co_i32 s0, s24, s7
	s_add_co_i32 s1, s25, s21
	s_mul_i32 s0, s0, s5
	s_add_co_i32 s15, s15, s3
	s_add_co_i32 s1, s1, s0
	v_cvt_f32_u32_e32 v1, s16
	v_lshl_or_b32 v4, s1, 8, v0
	s_add_nc_u64 s[0:1], s[16:17], 0
	s_lshl_b32 s24, s16, 2
	s_xor_b64 s[6:7], s[0:1], 0
	s_add_co_i32 s0, s15, s2
	s_cvt_f32_u32 s3, s6
	s_cvt_f32_u32 s4, s7
	s_ashr_i32 s1, s0, 31
	v_rcp_iflag_f32_e32 v1, v1
	s_lshl_b64 s[0:1], s[0:1], 3
	s_fmamk_f32 s3, s4, 0x4f800000, s3
	s_wait_kmcnt 0x0
	global_load_b32 v3, v4, s[8:9] scale_offset
	s_add_nc_u64 s[0:1], s[10:11], s[0:1]
	s_mov_b32 s25, 0
	v_s_rcp_f32 s3, s3
	s_load_b64 s[28:29], s[0:1], 0x0
	v_ashrrev_i32_e32 v5, 31, v4
	s_wait_xcnt 0x0
	s_lshl_b64 s[0:1], s[24:25], 2
	v_mul_f32_e32 v1, 0x4f7ffffe, v1
	s_add_nc_u64 s[26:27], s[10:11], s[0:1]
	s_add_co_i32 s36, s2, -1
	s_sub_nc_u64 s[34:35], 0, s[6:7]
	s_mul_f32 s3, s3, 0x5f7ffffc
	v_cvt_u32_f32_e32 v1, v1
	s_delay_alu instid0(SALU_CYCLE_2) | instskip(NEXT) | instid1(SALU_CYCLE_3)
	s_mul_f32 s4, s3, 0x2f800000
	s_trunc_f32 s4, s4
	s_delay_alu instid0(SALU_CYCLE_3)
	s_fmamk_f32 s0, s4, 0xcf800000, s3
	s_wait_kmcnt 0x0
	v_mov_b32_e32 v2, s29
	v_lshl_add_u64 v[4:5], v[4:5], 2, s[8:9]
	s_cvt_u32_f32 s31, s4
	s_cvt_u32_f32 s30, s0
	s_mov_b64 s[8:9], 0xffffffff
.LBB25_9:                               ; =>This Inner Loop Header: Depth=1
	s_ashr_i32 s37, s36, 31
                                        ; implicit-def: $sgpr40_sgpr41
	s_delay_alu instid0(SALU_CYCLE_1) | instskip(NEXT) | instid1(SALU_CYCLE_1)
	s_mul_u64 s[0:1], s[36:37], s[18:19]
	s_and_b64 s[2:3], s[0:1], 0xffffffff00000000
	s_delay_alu instid0(SALU_CYCLE_1)
	s_cmp_lg_u64 s[2:3], 0
	s_mov_b32 s2, -1
	s_cbranch_scc0 .LBB25_11
; %bb.10:                               ;   in Loop: Header=BB25_9 Depth=1
	s_mul_u64 s[2:3], s[34:35], s[30:31]
	s_delay_alu instid0(SALU_CYCLE_1)
	s_mul_hi_u32 s5, s30, s3
	s_mul_i32 s4, s30, s3
	s_mul_hi_u32 s24, s30, s2
	s_mul_hi_u32 s17, s31, s2
	s_add_nc_u64 s[4:5], s[24:25], s[4:5]
	s_mul_i32 s2, s31, s2
	s_mul_hi_u32 s21, s31, s3
	s_add_co_u32 s2, s4, s2
	s_add_co_ci_u32 s24, s5, s17
	s_add_co_ci_u32 s5, s21, 0
	s_mul_i32 s4, s31, s3
	s_delay_alu instid0(SALU_CYCLE_1) | instskip(NEXT) | instid1(SALU_CYCLE_1)
	s_add_nc_u64 s[2:3], s[24:25], s[4:5]
	s_add_co_u32 s2, s30, s2
	s_cselect_b32 s4, -1, 0
	s_delay_alu instid0(SALU_CYCLE_1) | instskip(SKIP_1) | instid1(SALU_CYCLE_1)
	s_cmp_lg_u32 s4, 0
	s_add_co_ci_u32 s3, s31, s3
	s_mul_u64 s[4:5], s[34:35], s[2:3]
	s_delay_alu instid0(SALU_CYCLE_1)
	s_mul_hi_u32 s39, s2, s5
	s_mul_i32 s38, s2, s5
	s_mul_hi_u32 s24, s2, s4
	s_mul_hi_u32 s17, s3, s4
	s_mul_i32 s4, s3, s4
	s_add_nc_u64 s[38:39], s[24:25], s[38:39]
	s_mul_hi_u32 s21, s3, s5
	s_add_co_u32 s4, s38, s4
	s_add_co_ci_u32 s24, s39, s17
	s_mul_i32 s4, s3, s5
	s_add_co_ci_u32 s5, s21, 0
	s_delay_alu instid0(SALU_CYCLE_1) | instskip(NEXT) | instid1(SALU_CYCLE_1)
	s_add_nc_u64 s[4:5], s[24:25], s[4:5]
	s_add_co_u32 s17, s2, s4
	s_cselect_b32 s2, -1, 0
	s_delay_alu instid0(SALU_CYCLE_1) | instskip(SKIP_2) | instid1(SALU_CYCLE_1)
	s_cmp_lg_u32 s2, 0
	s_add_co_ci_u32 s21, s3, s5
	s_ashr_i32 s2, s1, 31
	s_mov_b32 s3, s2
	s_delay_alu instid0(SALU_CYCLE_1) | instskip(NEXT) | instid1(SALU_CYCLE_1)
	s_add_nc_u64 s[4:5], s[0:1], s[2:3]
	s_xor_b64 s[4:5], s[4:5], s[2:3]
	s_delay_alu instid0(SALU_CYCLE_1)
	s_mul_hi_u32 s39, s4, s21
	s_mul_i32 s38, s4, s21
	s_mul_hi_u32 s24, s4, s17
	s_mul_hi_u32 s29, s5, s17
	s_mul_i32 s17, s5, s17
	s_add_nc_u64 s[38:39], s[24:25], s[38:39]
	s_mul_hi_u32 s1, s5, s21
	s_add_co_u32 s17, s38, s17
	s_add_co_ci_u32 s24, s39, s29
	s_mul_i32 s40, s5, s21
	s_add_co_ci_u32 s41, s1, 0
	s_delay_alu instid0(SALU_CYCLE_1) | instskip(NEXT) | instid1(SALU_CYCLE_1)
	s_add_nc_u64 s[38:39], s[24:25], s[40:41]
	s_and_b64 s[40:41], s[38:39], 0xffffffff00000000
	s_delay_alu instid0(SALU_CYCLE_1) | instskip(NEXT) | instid1(SALU_CYCLE_1)
	s_or_b32 s40, s40, s38
	s_mul_u64 s[38:39], s[6:7], s[40:41]
	s_add_nc_u64 s[42:43], s[40:41], 1
	s_sub_co_u32 s1, s4, s38
	s_cselect_b32 s4, -1, 0
	s_sub_co_i32 s17, s5, s39
	s_cmp_lg_u32 s4, 0
	s_add_nc_u64 s[44:45], s[40:41], 2
	s_sub_co_ci_u32 s17, s17, s7
	s_sub_co_u32 s21, s1, s6
	s_cselect_b32 s24, -1, 0
	s_delay_alu instid0(SALU_CYCLE_1) | instskip(SKIP_1) | instid1(SALU_CYCLE_1)
	s_cmp_lg_u32 s24, 0
	s_sub_co_ci_u32 s17, s17, 0
	s_cmp_ge_u32 s17, s7
	s_cselect_b32 s24, -1, 0
	s_cmp_ge_u32 s21, s6
	s_cselect_b32 s21, -1, 0
	s_cmp_eq_u32 s17, s7
	s_cselect_b32 s17, s21, s24
	s_delay_alu instid0(SALU_CYCLE_1) | instskip(SKIP_4) | instid1(SALU_CYCLE_1)
	s_cmp_lg_u32 s17, 0
	s_cselect_b32 s17, s44, s42
	s_cselect_b32 s21, s45, s43
	s_cmp_lg_u32 s4, 0
	s_sub_co_ci_u32 s4, s5, s39
	s_cmp_ge_u32 s4, s7
	s_cselect_b32 s5, -1, 0
	s_cmp_ge_u32 s1, s6
	s_cselect_b32 s1, -1, 0
	s_cmp_eq_u32 s4, s7
	s_cselect_b32 s1, s1, s5
	s_delay_alu instid0(SALU_CYCLE_1) | instskip(SKIP_3) | instid1(SALU_CYCLE_1)
	s_cmp_lg_u32 s1, 0
	s_cselect_b32 s5, s21, s41
	s_cselect_b32 s4, s17, s40
	s_xor_b64 s[2:3], s[2:3], 0
	s_xor_b64 s[4:5], s[4:5], s[2:3]
	s_delay_alu instid0(SALU_CYCLE_1)
	s_sub_nc_u64 s[40:41], s[4:5], s[2:3]
	s_mov_b32 s2, 0
.LBB25_11:                              ;   in Loop: Header=BB25_9 Depth=1
	s_delay_alu instid0(SALU_CYCLE_1)
	s_and_not1_b32 vcc_lo, exec_lo, s2
	s_cbranch_vccnz .LBB25_13
; %bb.12:                               ;   in Loop: Header=BB25_9 Depth=1
	v_readfirstlane_b32 s1, v1
	s_sub_co_i32 s2, 0, s16
	s_delay_alu instid0(SALU_CYCLE_1) | instskip(NEXT) | instid1(SALU_CYCLE_1)
	s_mul_i32 s2, s2, s1
	s_mul_hi_u32 s2, s1, s2
	s_delay_alu instid0(SALU_CYCLE_1) | instskip(NEXT) | instid1(SALU_CYCLE_1)
	s_add_co_i32 s1, s1, s2
	s_mul_hi_u32 s1, s0, s1
	s_delay_alu instid0(SALU_CYCLE_1) | instskip(NEXT) | instid1(SALU_CYCLE_1)
	s_mul_i32 s2, s1, s16
	s_sub_co_i32 s0, s0, s2
	s_add_co_i32 s2, s1, 1
	s_sub_co_i32 s3, s0, s16
	s_cmp_ge_u32 s0, s16
	s_cselect_b32 s1, s2, s1
	s_cselect_b32 s0, s3, s0
	s_add_co_i32 s2, s1, 1
	s_cmp_ge_u32 s0, s16
	s_cselect_b32 s24, s2, s1
	s_delay_alu instid0(SALU_CYCLE_1)
	s_mov_b64 s[40:41], s[24:25]
.LBB25_13:                              ;   in Loop: Header=BB25_9 Depth=1
	s_delay_alu instid0(SALU_CYCLE_1)
	s_cmp_lg_u32 s20, s40
	s_mov_b32 s0, -1
                                        ; implicit-def: $vgpr6_vgpr7
                                        ; implicit-def: $sgpr24
                                        ; implicit-def: $sgpr17
                                        ; implicit-def: $sgpr21
                                        ; implicit-def: $sgpr29
	s_cbranch_scc0 .LBB25_18
; %bb.14:                               ;   in Loop: Header=BB25_9 Depth=1
	s_add_co_i32 s42, s36, s15
	v_max_num_f32_e64 v6, s28, s28
	s_add_co_i32 s0, s42, s16
	s_mov_b32 s29, s20
	s_load_b64 s[38:39], s[10:11], s0 offset:0x0 scale_offset
	s_wait_xcnt 0x0
	v_readfirstlane_b32 s0, v6
	s_wait_kmcnt 0x0
	v_max_num_f32_e64 v7, s38, s38
	s_delay_alu instid0(VALU_DEP_1) | instskip(SKIP_1) | instid1(SALU_CYCLE_3)
	v_readfirstlane_b32 s1, v7
	s_max_num_f32 s17, s0, s1
	s_sub_f32 s33, s28, s17
	s_sub_f32 s37, s38, s17
	s_delay_alu instid0(SALU_CYCLE_2)
	s_cmp_nlt_f32 s33, 0xc2ce8ed0
	s_cselect_b32 s1, -1, 0
	s_cmp_ngt_f32 s33, 0x42b17218
	s_cselect_b32 s2, -1, 0
	s_cmp_ge_f32 s33, 0xc1a00000
	s_cselect_b32 s0, -1, 0
	s_cmp_nlt_f32 s37, 0xc2ce8ed0
	s_cselect_b32 s3, -1, 0
	s_cmp_ngt_f32 s37, 0x42b17218
	s_cselect_b32 s4, -1, 0
	s_cmp_ge_f32 s37, 0xc1a00000
	s_cselect_b32 s5, -1, 0
	s_and_b64 s[44:45], s[40:41], s[8:9]
	s_delay_alu instid0(SALU_CYCLE_1) | instskip(NEXT) | instid1(SALU_CYCLE_1)
	s_mul_u64 s[44:45], s[44:45], s[22:23]
	s_add_co_i32 s21, s45, s40
	s_delay_alu instid0(SALU_CYCLE_1) | instskip(NEXT) | instid1(SALU_CYCLE_1)
	s_lshr_b32 s21, s21, s13
	s_mul_i32 s24, s21, s14
	s_delay_alu instid0(SALU_CYCLE_1) | instskip(SKIP_3) | instid1(SALU_CYCLE_1)
	s_cmp_eq_u32 s24, s40
	s_cselect_b32 s24, -1, 0
	s_cmp_lt_u32 s21, s12
	s_cselect_b32 s21, -1, 0
	s_or_b32 s21, s21, s24
	s_mov_b32 s24, -1
	s_and_b32 vcc_lo, exec_lo, s21
	s_mov_b32 s21, s36
	s_cbranch_vccnz .LBB25_16
; %bb.15:                               ;   in Loop: Header=BB25_9 Depth=1
	s_add_co_i32 s21, s36, -1
	s_mov_b32 s24, 0
	s_mov_b32 s29, s40
.LBB25_16:                              ;   in Loop: Header=BB25_9 Depth=1
	v_lshl_or_b32 v6, s42, 8, v0
	s_mul_f32 s38, s37, 0x3fb8aa3b
	s_mul_f32 s40, s33, 0x3fb8aa3b
	s_delay_alu instid0(SALU_CYCLE_2)
	s_xor_b32 s41, s38, 0x80000000
	global_load_b32 v7, v6, s[26:27] scale_offset
	s_fmamk_f32 s41, s37, 0x3fb8aa3b, s41
	s_rndne_f32 s43, s38
	s_xor_b32 s42, s40, 0x80000000
	s_rndne_f32 s44, s40
	s_fmamk_f32 s37, s37, 0x32a5705f, s41
	s_sub_f32 s38, s38, s43
	s_fmamk_f32 s42, s33, 0x3fb8aa3b, s42
	s_sub_f32 s40, s40, s44
	s_delay_alu instid0(SALU_CYCLE_1) | instskip(NEXT) | instid1(SALU_CYCLE_1)
	s_add_f32 s37, s38, s37
	s_fmamk_f32 s33, s33, 0x32a5705f, s42
	s_cvt_i32_f32 s38, s43
	s_delay_alu instid0(SALU_CYCLE_1) | instskip(NEXT) | instid1(SALU_CYCLE_1)
	v_s_exp_f32 s37, s37
	s_add_f32 s33, s40, s33
	s_cvt_i32_f32 s40, s44
	s_delay_alu instid0(SALU_CYCLE_2) | instskip(SKIP_1) | instid1(TRANS32_DEP_2)
	v_s_exp_f32 s33, s33
	s_wait_xcnt 0x0
	v_ldexp_f32 v6, s37, s38
	s_delay_alu instid0(TRANS32_DEP_1) | instskip(NEXT) | instid1(VALU_DEP_1)
	v_ldexp_f32 v8, s33, s40
	v_dual_cndmask_b32 v6, 0, v6, s3 :: v_dual_cndmask_b32 v8, 0, v8, s1
	s_delay_alu instid0(VALU_DEP_1) | instskip(NEXT) | instid1(VALU_DEP_2)
	v_cndmask_b32_e64 v6, 0x7f800000, v6, s4
	v_cndmask_b32_e64 v9, 0x7f800000, v8, s2
	s_delay_alu instid0(VALU_DEP_2) | instskip(NEXT) | instid1(VALU_DEP_2)
	v_dual_cndmask_b32 v8, 0, v6, s5 :: v_dual_mov_b32 v6, s39
	v_cndmask_b32_e64 v10, 0, v9, s0
	s_wait_loadcnt 0x0
	s_delay_alu instid0(VALU_DEP_2) | instskip(NEXT) | instid1(VALU_DEP_1)
	v_pk_mul_f32 v[6:7], v[6:7], v[8:9] op_sel_hi:[1,0]
	v_pk_fma_f32 v[6:7], v[2:3], v[10:11], v[6:7] op_sel_hi:[1,0,1]
	s_cbranch_execz .LBB25_19
.LBB25_17:                              ;   in Loop: Header=BB25_9 Depth=1
	s_and_not1_b32 vcc_lo, exec_lo, s24
	s_cbranch_vccnz .LBB25_20
	s_branch .LBB25_23
.LBB25_18:                              ;   in Loop: Header=BB25_9 Depth=1
	s_and_not1_b32 vcc_lo, exec_lo, s0
	s_cbranch_vccnz .LBB25_17
.LBB25_19:                              ;   in Loop: Header=BB25_9 Depth=1
	s_wait_loadcnt 0x0
	v_mov_b64_e32 v[6:7], v[2:3]
	s_add_co_i32 s21, s36, -1
	s_mov_b32 s29, s20
	s_mov_b32 s17, s28
	s_cbranch_execz .LBB25_23
.LBB25_20:                              ;   in Loop: Header=BB25_9 Depth=1
	s_wait_loadcnt 0x0
	s_delay_alu instid0(VALU_DEP_1)
	v_mov_b64_e32 v[2:3], v[6:7]
	s_mov_b32 s20, s29
	s_mov_b32 s36, s21
	s_mov_b32 s28, s17
	s_branch .LBB25_9
.LBB25_21:
                                        ; implicit-def: $sgpr20_sgpr21
	s_branch .LBB25_2
.LBB25_22:
                                        ; implicit-def: $sgpr24_sgpr25
	s_load_b96 s[12:14], s[0:1], 0x44
	s_branch .LBB25_5
.LBB25_23:
	s_delay_alu instid0(VALU_DEP_1) | instskip(NEXT) | instid1(VALU_DEP_1)
	v_div_scale_f32 v0, null, v6, v6, v7
	v_rcp_f32_e32 v1, v0
	v_nop
	s_delay_alu instid0(TRANS32_DEP_1) | instskip(NEXT) | instid1(VALU_DEP_1)
	v_fma_f32 v2, -v0, v1, 1.0
	v_fmac_f32_e32 v1, v2, v1
	v_div_scale_f32 v2, vcc_lo, v7, v6, v7
	s_wait_loadcnt 0x0
	s_delay_alu instid0(VALU_DEP_1) | instskip(NEXT) | instid1(VALU_DEP_1)
	v_mul_f32_e32 v3, v2, v1
	v_fma_f32 v8, -v0, v3, v2
	s_delay_alu instid0(VALU_DEP_1) | instskip(NEXT) | instid1(VALU_DEP_1)
	v_fmac_f32_e32 v3, v8, v1
	v_fma_f32 v0, -v0, v3, v2
	s_delay_alu instid0(VALU_DEP_1) | instskip(NEXT) | instid1(VALU_DEP_1)
	v_div_fmas_f32 v0, v0, v1, v3
	v_div_fixup_f32 v0, v0, v6, v7
	global_store_b32 v[4:5], v0, off
.LBB25_24:
	s_endpgm
	.section	.rodata,"a",@progbits
	.p2align	6, 0x0
	.amdhsa_kernel _ZL33flash_attn_stream_k_fixup_generalILi256ELi1ELi1EEvPfPK15HIP_vector_typeIfLj2EEiiiiS1_IjLj3EES5_S5_S5_
		.amdhsa_group_segment_fixed_size 0
		.amdhsa_private_segment_fixed_size 0
		.amdhsa_kernarg_size 336
		.amdhsa_user_sgpr_count 2
		.amdhsa_user_sgpr_dispatch_ptr 0
		.amdhsa_user_sgpr_queue_ptr 0
		.amdhsa_user_sgpr_kernarg_segment_ptr 1
		.amdhsa_user_sgpr_dispatch_id 0
		.amdhsa_user_sgpr_kernarg_preload_length 0
		.amdhsa_user_sgpr_kernarg_preload_offset 0
		.amdhsa_user_sgpr_private_segment_size 0
		.amdhsa_wavefront_size32 1
		.amdhsa_uses_dynamic_stack 0
		.amdhsa_enable_private_segment 0
		.amdhsa_system_sgpr_workgroup_id_x 1
		.amdhsa_system_sgpr_workgroup_id_y 1
		.amdhsa_system_sgpr_workgroup_id_z 1
		.amdhsa_system_sgpr_workgroup_info 0
		.amdhsa_system_vgpr_workitem_id 0
		.amdhsa_next_free_vgpr 12
		.amdhsa_next_free_sgpr 46
		.amdhsa_named_barrier_count 0
		.amdhsa_reserve_vcc 1
		.amdhsa_float_round_mode_32 0
		.amdhsa_float_round_mode_16_64 0
		.amdhsa_float_denorm_mode_32 3
		.amdhsa_float_denorm_mode_16_64 3
		.amdhsa_fp16_overflow 0
		.amdhsa_memory_ordered 1
		.amdhsa_forward_progress 1
		.amdhsa_inst_pref_size 26
		.amdhsa_round_robin_scheduling 0
		.amdhsa_exception_fp_ieee_invalid_op 0
		.amdhsa_exception_fp_denorm_src 0
		.amdhsa_exception_fp_ieee_div_zero 0
		.amdhsa_exception_fp_ieee_overflow 0
		.amdhsa_exception_fp_ieee_underflow 0
		.amdhsa_exception_fp_ieee_inexact 0
		.amdhsa_exception_int_div_zero 0
	.end_amdhsa_kernel
	.section	.text._ZL33flash_attn_stream_k_fixup_generalILi256ELi1ELi1EEvPfPK15HIP_vector_typeIfLj2EEiiiiS1_IjLj3EES5_S5_S5_,"axG",@progbits,_ZL33flash_attn_stream_k_fixup_generalILi256ELi1ELi1EEvPfPK15HIP_vector_typeIfLj2EEiiiiS1_IjLj3EES5_S5_S5_,comdat
.Lfunc_end25:
	.size	_ZL33flash_attn_stream_k_fixup_generalILi256ELi1ELi1EEvPfPK15HIP_vector_typeIfLj2EEiiiiS1_IjLj3EES5_S5_S5_, .Lfunc_end25-_ZL33flash_attn_stream_k_fixup_generalILi256ELi1ELi1EEvPfPK15HIP_vector_typeIfLj2EEiiiiS1_IjLj3EES5_S5_S5_
                                        ; -- End function
	.set _ZL33flash_attn_stream_k_fixup_generalILi256ELi1ELi1EEvPfPK15HIP_vector_typeIfLj2EEiiiiS1_IjLj3EES5_S5_S5_.num_vgpr, 12
	.set _ZL33flash_attn_stream_k_fixup_generalILi256ELi1ELi1EEvPfPK15HIP_vector_typeIfLj2EEiiiiS1_IjLj3EES5_S5_S5_.num_agpr, 0
	.set _ZL33flash_attn_stream_k_fixup_generalILi256ELi1ELi1EEvPfPK15HIP_vector_typeIfLj2EEiiiiS1_IjLj3EES5_S5_S5_.numbered_sgpr, 46
	.set _ZL33flash_attn_stream_k_fixup_generalILi256ELi1ELi1EEvPfPK15HIP_vector_typeIfLj2EEiiiiS1_IjLj3EES5_S5_S5_.num_named_barrier, 0
	.set _ZL33flash_attn_stream_k_fixup_generalILi256ELi1ELi1EEvPfPK15HIP_vector_typeIfLj2EEiiiiS1_IjLj3EES5_S5_S5_.private_seg_size, 0
	.set _ZL33flash_attn_stream_k_fixup_generalILi256ELi1ELi1EEvPfPK15HIP_vector_typeIfLj2EEiiiiS1_IjLj3EES5_S5_S5_.uses_vcc, 1
	.set _ZL33flash_attn_stream_k_fixup_generalILi256ELi1ELi1EEvPfPK15HIP_vector_typeIfLj2EEiiiiS1_IjLj3EES5_S5_S5_.uses_flat_scratch, 0
	.set _ZL33flash_attn_stream_k_fixup_generalILi256ELi1ELi1EEvPfPK15HIP_vector_typeIfLj2EEiiiiS1_IjLj3EES5_S5_S5_.has_dyn_sized_stack, 0
	.set _ZL33flash_attn_stream_k_fixup_generalILi256ELi1ELi1EEvPfPK15HIP_vector_typeIfLj2EEiiiiS1_IjLj3EES5_S5_S5_.has_recursion, 0
	.set _ZL33flash_attn_stream_k_fixup_generalILi256ELi1ELi1EEvPfPK15HIP_vector_typeIfLj2EEiiiiS1_IjLj3EES5_S5_S5_.has_indirect_call, 0
	.section	.AMDGPU.csdata,"",@progbits
; Kernel info:
; codeLenInByte = 3308
; TotalNumSgprs: 48
; NumVgprs: 12
; ScratchSize: 0
; MemoryBound: 0
; FloatMode: 240
; IeeeMode: 1
; LDSByteSize: 0 bytes/workgroup (compile time only)
; SGPRBlocks: 0
; VGPRBlocks: 0
; NumSGPRsForWavesPerEU: 48
; NumVGPRsForWavesPerEU: 12
; NamedBarCnt: 0
; Occupancy: 16
; WaveLimiterHint : 0
; COMPUTE_PGM_RSRC2:SCRATCH_EN: 0
; COMPUTE_PGM_RSRC2:USER_SGPR: 2
; COMPUTE_PGM_RSRC2:TRAP_HANDLER: 0
; COMPUTE_PGM_RSRC2:TGID_X_EN: 1
; COMPUTE_PGM_RSRC2:TGID_Y_EN: 1
; COMPUTE_PGM_RSRC2:TGID_Z_EN: 1
; COMPUTE_PGM_RSRC2:TIDIG_COMP_CNT: 0
	.section	.text._ZL26flash_attn_combine_resultsILi256EEvPKfPK15HIP_vector_typeIfLj2EEPfi,"axG",@progbits,_ZL26flash_attn_combine_resultsILi256EEvPKfPK15HIP_vector_typeIfLj2EEPfi,comdat
	.globl	_ZL26flash_attn_combine_resultsILi256EEvPKfPK15HIP_vector_typeIfLj2EEPfi ; -- Begin function _ZL26flash_attn_combine_resultsILi256EEvPKfPK15HIP_vector_typeIfLj2EEPfi
	.p2align	8
	.type	_ZL26flash_attn_combine_resultsILi256EEvPKfPK15HIP_vector_typeIfLj2EEPfi,@function
_ZL26flash_attn_combine_resultsILi256EEvPKfPK15HIP_vector_typeIfLj2EEPfi: ; @_ZL26flash_attn_combine_resultsILi256EEvPKfPK15HIP_vector_typeIfLj2EEPfi
; %bb.0:
	s_clause 0x2
	s_load_b128 s[4:7], s[0:1], 0x0
	s_load_b96 s[8:10], s[0:1], 0x10
	s_load_b64 s[2:3], s[0:1], 0x20
	s_bfe_u32 s11, ttmp6, 0x4000c
	s_wait_xcnt 0x0
	s_and_b32 s0, ttmp6, 15
	s_add_co_i32 s11, s11, 1
	s_and_b32 s12, ttmp7, 0xffff
	s_mul_i32 s1, ttmp9, s11
	s_bfe_u32 s11, ttmp6, 0x40010
	s_bfe_u32 s13, ttmp6, 0x40014
	s_add_co_i32 s11, s11, 1
	s_add_co_i32 s0, s0, s1
	s_mul_i32 s1, s12, s11
	s_bfe_u32 s11, ttmp6, 0x40004
	s_lshr_b32 s14, ttmp7, 16
	s_add_co_i32 s13, s13, 1
	s_add_co_i32 s11, s11, s1
	s_mul_i32 s1, s14, s13
	s_bfe_u32 s13, ttmp6, 0x40008
	s_getreg_b32 s15, hwreg(HW_REG_IB_STS2, 6, 4)
	s_add_co_i32 s13, s13, s1
	s_cmp_eq_u32 s15, 0
	v_mov_b32_e32 v2, v0
	s_cselect_b32 s1, s14, s13
	s_cselect_b32 s0, ttmp9, s0
	s_wait_kmcnt 0x0
	s_mul_i32 s1, s2, s1
	s_cselect_b32 s2, s12, s11
	s_add_co_i32 s0, s1, s0
	s_lshl_b32 s12, s10, 1
	s_mul_i32 s11, s0, s3
	s_mov_b32 s13, exec_lo
	s_add_co_i32 s11, s11, s2
	s_delay_alu instid0(SALU_CYCLE_1)
	s_mul_i32 s2, s11, s10
	v_cmpx_gt_i32_e64 s12, v0
	s_cbranch_execz .LBB26_13
; %bb.1:
	v_xad_u32 v1, v0, -1, s12
	s_ashr_i32 s3, s2, 31
	s_mov_b32 s0, -1
	s_mov_b32 s14, exec_lo
	s_delay_alu instid0(VALU_DEP_1)
	v_cmpx_lt_u32_e32 0xff, v1
	s_cbranch_execz .LBB26_10
; %bb.2:
	v_lshrrev_b32_e32 v6, 8, v1
	v_or_b32_e32 v1, 0x100, v0
	s_lshl_b64 s[0:1], s[2:3], 3
	v_mov_b32_e32 v4, 0
	s_add_nc_u64 s[0:1], s[6:7], s[0:1]
	v_add_nc_u32_e32 v2, -1, v6
	s_delay_alu instid0(VALU_DEP_1) | instskip(SKIP_1) | instid1(VALU_DEP_2)
	v_lshrrev_b32_e32 v3, 1, v2
	v_cmp_lt_u32_e32 vcc_lo, 13, v2
	v_add_nc_u32_e32 v7, 1, v3
	v_mov_b64_e32 v[2:3], v[0:1]
	s_and_saveexec_b32 s15, vcc_lo
	s_cbranch_execz .LBB26_6
; %bb.3:
	v_mov_b64_e32 v[2:3], v[0:1]
	v_dual_mov_b32 v5, 0 :: v_dual_bitop2_b32 v8, -8, v7 bitop3:0x40
	v_lshl_add_u32 v9, v0, 2, 0
	s_mov_b32 s16, 0
	s_mov_b32 s17, 0
.LBB26_4:                               ; =>This Inner Loop Header: Depth=1
	s_delay_alu instid0(VALU_DEP_2) | instskip(NEXT) | instid1(VALU_DEP_4)
	v_dual_mov_b32 v4, v2 :: v_dual_mov_b32 v11, v5
	v_dual_mov_b32 v13, v5 :: v_dual_add_nc_u32 v10, 0x200, v3
	v_dual_mov_b32 v15, v5 :: v_dual_add_nc_u32 v12, 0x400, v3
	s_delay_alu instid0(VALU_DEP_3) | instskip(SKIP_1) | instid1(VALU_DEP_4)
	v_lshl_add_u64 v[24:25], v[4:5], 2, s[0:1]
	v_dual_mov_b32 v4, v3 :: v_dual_add_nc_u32 v8, -8, v8
	v_lshl_add_u64 v[10:11], v[10:11], 2, s[0:1]
	v_dual_mov_b32 v17, v5 :: v_dual_add_nc_u32 v14, 0x600, v3
	s_delay_alu instid0(VALU_DEP_3)
	v_lshl_add_u64 v[26:27], v[4:5], 2, s[0:1]
	v_add_nc_u32_e32 v4, 0x200, v2
	global_load_b32 v1, v[24:25], off
	v_lshl_add_u64 v[12:13], v[12:13], 2, s[0:1]
	v_dual_mov_b32 v19, v5 :: v_dual_add_nc_u32 v16, 0x800, v3
	global_load_b32 v28, v[26:27], off
	s_wait_xcnt 0x1
	v_lshl_add_u64 v[24:25], v[4:5], 2, s[0:1]
	v_add_nc_u32_e32 v4, 0x400, v2
	s_clause 0x1
	global_load_b32 v29, v[24:25], off
	global_load_b32 v30, v[10:11], off
	s_wait_xcnt 0x2
	v_lshl_add_u64 v[26:27], v[4:5], 2, s[0:1]
	v_add_nc_u32_e32 v4, 0x600, v2
	s_clause 0x1
	global_load_b32 v24, v[26:27], off
	global_load_b32 v25, v[12:13], off
	s_wait_xcnt 0x2
	v_lshl_add_u64 v[10:11], v[4:5], 2, s[0:1]
	v_add_nc_u32_e32 v4, 0x800, v2
	v_lshl_add_u64 v[14:15], v[14:15], 2, s[0:1]
	s_clause 0x1
	global_load_b32 v26, v[10:11], off
	global_load_b32 v27, v[14:15], off
	s_wait_xcnt 0x2
	v_lshl_add_u64 v[12:13], v[4:5], 2, s[0:1]
	v_add_nc_u32_e32 v4, 0xa00, v2
	v_dual_mov_b32 v21, v5 :: v_dual_add_nc_u32 v18, 0xa00, v3
	v_lshl_add_u64 v[16:17], v[16:17], 2, s[0:1]
	v_dual_mov_b32 v23, v5 :: v_dual_add_nc_u32 v20, 0xc00, v3
	s_wait_xcnt 0x1
	v_lshl_add_u64 v[10:11], v[4:5], 2, s[0:1]
	v_add_nc_u32_e32 v4, 0xc00, v2
	s_clause 0x1
	global_load_b32 v14, v[12:13], off
	global_load_b32 v15, v[16:17], off
	v_add_nc_u32_e32 v22, 0xe00, v3
	v_lshl_add_u64 v[18:19], v[18:19], 2, s[0:1]
	v_lshl_add_u64 v[20:21], v[20:21], 2, s[0:1]
	s_wait_xcnt 0x1
	v_lshl_add_u64 v[12:13], v[4:5], 2, s[0:1]
	v_add_nc_u32_e32 v4, 0xe00, v2
	s_clause 0x1
	global_load_b32 v16, v[10:11], off
	global_load_b32 v17, v[18:19], off
	v_lshl_add_u64 v[22:23], v[22:23], 2, s[0:1]
	s_add_co_i32 s17, s17, 16
	v_cmp_eq_u32_e32 vcc_lo, 0, v8
	s_wait_xcnt 0x1
	v_lshl_add_u64 v[10:11], v[4:5], 2, s[0:1]
	s_clause 0x3
	global_load_b32 v18, v[12:13], off
	global_load_b32 v19, v[20:21], off
	global_load_b32 v31, v[10:11], off
	global_load_b32 v32, v[22:23], off
	v_dual_mov_b32 v4, s17 :: v_dual_add_nc_u32 v3, 0x1000, v3
	v_add_nc_u32_e32 v2, 0x1000, v2
	s_or_b32 s16, vcc_lo, s16
	s_wait_loadcnt 0xe
	ds_store_2addr_stride64_b32 v9, v1, v28 offset1:4
	s_wait_loadcnt 0xc
	ds_store_2addr_stride64_b32 v9, v29, v30 offset0:8 offset1:12
	s_wait_loadcnt 0xa
	ds_store_2addr_stride64_b32 v9, v24, v25 offset0:16 offset1:20
	;; [unrolled: 2-line block ×7, first 2 shown]
	v_add_nc_u32_e32 v9, 0x4000, v9
	s_wait_xcnt 0x0
	s_and_not1_b32 exec_lo, exec_lo, s16
	s_cbranch_execnz .LBB26_4
; %bb.5:
	s_or_b32 exec_lo, exec_lo, s16
.LBB26_6:
	s_delay_alu instid0(SALU_CYCLE_1) | instskip(SKIP_3) | instid1(VALU_DEP_1)
	s_or_b32 exec_lo, exec_lo, s15
	v_and_b32_e32 v1, 7, v7
	s_mov_b32 s16, 0
	s_mov_b32 s15, exec_lo
	v_cmpx_ne_u32_e32 0, v1
	s_cbranch_execz .LBB26_9
; %bb.7:
	v_lshlrev_b32_e32 v5, 2, v0
	s_delay_alu instid0(VALU_DEP_1) | instskip(NEXT) | instid1(VALU_DEP_1)
	v_lshl_or_b32 v4, v4, 10, v5
	v_dual_mov_b32 v5, 0 :: v_dual_add_nc_u32 v7, 0, v4
.LBB26_8:                               ; =>This Inner Loop Header: Depth=1
	v_dual_mov_b32 v4, v2 :: v_dual_add_nc_u32 v1, -1, v1
	v_add_nc_u32_e32 v2, 0x200, v2
	s_delay_alu instid0(VALU_DEP_2) | instskip(SKIP_1) | instid1(VALU_DEP_4)
	v_lshl_add_u64 v[8:9], v[4:5], 2, s[0:1]
	v_dual_mov_b32 v4, v3 :: v_dual_add_nc_u32 v3, 0x200, v3
	v_cmp_eq_u32_e32 vcc_lo, 0, v1
	s_delay_alu instid0(VALU_DEP_2)
	v_lshl_add_u64 v[10:11], v[4:5], 2, s[0:1]
	s_clause 0x1
	global_load_b32 v4, v[8:9], off
	global_load_b32 v12, v[10:11], off
	s_or_b32 s16, vcc_lo, s16
	s_wait_loadcnt 0x0
	ds_store_2addr_stride64_b32 v7, v4, v12 offset1:4
	v_add_nc_u32_e32 v7, 0x800, v7
	s_and_not1_b32 exec_lo, exec_lo, s16
	s_cbranch_execnz .LBB26_8
.LBB26_9:
	s_or_b32 exec_lo, exec_lo, s15
	v_add_nc_u32_e32 v1, 1, v6
	s_delay_alu instid0(VALU_DEP_1) | instskip(NEXT) | instid1(VALU_DEP_1)
	v_and_b32_e32 v2, 0x1fffffe, v1
	v_cmp_ne_u32_e32 vcc_lo, v1, v2
	v_lshl_or_b32 v2, v2, 8, v0
	s_or_not1_b32 s0, vcc_lo, exec_lo
.LBB26_10:
	s_or_b32 exec_lo, exec_lo, s14
	s_delay_alu instid0(SALU_CYCLE_1)
	s_and_b32 exec_lo, exec_lo, s0
	s_cbranch_execz .LBB26_13
; %bb.11:
	v_mov_b32_e32 v3, 0
	s_lshl_b64 s[0:1], s[2:3], 3
	v_lshl_add_u32 v1, v2, 2, 0
	s_add_nc_u64 s[0:1], s[6:7], s[0:1]
	s_delay_alu instid0(VALU_DEP_2) | instid1(SALU_CYCLE_1)
	v_lshl_add_u64 v[4:5], v[2:3], 2, s[0:1]
	s_mov_b32 s0, 0
.LBB26_12:                              ; =>This Inner Loop Header: Depth=1
	global_load_b32 v3, v[4:5], off
	v_add_nc_u32_e32 v2, 0x100, v2
	s_wait_xcnt 0x0
	v_add_nc_u64_e32 v[4:5], 0x400, v[4:5]
	s_delay_alu instid0(VALU_DEP_2)
	v_cmp_le_i32_e32 vcc_lo, s12, v2
	s_or_b32 s0, vcc_lo, s0
	s_wait_loadcnt 0x0
	ds_store_b32 v1, v3
	v_add_nc_u32_e32 v1, 0x400, v1
	s_and_not1_b32 exec_lo, exec_lo, s0
	s_cbranch_execnz .LBB26_12
.LBB26_13:
	s_or_b32 exec_lo, exec_lo, s13
	v_mov_b32_e32 v1, 0
	s_wait_dscnt 0x0
	s_barrier_signal -1
	s_barrier_wait -1
	ds_load_b32 v1, v1
	s_cmp_lt_i32 s10, 2
	s_wait_dscnt 0x0
	v_readfirstlane_b32 s3, v1
	s_cbranch_scc1 .LBB26_21
; %bb.14:
	s_cmp_eq_u32 s10, 2
	s_cbranch_scc1 .LBB26_18
; %bb.15:
	v_dual_mov_b32 v3, s3 :: v_dual_mov_b32 v4, s3
	s_add_co_i32 s1, s10, -1
	s_add_co_i32 s7, 0, 8
	s_and_b32 s3, s1, -2
	s_mov_b32 s6, 2
.LBB26_16:                              ; =>This Inner Loop Header: Depth=1
	v_dual_mov_b32 v1, s7 :: v_dual_mov_b32 v2, v3
	s_cmp_lg_u32 s3, s6
	s_cselect_b32 s12, -1, 0
	ds_load_2addr_b32 v[6:7], v1 offset1:2
	v_dual_mov_b32 v1, v4 :: v_dual_max_num_f32 v5, v2, v2
	s_delay_alu instid0(VALU_DEP_1)
	v_max_num_f32_e32 v3, v1, v1
	s_wait_dscnt 0x0
	v_cmp_u_f32_e32 vcc_lo, v7, v7
	v_max_num_f32_e32 v7, v7, v7
	v_cndmask_b32_e64 v4, 0, 1, vcc_lo
	v_cmp_u_f32_e32 vcc_lo, v6, v6
	v_max_num_f32_e32 v6, v6, v6
	s_delay_alu instid0(VALU_DEP_3) | instskip(SKIP_1) | instid1(VALU_DEP_3)
	v_readfirstlane_b32 s0, v4
	v_cndmask_b32_e64 v8, 0, 1, vcc_lo
	v_dual_max_num_f32 v4, v3, v7 :: v_dual_max_num_f32 v3, v5, v6
	s_lshl_b32 s0, s0, 1
	s_delay_alu instid0(VALU_DEP_2) | instskip(SKIP_1) | instid1(SALU_CYCLE_1)
	v_readfirstlane_b32 s13, v8
	s_or_b32 s0, s13, s0
	s_and_b32 s13, s0, 3
	s_delay_alu instid0(SALU_CYCLE_1)
	s_cmp_lg_u32 s13, 0
	s_cselect_b32 s0, -1, 0
	s_cmp_eq_u32 s13, 0
	s_cselect_b32 s13, -1, 0
	s_add_co_i32 s6, s6, 2
	s_and_b32 s12, s13, s12
	s_add_co_i32 s7, s7, 16
	s_and_b32 vcc_lo, exec_lo, s12
	s_cbranch_vccnz .LBB26_16
; %bb.17:
	v_dual_cndmask_b32 v2, v3, v2, s0 :: v_dual_cndmask_b32 v1, v4, v1, s0
	s_add_co_i32 s6, s6, -4
	s_and_b32 s7, s0, exec_lo
	s_cselect_b32 s6, s6, s1
	s_delay_alu instid0(VALU_DEP_1) | instskip(SKIP_3) | instid1(VALU_DEP_1)
	v_dual_max_num_f32 v2, v2, v2 :: v_dual_max_num_f32 v1, v1, v1
	s_or_b32 s6, s6, 1
	s_cmp_lg_u32 s1, s3
	s_cselect_b32 s1, -1, 0
	v_readfirstlane_b32 s7, v2
	v_readfirstlane_b32 s12, v1
	s_or_b32 s0, s1, s0
	s_max_num_f32 s3, s7, s12
	s_and_b32 vcc_lo, exec_lo, s0
	s_cbranch_vccnz .LBB26_19
	s_branch .LBB26_21
.LBB26_18:
	s_mov_b32 s6, 1
	s_cbranch_execz .LBB26_21
.LBB26_19:
	s_lshl_b32 s1, s6, 3
	s_sub_co_i32 s0, s10, s6
	s_add_co_i32 s1, s1, 0
.LBB26_20:                              ; =>This Inner Loop Header: Depth=1
	s_delay_alu instid0(SALU_CYCLE_1) | instskip(NEXT) | instid1(SALU_CYCLE_1)
	v_mov_b32_e32 v1, s1
	v_max_num_f32_e64 v2, s3, s3
	s_add_co_i32 s0, s0, -1
	s_add_co_i32 s1, s1, 8
	s_cmp_eq_u32 s0, 0
	ds_load_b32 v1, v1
	v_readfirstlane_b32 s3, v2
	s_wait_dscnt 0x0
	v_max_num_f32_e32 v1, v1, v1
	s_delay_alu instid0(VALU_DEP_1)
	v_readfirstlane_b32 s6, v1
	s_max_num_f32 s3, s3, s6
	s_cbranch_scc0 .LBB26_20
.LBB26_21:
	s_cmp_lt_i32 s10, 1
	s_cbranch_scc1 .LBB26_26
; %bb.22:
	s_lshl_b32 s0, s2, 8
	s_delay_alu instid0(SALU_CYCLE_1) | instskip(NEXT) | instid1(SALU_CYCLE_1)
	s_ashr_i32 s1, s0, 31
	s_lshl_b64 s[0:1], s[0:1], 2
	s_cmp_lt_u32 s10, 8
	s_add_nc_u64 s[0:1], s[4:5], s[0:1]
	s_cbranch_scc1 .LBB26_27
; %bb.23:
	v_mov_b32_e32 v2, 0
	v_or_b32_e32 v1, 0x700, v0
	s_and_b32 s2, s10, 0x7ffffff8
	s_mov_b32 s4, 0
	s_mov_b32 s5, 0
	v_mov_b32_e32 v3, v2
.LBB26_24:                              ; =>This Inner Loop Header: Depth=1
	v_add_nc_u32_e32 v4, 0xfffff900, v1
	v_dual_mov_b32 v16, s5 :: v_dual_add_nc_u32 v5, 0xfffffa00, v1
	s_clause 0x1
	global_load_b32 v21, v4, s[0:1] scale_offset
	global_load_b32 v23, v5, s[0:1] scale_offset
	s_wait_xcnt 0x1
	v_add_nc_u32_e32 v4, 0xfffffb00, v1
	s_wait_xcnt 0x0
	v_add_nc_u32_e32 v5, 0xfffffc00, v1
	s_clause 0x1
	global_load_b32 v25, v4, s[0:1] scale_offset
	global_load_b32 v27, v5, s[0:1] scale_offset
	s_wait_xcnt 0x1
	v_add_nc_u32_e32 v4, 0xfffffd00, v1
	s_wait_xcnt 0x0
	v_add_nc_u32_e32 v5, 0xfffffe00, v1
	global_load_b32 v29, v4, s[0:1] scale_offset
	s_wait_xcnt 0x0
	v_add_nc_u32_e32 v4, 0xffffff00, v1
	s_clause 0x2
	global_load_b32 v31, v5, s[0:1] scale_offset
	global_load_b32 v33, v4, s[0:1] scale_offset
	;; [unrolled: 1-line block ×3, first 2 shown]
	s_wait_xcnt 0x1
	ds_load_2addr_b64 v[4:7], v16 offset1:1
	ds_load_2addr_b64 v[8:11], v16 offset0:2 offset1:3
	ds_load_2addr_b64 v[12:15], v16 offset0:4 offset1:5
	;; [unrolled: 1-line block ×3, first 2 shown]
	s_wait_xcnt 0x0
	v_add_nc_u32_e32 v1, 0x800, v1
	s_wait_dscnt 0x3
	v_readfirstlane_b32 s6, v4
	v_readfirstlane_b32 s7, v6
	s_wait_dscnt 0x2
	v_readfirstlane_b32 s12, v8
	v_dual_mov_b32 v20, v5 :: v_dual_mov_b32 v26, v11
	s_sub_f32 s6, s6, s3
	s_sub_f32 s7, s7, s3
	;; [unrolled: 1-line block ×3, first 2 shown]
	v_readfirstlane_b32 s13, v10
	s_mul_f32 s18, s6, 0x3fb8aa3b
	s_mul_f32 s19, s7, 0x3fb8aa3b
	;; [unrolled: 1-line block ×3, first 2 shown]
	s_wait_dscnt 0x1
	v_readfirstlane_b32 s14, v12
	s_xor_b32 s26, s18, 0x80000000
	s_rndne_f32 s27, s18
	s_fmamk_f32 s26, s6, 0x3fb8aa3b, s26
	s_cmp_nlt_f32 s6, 0xc2ce8ed0
	s_rndne_f32 s28, s19
	s_sub_f32 s18, s18, s27
	s_fmamk_f32 s26, s6, 0x32a5705f, s26
	s_cvt_i32_f32 s27, s27
	s_cselect_b32 vcc_lo, -1, 0
	s_cmp_ngt_f32 s6, 0x42b17218
	s_add_f32 s18, s18, s26
	s_sub_f32 s36, s19, s28
	s_cvt_i32_f32 s28, s28
	s_rndne_f32 s29, s20
	v_s_exp_f32 s18, s18
	s_sub_f32 s13, s13, s3
	s_sub_f32 s14, s14, s3
	;; [unrolled: 1-line block ×3, first 2 shown]
	s_cvt_i32_f32 s29, s29
	s_mul_f32 s21, s13, 0x3fb8aa3b
	s_mul_f32 s22, s14, 0x3fb8aa3b
	v_readfirstlane_b32 s15, v14
	v_ldexp_f32 v4, s18, s27
	s_wait_dscnt 0x0
	v_mov_b32_e32 v32, v17
	s_rndne_f32 s30, s21
	s_rndne_f32 s31, s22
	s_sub_f32 s15, s15, s3
	v_cndmask_b32_e32 v4, 0, v4, vcc_lo
	s_cselect_b32 vcc_lo, -1, 0
	s_xor_b32 s6, s19, 0x80000000
	s_cmp_nlt_f32 s7, 0xc2ce8ed0
	s_fmamk_f32 s6, s7, 0x3fb8aa3b, s6
	v_cndmask_b32_e32 v4, 0x7f800000, v4, vcc_lo
	s_sub_f32 s38, s21, s30
	s_cselect_b32 vcc_lo, -1, 0
	s_fmamk_f32 s6, s7, 0x32a5705f, s6
	s_cmp_ngt_f32 s7, 0x42b17218
	s_cvt_i32_f32 s30, s30
	s_sub_f32 s39, s22, s31
	s_add_f32 s6, s36, s6
	s_cvt_i32_f32 s31, s31
	s_mul_f32 s23, s15, 0x3fb8aa3b
	v_readfirstlane_b32 s16, v16
	v_s_exp_f32 s6, s6
	v_readfirstlane_b32 s17, v18
	s_rndne_f32 s33, s23
	v_mov_b32_e32 v22, v7
	s_sub_f32 s16, s16, s3
	v_mov_b32_e32 v34, v19
	s_sub_f32 s40, s23, s33
	s_cvt_i32_f32 s33, s33
	v_ldexp_f32 v5, s6, s28
	s_mul_f32 s24, s16, 0x3fb8aa3b
	s_sub_f32 s17, s17, s3
	v_dual_mov_b32 v24, v9 :: v_dual_mov_b32 v28, v13
	s_delay_alu instid0(VALU_DEP_2)
	v_dual_mov_b32 v30, v15 :: v_dual_cndmask_b32 v5, 0, v5
	s_cselect_b32 vcc_lo, -1, 0
	s_xor_b32 s6, s20, 0x80000000
	s_cmp_nlt_f32 s12, 0xc2ce8ed0
	s_fmamk_f32 s6, s12, 0x3fb8aa3b, s6
	v_cndmask_b32_e32 v6, 0x7f800000, v5, vcc_lo
	s_rndne_f32 s34, s24
	s_cselect_b32 vcc_lo, -1, 0
	s_fmamk_f32 s6, s12, 0x32a5705f, s6
	s_cmp_ngt_f32 s12, 0x42b17218
	s_sub_f32 s41, s24, s34
	s_cvt_i32_f32 s34, s34
	s_add_f32 s6, s37, s6
	s_mul_f32 s25, s17, 0x3fb8aa3b
	s_delay_alu instid0(SALU_CYCLE_2) | instskip(NEXT) | instid1(SALU_CYCLE_2)
	v_s_exp_f32 s6, s6
	s_rndne_f32 s35, s25
	s_delay_alu instid0(SALU_CYCLE_3) | instskip(SKIP_2) | instid1(TRANS32_DEP_1)
	s_sub_f32 s42, s25, s35
	s_cvt_i32_f32 s35, s35
	v_nop
	v_ldexp_f32 v5, s6, s29
	s_delay_alu instid0(VALU_DEP_1)
	v_cndmask_b32_e32 v5, 0, v5, vcc_lo
	s_cselect_b32 vcc_lo, -1, 0
	s_xor_b32 s6, s21, 0x80000000
	s_cmp_nlt_f32 s13, 0xc2ce8ed0
	s_fmamk_f32 s6, s13, 0x3fb8aa3b, s6
	v_cndmask_b32_e32 v8, 0x7f800000, v5, vcc_lo
	s_cselect_b32 vcc_lo, -1, 0
	s_delay_alu instid0(SALU_CYCLE_1) | instskip(SKIP_1) | instid1(SALU_CYCLE_2)
	s_fmamk_f32 s6, s13, 0x32a5705f, s6
	s_cmp_ngt_f32 s13, 0x42b17218
	s_add_f32 s6, s38, s6
	s_delay_alu instid0(SALU_CYCLE_3) | instskip(SKIP_1) | instid1(TRANS32_DEP_1)
	v_s_exp_f32 s6, s6
	v_nop
	v_ldexp_f32 v5, s6, s30
	s_delay_alu instid0(VALU_DEP_1)
	v_cndmask_b32_e32 v5, 0, v5, vcc_lo
	s_cselect_b32 vcc_lo, -1, 0
	s_xor_b32 s6, s22, 0x80000000
	s_cmp_nlt_f32 s14, 0xc2ce8ed0
	s_fmamk_f32 s6, s14, 0x3fb8aa3b, s6
	v_cndmask_b32_e32 v10, 0x7f800000, v5, vcc_lo
	s_cselect_b32 vcc_lo, -1, 0
	s_delay_alu instid0(SALU_CYCLE_1) | instskip(SKIP_1) | instid1(SALU_CYCLE_2)
	s_fmamk_f32 s6, s14, 0x32a5705f, s6
	s_cmp_ngt_f32 s14, 0x42b17218
	s_add_f32 s6, s39, s6
	s_delay_alu instid0(SALU_CYCLE_3) | instskip(SKIP_1) | instid1(TRANS32_DEP_1)
	v_s_exp_f32 s6, s6
	;; [unrolled: 16-line block ×4, first 2 shown]
	v_nop
	v_ldexp_f32 v5, s6, s34
	s_delay_alu instid0(VALU_DEP_1) | instskip(SKIP_4) | instid1(SALU_CYCLE_3)
	v_cndmask_b32_e32 v5, 0, v5, vcc_lo
	s_cselect_b32 vcc_lo, -1, 0
	s_xor_b32 s6, s25, 0x80000000
	s_cmp_nlt_f32 s17, 0xc2ce8ed0
	s_fmamk_f32 s6, s17, 0x3fb8aa3b, s6
	s_fmamk_f32 s6, s17, 0x32a5705f, s6
	s_delay_alu instid0(SALU_CYCLE_3) | instskip(NEXT) | instid1(SALU_CYCLE_3)
	s_add_f32 s6, s42, s6
	v_s_exp_f32 s6, s6
	s_wait_loadcnt 0x7
	v_pk_fma_f32 v[2:3], v[4:5], v[20:21], v[2:3] op_sel_hi:[0,1,1]
	v_cndmask_b32_e32 v4, 0x7f800000, v5, vcc_lo
	s_delay_alu instid0(TRANS32_DEP_1)
	v_ldexp_f32 v5, s6, s35
	s_cselect_b32 vcc_lo, -1, 0
	s_cmp_ngt_f32 s17, 0x42b17218
	s_wait_loadcnt 0x6
	v_pk_fma_f32 v[2:3], v[6:7], v[22:23], v[2:3] op_sel_hi:[0,1,1]
	v_cndmask_b32_e32 v5, 0, v5, vcc_lo
	s_cselect_b32 vcc_lo, -1, 0
	s_add_co_i32 s4, s4, 8
	s_wait_loadcnt 0x5
	v_pk_fma_f32 v[2:3], v[8:9], v[24:25], v[2:3] op_sel_hi:[0,1,1]
	s_add_co_i32 s5, s5, 64
	v_cndmask_b32_e32 v6, 0x7f800000, v5, vcc_lo
	s_cmp_eq_u32 s2, s4
	s_wait_loadcnt 0x4
	v_pk_fma_f32 v[2:3], v[10:11], v[26:27], v[2:3] op_sel_hi:[0,1,1]
	s_wait_loadcnt 0x3
	s_delay_alu instid0(VALU_DEP_1) | instskip(SKIP_1) | instid1(VALU_DEP_1)
	v_pk_fma_f32 v[2:3], v[12:13], v[28:29], v[2:3] op_sel_hi:[0,1,1]
	s_wait_loadcnt 0x2
	v_pk_fma_f32 v[2:3], v[14:15], v[30:31], v[2:3] op_sel_hi:[0,1,1]
	s_wait_loadcnt 0x1
	s_delay_alu instid0(VALU_DEP_1) | instskip(SKIP_1) | instid1(VALU_DEP_1)
	v_pk_fma_f32 v[2:3], v[4:5], v[32:33], v[2:3] op_sel_hi:[0,1,1]
	s_wait_loadcnt 0x0
	v_pk_fma_f32 v[2:3], v[6:7], v[34:35], v[2:3] op_sel_hi:[0,1,1]
	s_cbranch_scc0 .LBB26_24
; %bb.25:
	s_and_b32 s4, s10, 7
	s_delay_alu instid0(SALU_CYCLE_1)
	s_cmp_eq_u32 s4, 0
	s_cbranch_scc0 .LBB26_28
	s_branch .LBB26_30
.LBB26_26:
	v_mov_b32_e32 v1, 0x7fc00000
	s_branch .LBB26_31
.LBB26_27:
	v_mov_b64_e32 v[2:3], 0
	s_mov_b32 s2, 0
	s_and_b32 s4, s10, 7
	s_delay_alu instid0(SALU_CYCLE_1)
	s_cmp_eq_u32 s4, 0
	s_cbranch_scc1 .LBB26_30
.LBB26_28:
	v_lshl_or_b32 v1, s2, 8, v0
	s_lshl_b32 s2, s2, 3
	s_delay_alu instid0(SALU_CYCLE_1)
	s_add_co_i32 s2, s2, 0
.LBB26_29:                              ; =>This Inner Loop Header: Depth=1
	global_load_b32 v5, v1, s[0:1] scale_offset
	s_wait_xcnt 0x0
	v_dual_mov_b32 v4, s2 :: v_dual_add_nc_u32 v1, 0x100, v1
	ds_load_b64 v[6:7], v4
	s_wait_dscnt 0x0
	v_readfirstlane_b32 s5, v6
	s_sub_f32 s5, s5, s3
	s_delay_alu instid0(SALU_CYCLE_3) | instskip(NEXT) | instid1(SALU_CYCLE_3)
	s_mul_f32 s6, s5, 0x3fb8aa3b
	s_xor_b32 s7, s6, 0x80000000
	s_rndne_f32 s10, s6
	s_fmamk_f32 s7, s5, 0x3fb8aa3b, s7
	s_cmp_nlt_f32 s5, 0xc2ce8ed0
	s_delay_alu instid0(SALU_CYCLE_1) | instskip(NEXT) | instid1(SALU_CYCLE_1)
	s_sub_f32 s6, s6, s10
	s_fmamk_f32 s7, s5, 0x32a5705f, s7
	s_cselect_b32 vcc_lo, -1, 0
	s_cmp_ngt_f32 s5, 0x42b17218
	s_delay_alu instid0(SALU_CYCLE_1) | instskip(SKIP_1) | instid1(SALU_CYCLE_2)
	s_add_f32 s6, s6, s7
	s_cvt_i32_f32 s7, s10
	v_s_exp_f32 s6, s6
	v_nop
	s_delay_alu instid0(TRANS32_DEP_1) | instid1(SALU_CYCLE_1)
	v_ldexp_f32 v4, s6, s7
	s_delay_alu instid0(VALU_DEP_1) | instskip(SKIP_3) | instid1(VALU_DEP_1)
	v_dual_cndmask_b32 v6, 0, v4, vcc_lo :: v_dual_mov_b32 v4, v7
	s_cselect_b32 vcc_lo, -1, 0
	s_add_co_i32 s4, s4, -1
	s_add_co_i32 s2, s2, 8
	v_cndmask_b32_e32 v6, 0x7f800000, v6, vcc_lo
	s_cmp_lg_u32 s4, 0
	s_wait_loadcnt 0x0
	s_delay_alu instid0(VALU_DEP_1)
	v_pk_fma_f32 v[2:3], v[6:7], v[4:5], v[2:3] op_sel_hi:[0,1,1]
	s_cbranch_scc1 .LBB26_29
.LBB26_30:
	s_delay_alu instid0(VALU_DEP_1) | instskip(NEXT) | instid1(VALU_DEP_1)
	v_div_scale_f32 v1, null, v2, v2, v3
	v_rcp_f32_e32 v4, v1
	v_nop
	s_delay_alu instid0(TRANS32_DEP_1) | instskip(NEXT) | instid1(VALU_DEP_1)
	v_fma_f32 v5, -v1, v4, 1.0
	v_fmac_f32_e32 v4, v5, v4
	v_div_scale_f32 v5, vcc_lo, v3, v2, v3
	s_delay_alu instid0(VALU_DEP_1) | instskip(NEXT) | instid1(VALU_DEP_1)
	v_mul_f32_e32 v6, v5, v4
	v_fma_f32 v7, -v1, v6, v5
	s_delay_alu instid0(VALU_DEP_1) | instskip(NEXT) | instid1(VALU_DEP_1)
	v_fmac_f32_e32 v6, v7, v4
	v_fma_f32 v1, -v1, v6, v5
	s_delay_alu instid0(VALU_DEP_1) | instskip(NEXT) | instid1(VALU_DEP_1)
	v_div_fmas_f32 v1, v1, v4, v6
	v_div_fixup_f32 v1, v1, v2, v3
.LBB26_31:
	s_lshl_b32 s0, s11, 8
	s_delay_alu instid0(SALU_CYCLE_1) | instskip(NEXT) | instid1(SALU_CYCLE_1)
	s_ashr_i32 s1, s0, 31
	s_lshl_b64 s[0:1], s[0:1], 2
	s_delay_alu instid0(SALU_CYCLE_1)
	s_add_nc_u64 s[0:1], s[8:9], s[0:1]
	global_store_b32 v0, v1, s[0:1] scale_offset
	s_endpgm
	.section	.rodata,"a",@progbits
	.p2align	6, 0x0
	.amdhsa_kernel _ZL26flash_attn_combine_resultsILi256EEvPKfPK15HIP_vector_typeIfLj2EEPfi
		.amdhsa_group_segment_fixed_size 0
		.amdhsa_private_segment_fixed_size 0
		.amdhsa_kernarg_size 288
		.amdhsa_user_sgpr_count 2
		.amdhsa_user_sgpr_dispatch_ptr 0
		.amdhsa_user_sgpr_queue_ptr 0
		.amdhsa_user_sgpr_kernarg_segment_ptr 1
		.amdhsa_user_sgpr_dispatch_id 0
		.amdhsa_user_sgpr_kernarg_preload_length 0
		.amdhsa_user_sgpr_kernarg_preload_offset 0
		.amdhsa_user_sgpr_private_segment_size 0
		.amdhsa_wavefront_size32 1
		.amdhsa_uses_dynamic_stack 0
		.amdhsa_enable_private_segment 0
		.amdhsa_system_sgpr_workgroup_id_x 1
		.amdhsa_system_sgpr_workgroup_id_y 1
		.amdhsa_system_sgpr_workgroup_id_z 1
		.amdhsa_system_sgpr_workgroup_info 0
		.amdhsa_system_vgpr_workitem_id 0
		.amdhsa_next_free_vgpr 36
		.amdhsa_next_free_sgpr 43
		.amdhsa_named_barrier_count 0
		.amdhsa_reserve_vcc 1
		.amdhsa_float_round_mode_32 0
		.amdhsa_float_round_mode_16_64 0
		.amdhsa_float_denorm_mode_32 3
		.amdhsa_float_denorm_mode_16_64 3
		.amdhsa_fp16_overflow 0
		.amdhsa_memory_ordered 1
		.amdhsa_forward_progress 1
		.amdhsa_inst_pref_size 29
		.amdhsa_round_robin_scheduling 0
		.amdhsa_exception_fp_ieee_invalid_op 0
		.amdhsa_exception_fp_denorm_src 0
		.amdhsa_exception_fp_ieee_div_zero 0
		.amdhsa_exception_fp_ieee_overflow 0
		.amdhsa_exception_fp_ieee_underflow 0
		.amdhsa_exception_fp_ieee_inexact 0
		.amdhsa_exception_int_div_zero 0
	.end_amdhsa_kernel
	.section	.text._ZL26flash_attn_combine_resultsILi256EEvPKfPK15HIP_vector_typeIfLj2EEPfi,"axG",@progbits,_ZL26flash_attn_combine_resultsILi256EEvPKfPK15HIP_vector_typeIfLj2EEPfi,comdat
.Lfunc_end26:
	.size	_ZL26flash_attn_combine_resultsILi256EEvPKfPK15HIP_vector_typeIfLj2EEPfi, .Lfunc_end26-_ZL26flash_attn_combine_resultsILi256EEvPKfPK15HIP_vector_typeIfLj2EEPfi
                                        ; -- End function
	.set _ZL26flash_attn_combine_resultsILi256EEvPKfPK15HIP_vector_typeIfLj2EEPfi.num_vgpr, 36
	.set _ZL26flash_attn_combine_resultsILi256EEvPKfPK15HIP_vector_typeIfLj2EEPfi.num_agpr, 0
	.set _ZL26flash_attn_combine_resultsILi256EEvPKfPK15HIP_vector_typeIfLj2EEPfi.numbered_sgpr, 43
	.set _ZL26flash_attn_combine_resultsILi256EEvPKfPK15HIP_vector_typeIfLj2EEPfi.num_named_barrier, 0
	.set _ZL26flash_attn_combine_resultsILi256EEvPKfPK15HIP_vector_typeIfLj2EEPfi.private_seg_size, 0
	.set _ZL26flash_attn_combine_resultsILi256EEvPKfPK15HIP_vector_typeIfLj2EEPfi.uses_vcc, 1
	.set _ZL26flash_attn_combine_resultsILi256EEvPKfPK15HIP_vector_typeIfLj2EEPfi.uses_flat_scratch, 0
	.set _ZL26flash_attn_combine_resultsILi256EEvPKfPK15HIP_vector_typeIfLj2EEPfi.has_dyn_sized_stack, 0
	.set _ZL26flash_attn_combine_resultsILi256EEvPKfPK15HIP_vector_typeIfLj2EEPfi.has_recursion, 0
	.set _ZL26flash_attn_combine_resultsILi256EEvPKfPK15HIP_vector_typeIfLj2EEPfi.has_indirect_call, 0
	.section	.AMDGPU.csdata,"",@progbits
; Kernel info:
; codeLenInByte = 3596
; TotalNumSgprs: 45
; NumVgprs: 36
; ScratchSize: 0
; MemoryBound: 0
; FloatMode: 240
; IeeeMode: 1
; LDSByteSize: 0 bytes/workgroup (compile time only)
; SGPRBlocks: 0
; VGPRBlocks: 2
; NumSGPRsForWavesPerEU: 45
; NumVGPRsForWavesPerEU: 36
; NamedBarCnt: 0
; Occupancy: 16
; WaveLimiterHint : 0
; COMPUTE_PGM_RSRC2:SCRATCH_EN: 0
; COMPUTE_PGM_RSRC2:USER_SGPR: 2
; COMPUTE_PGM_RSRC2:TRAP_HANDLER: 0
; COMPUTE_PGM_RSRC2:TGID_X_EN: 1
; COMPUTE_PGM_RSRC2:TGID_Y_EN: 1
; COMPUTE_PGM_RSRC2:TGID_Z_EN: 1
; COMPUTE_PGM_RSRC2:TIDIG_COMP_CNT: 0
	.section	.text._ZL18flash_attn_ext_vecILi256ELi1EL9ggml_type6ELS0_6ELb1EEvPKcS2_S2_S2_S2_PKiPfP15HIP_vector_typeIfLj2EEffffjfiS6_IjLj3EEiiiiiiiiiiiliiliiiiil,"axG",@progbits,_ZL18flash_attn_ext_vecILi256ELi1EL9ggml_type6ELS0_6ELb1EEvPKcS2_S2_S2_S2_PKiPfP15HIP_vector_typeIfLj2EEffffjfiS6_IjLj3EEiiiiiiiiiiiliiliiiiil,comdat
	.globl	_ZL18flash_attn_ext_vecILi256ELi1EL9ggml_type6ELS0_6ELb1EEvPKcS2_S2_S2_S2_PKiPfP15HIP_vector_typeIfLj2EEffffjfiS6_IjLj3EEiiiiiiiiiiiliiliiiiil ; -- Begin function _ZL18flash_attn_ext_vecILi256ELi1EL9ggml_type6ELS0_6ELb1EEvPKcS2_S2_S2_S2_PKiPfP15HIP_vector_typeIfLj2EEffffjfiS6_IjLj3EEiiiiiiiiiiiliiliiiiil
	.p2align	8
	.type	_ZL18flash_attn_ext_vecILi256ELi1EL9ggml_type6ELS0_6ELb1EEvPKcS2_S2_S2_S2_PKiPfP15HIP_vector_typeIfLj2EEffffjfiS6_IjLj3EEiiiiiiiiiiiliiliiiiil,@function
_ZL18flash_attn_ext_vecILi256ELi1EL9ggml_type6ELS0_6ELb1EEvPKcS2_S2_S2_S2_PKiPfP15HIP_vector_typeIfLj2EEffffjfiS6_IjLj3EEiiiiiiiiiiiliiliiiiil: ; @_ZL18flash_attn_ext_vecILi256ELi1EL9ggml_type6ELS0_6ELb1EEvPKcS2_S2_S2_S2_PKiPfP15HIP_vector_typeIfLj2EEffffjfiS6_IjLj3EEiiiiiiiiiiiliiliiiiil
; %bb.0:
	s_clause 0x2
	s_load_b64 s[28:29], s[0:1], 0x64
	s_load_b64 s[36:37], s[0:1], 0x80
	;; [unrolled: 1-line block ×3, first 2 shown]
	s_bfe_u32 s4, ttmp6, 0x40014
	s_lshr_b32 s3, ttmp7, 16
	s_add_co_i32 s4, s4, 1
	s_bfe_u32 s5, ttmp6, 0x40008
	s_mul_i32 s4, s3, s4
	s_getreg_b32 s52, hwreg(HW_REG_IB_STS2, 6, 4)
	s_add_co_i32 s5, s5, s4
	s_clause 0x1
	s_load_b128 s[24:27], s[0:1], 0x40
	s_load_b64 s[38:39], s[0:1], 0x50
	v_mov_b32_e32 v171, 1.0
	s_mov_b32 s43, 0
	s_wait_kmcnt 0x0
	s_cvt_f32_u32 s2, s29
	s_sub_co_i32 s6, 0, s29
	s_delay_alu instid0(SALU_CYCLE_2) | instskip(SKIP_1) | instid1(TRANS32_DEP_1)
	v_rcp_iflag_f32_e32 v1, s2
	v_nop
	v_readfirstlane_b32 s2, v1
	s_mul_f32 s2, s2, 0x4f7ffffe
	s_delay_alu instid0(SALU_CYCLE_3) | instskip(NEXT) | instid1(SALU_CYCLE_3)
	s_cvt_u32_f32 s2, s2
	s_mul_i32 s6, s6, s2
	s_delay_alu instid0(SALU_CYCLE_1) | instskip(NEXT) | instid1(SALU_CYCLE_1)
	s_mul_hi_u32 s6, s2, s6
	s_add_co_i32 s2, s2, s6
	s_cmp_eq_u32 s52, 0
	s_cselect_b32 s3, s3, s5
	s_delay_alu instid0(SALU_CYCLE_1) | instskip(NEXT) | instid1(SALU_CYCLE_1)
	s_mul_hi_u32 s2, s3, s2
	s_mul_i32 s4, s2, s29
	s_add_co_i32 s5, s2, 1
	s_sub_co_i32 s4, s3, s4
	s_delay_alu instid0(SALU_CYCLE_1)
	s_sub_co_i32 s6, s4, s29
	s_cmp_ge_u32 s4, s29
	s_cselect_b32 s2, s5, s2
	s_cselect_b32 s4, s6, s4
	s_add_co_i32 s5, s2, 1
	s_cmp_ge_u32 s4, s29
	s_cselect_b32 s30, s5, s2
	s_abs_i32 s2, s37
	s_abs_i32 s7, s29
	s_cvt_f32_u32 s4, s2
	s_sub_co_i32 s5, 0, s2
	s_xor_b32 s6, s29, s37
	s_delay_alu instid0(SALU_CYCLE_1) | instskip(SKIP_2) | instid1(TRANS32_DEP_1)
	v_rcp_iflag_f32_e32 v1, s4
	s_ashr_i32 s6, s6, 31
	v_nop
	v_readfirstlane_b32 s4, v1
	s_mul_f32 s4, s4, 0x4f7ffffe
	s_delay_alu instid0(SALU_CYCLE_3) | instskip(NEXT) | instid1(SALU_CYCLE_3)
	s_cvt_u32_f32 s4, s4
	s_mul_i32 s5, s5, s4
	s_delay_alu instid0(SALU_CYCLE_1) | instskip(NEXT) | instid1(SALU_CYCLE_1)
	s_mul_hi_u32 s5, s4, s5
	s_add_co_i32 s4, s4, s5
	s_mul_i32 s5, s30, s29
	s_mul_hi_u32 s4, s7, s4
	s_sub_co_i32 s34, s3, s5
	s_mul_i32 s8, s4, s2
	s_add_co_i32 s5, s4, 1
	s_sub_co_i32 s3, s7, s8
	s_delay_alu instid0(SALU_CYCLE_1)
	s_sub_co_i32 s7, s3, s2
	s_cmp_ge_u32 s3, s2
	s_cselect_b32 s4, s5, s4
	s_cselect_b32 s3, s7, s3
	s_add_co_i32 s5, s4, 1
	s_cmp_ge_u32 s3, s2
	s_cselect_b32 s2, s5, s4
	s_abs_i32 s50, s44
	s_xor_b32 s2, s2, s6
	s_sub_co_i32 s4, 0, s50
	s_sub_co_i32 s31, s2, s6
	s_cvt_f32_u32 s2, s50
	s_abs_i32 s51, s31
	s_abs_i32 s42, s34
	s_cvt_f32_u32 s3, s51
	v_rcp_iflag_f32_e32 v1, s2
	s_sub_co_i32 s5, 0, s51
	s_abs_i32 s40, s30
	v_rcp_iflag_f32_e32 v2, s3
	s_delay_alu instid0(TRANS32_DEP_2) | instskip(NEXT) | instid1(TRANS32_DEP_1)
	v_readfirstlane_b32 s2, v1
	v_readfirstlane_b32 s3, v2
	s_mul_f32 s2, s2, 0x4f7ffffe
	s_mul_f32 s3, s3, 0x4f7ffffe
	s_delay_alu instid0(SALU_CYCLE_2) | instskip(NEXT) | instid1(SALU_CYCLE_2)
	s_cvt_u32_f32 s2, s2
	s_cvt_u32_f32 s3, s3
	s_delay_alu instid0(SALU_CYCLE_2) | instskip(NEXT) | instid1(SALU_CYCLE_1)
	s_mul_i32 s4, s4, s2
	s_mul_hi_u32 s4, s2, s4
	s_delay_alu instid0(SALU_CYCLE_1)
	s_mul_i32 s5, s5, s3
	s_add_co_i32 s46, s2, s4
	s_mul_hi_u32 s5, s3, s5
	s_mov_b32 s4, s24
	s_add_co_i32 s48, s3, s5
	s_cmp_le_f32 s25, 0
	s_mov_b32 s5, s25
	s_cbranch_scc1 .LBB27_2
; %bb.1:
	v_sub_co_u32 v1, s2, s34, s38
	s_and_b32 s6, s2, exec_lo
	s_cselect_b32 s6, s26, s27
	s_add_co_i32 s7, s34, 1
	v_readfirstlane_b32 s3, v1
	s_lshl_b32 s3, s3, 1
	s_delay_alu instid0(SALU_CYCLE_1) | instskip(SKIP_4) | instid1(SALU_CYCLE_3)
	s_or_b32 s3, s3, 1
	s_and_b32 s2, s2, exec_lo
	s_cselect_b32 s2, s7, s3
	s_cmp_neq_f32 s6, 1.0
	s_cvt_f32_i32 s2, s2
	s_cselect_b32 s3, s2, 1.0
	s_delay_alu instid0(SALU_CYCLE_1) | instskip(SKIP_1) | instid1(SALU_CYCLE_1)
	s_cmp_neq_f32 s3, 0
	s_cselect_b32 s2, s6, 1.0
	v_cvt_f64_f32_e64 v[2:3], |s2|
	s_delay_alu instid0(VALU_DEP_1) | instskip(SKIP_1) | instid1(VALU_DEP_1)
	v_frexp_exp_i32_f64_e32 v1, v[2:3]
	v_frexp_mant_f32_e64 v2, |s2|
	v_readfirstlane_b32 s6, v2
	s_cmp_lt_f32 s6, 0x3f2aaaab
	s_cselect_b32 vcc_lo, -1, 0
	s_delay_alu instid0(SALU_CYCLE_1) | instskip(SKIP_1) | instid1(SALU_CYCLE_1)
	s_and_b32 s7, vcc_lo, exec_lo
	s_cselect_b32 s7, 2.0, 1.0
	s_mul_f32 s6, s6, s7
	s_delay_alu instid0(SALU_CYCLE_3) | instskip(SKIP_1) | instid1(SALU_CYCLE_2)
	s_add_f32 s7, s6, 1.0
	s_add_f32 s9, s6, -1.0
	v_s_rcp_f32 s8, s7
	s_add_f32 s12, s7, -1.0
	v_subrev_co_ci_u32_e64 v1, null, 0, v1, vcc_lo
	s_delay_alu instid0(SALU_CYCLE_2) | instskip(NEXT) | instid1(TRANS32_DEP_1)
	s_sub_f32 s6, s6, s12
	s_mul_f32 s10, s9, s8
	v_cvt_f32_i32_e32 v1, v1
	s_delay_alu instid0(SALU_CYCLE_2) | instskip(NEXT) | instid1(SALU_CYCLE_3)
	s_mul_f32 s11, s7, s10
	v_dual_mov_b32 v3, s9 :: v_dual_mov_b32 v4, s11
	s_xor_b32 s13, s11, 0x80000000
	s_delay_alu instid0(SALU_CYCLE_1) | instskip(NEXT) | instid1(SALU_CYCLE_3)
	s_fmac_f32 s13, s10, s7
	s_fmac_f32 s13, s10, s6
	s_delay_alu instid0(SALU_CYCLE_3) | instskip(SKIP_2) | instid1(SALU_CYCLE_1)
	s_add_f32 s6, s11, s13
	v_mov_b32_e32 v6, s13
	s_mov_b32 s11, 0x3e76c4e1
	s_sub_f32 s7, s9, s6
	v_dual_mov_b32 v2, s6 :: v_dual_mov_b32 v7, s6
	s_delay_alu instid0(SALU_CYCLE_2) | instskip(NEXT) | instid1(VALU_DEP_1)
	v_mov_b32_e32 v5, s7
	v_pk_add_f32 v[2:3], v[2:3], v[4:5] neg_lo:[0,1] neg_hi:[0,1]
	s_delay_alu instid0(VALU_DEP_1) | instskip(NEXT) | instid1(VALU_DEP_1)
	v_pk_add_f32 v[2:3], v[2:3], v[6:7] neg_lo:[0,1] neg_hi:[0,1]
	v_readfirstlane_b32 s6, v3
	s_delay_alu instid0(VALU_DEP_2) | instskip(SKIP_1) | instid1(SALU_CYCLE_3)
	v_readfirstlane_b32 s9, v2
	s_add_f32 s6, s9, s6
	s_add_f32 s6, s7, s6
	s_delay_alu instid0(SALU_CYCLE_3) | instskip(NEXT) | instid1(SALU_CYCLE_3)
	s_mul_f32 s7, s8, s6
	s_add_f32 s6, s10, s7
	s_delay_alu instid0(SALU_CYCLE_3) | instskip(SKIP_1) | instid1(SALU_CYCLE_2)
	s_sub_f32 s8, s6, s10
	s_mul_f32 s9, s6, s6
	s_sub_f32 s10, s7, s8
	s_delay_alu instid0(SALU_CYCLE_2) | instskip(NEXT) | instid1(SALU_CYCLE_1)
	s_xor_b32 s7, s9, 0x80000000
	s_fmac_f32 s7, s6, s6
	s_delay_alu instid0(SALU_CYCLE_1) | instskip(NEXT) | instid1(SALU_CYCLE_3)
	s_add_f32 s8, s10, s10
	s_fmac_f32 s7, s6, s8
	s_delay_alu instid0(SALU_CYCLE_3) | instskip(NEXT) | instid1(SALU_CYCLE_3)
	s_add_f32 s8, s9, s7
	s_fmaak_f32 s11, s8, s11, 0x3e91f4c4
	s_sub_f32 s9, s8, s9
	s_delay_alu instid0(SALU_CYCLE_2) | instskip(NEXT) | instid1(SALU_CYCLE_2)
	s_fmaak_f32 s11, s8, s11, 0x3ecccdef
	s_sub_f32 s14, s7, s9
	s_delay_alu instid0(SALU_CYCLE_2) | instskip(NEXT) | instid1(SALU_CYCLE_3)
	s_mul_f32 s12, s8, s11
	s_xor_b32 s13, s12, 0x80000000
	s_delay_alu instid0(SALU_CYCLE_1) | instskip(NEXT) | instid1(SALU_CYCLE_3)
	s_fmac_f32 s13, s8, s11
	s_fmac_f32 s13, s14, s11
	s_delay_alu instid0(SALU_CYCLE_3) | instskip(NEXT) | instid1(SALU_CYCLE_3)
	s_add_f32 s9, s12, s13
	s_sub_f32 s7, s9, s12
	s_add_f32 s11, s9, 0x3f2aaaaa
	s_delay_alu instid0(SALU_CYCLE_2) | instskip(NEXT) | instid1(SALU_CYCLE_2)
	s_sub_f32 s7, s13, s7
	s_add_f32 s12, s11, 0xbf2aaaaa
	s_delay_alu instid0(SALU_CYCLE_2) | instskip(NEXT) | instid1(SALU_CYCLE_2)
	s_add_f32 s7, s7, 0x31739010
	s_sub_f32 s9, s9, s12
	s_delay_alu instid0(SALU_CYCLE_2) | instskip(NEXT) | instid1(SALU_CYCLE_2)
	v_mov_b64_e32 v[2:3], s[6:7]
	v_mov_b64_e32 v[4:5], s[8:9]
	s_delay_alu instid0(VALU_DEP_1) | instskip(SKIP_2) | instid1(VALU_DEP_3)
	v_pk_mul_f32 v[6:7], v[2:3], v[4:5]
	v_pk_add_f32 v[2:3], v[2:3], v[4:5]
	v_mov_b32_e32 v9, s11
	v_xor_b32_e32 v8, 0x80000000, v6
	s_delay_alu instid0(VALU_DEP_3) | instskip(NEXT) | instid1(VALU_DEP_2)
	v_mov_b32_e32 v7, v3
	v_fmac_f32_e64 v8, s8, s6
	s_delay_alu instid0(VALU_DEP_1) | instskip(NEXT) | instid1(VALU_DEP_1)
	v_fmac_f32_e64 v8, s8, s10
	v_fmac_f32_e64 v8, s14, s6
	s_delay_alu instid0(VALU_DEP_1) | instskip(NEXT) | instid1(VALU_DEP_1)
	v_pk_add_f32 v[4:5], v[6:7], v[8:9]
	v_dual_mov_b32 v2, v5 :: v_dual_sub_f32 v7, s11, v5
	v_mul_f32_e32 v12, 0x3f317218, v1
	s_delay_alu instid0(VALU_DEP_2) | instskip(NEXT) | instid1(VALU_DEP_3)
	v_pk_mul_f32 v[10:11], v[4:5], v[2:3]
	v_add_f32_e32 v3, v3, v7
	s_delay_alu instid0(VALU_DEP_3) | instskip(NEXT) | instid1(VALU_DEP_3)
	v_xor_b32_e32 v7, 0x80000000, v12
	v_xor_b32_e32 v2, 0x80000000, v10
	s_delay_alu instid0(VALU_DEP_2) | instskip(NEXT) | instid1(VALU_DEP_2)
	v_dual_sub_f32 v6, v4, v6 :: v_dual_fmac_f32 v7, 0x3f317218, v1
	v_fmac_f32_e32 v2, v4, v5
	s_delay_alu instid0(VALU_DEP_2) | instskip(NEXT) | instid1(VALU_DEP_2)
	v_sub_f32_e32 v6, v8, v6
	v_fmac_f32_e32 v2, v4, v3
	s_delay_alu instid0(VALU_DEP_1) | instskip(SKIP_3) | instid1(VALU_DEP_2)
	v_fmac_f32_e32 v2, v6, v5
	v_fmamk_f32 v4, v1, 0xb102e308, v7
	v_ldexp_f32 v5, s6, 1
	v_ldexp_f32 v1, s10, 1
	v_dual_add_f32 v13, v10, v2 :: v_dual_mov_b32 v11, v5
	s_delay_alu instid0(VALU_DEP_1) | instskip(SKIP_1) | instid1(VALU_DEP_2)
	v_pk_add_f32 v[6:7], v[12:13], v[4:5]
	v_dual_mov_b32 v8, v13 :: v_dual_mov_b32 v3, v13
	v_dual_mov_b32 v9, v7 :: v_dual_mov_b32 v5, v6
	v_mov_b32_e32 v14, v7
	s_delay_alu instid0(VALU_DEP_2) | instskip(NEXT) | instid1(VALU_DEP_1)
	v_pk_add_f32 v[8:9], v[8:9], v[10:11] neg_lo:[0,1] neg_hi:[0,1]
	v_pk_add_f32 v[2:3], v[2:3], v[8:9] neg_lo:[0,1] neg_hi:[0,1]
	s_delay_alu instid0(VALU_DEP_1) | instskip(NEXT) | instid1(VALU_DEP_1)
	v_add_f32_e32 v1, v1, v2
	v_add_f32_e32 v13, v1, v3
	s_delay_alu instid0(VALU_DEP_1) | instskip(SKIP_1) | instid1(VALU_DEP_2)
	v_pk_add_f32 v[2:3], v[6:7], v[12:13]
	v_pk_add_f32 v[8:9], v[6:7], v[12:13] neg_lo:[0,1] neg_hi:[0,1]
	v_mov_b32_e32 v9, v3
	s_delay_alu instid0(VALU_DEP_1) | instskip(SKIP_2) | instid1(VALU_DEP_3)
	v_pk_add_f32 v[10:11], v[4:5], v[8:9]
	v_pk_add_f32 v[4:5], v[4:5], v[8:9] neg_lo:[0,1] neg_hi:[0,1]
	v_dual_mov_b32 v16, v3 :: v_dual_mov_b32 v5, v6
	v_dual_mov_b32 v12, v11 :: v_dual_mov_b32 v17, v11
	s_delay_alu instid0(VALU_DEP_3) | instskip(NEXT) | instid1(VALU_DEP_2)
	v_readfirstlane_b32 s6, v4
	v_pk_add_f32 v[8:9], v[12:13], v[6:7] neg_lo:[0,1] neg_hi:[0,1]
	s_delay_alu instid0(VALU_DEP_2) | instskip(NEXT) | instid1(VALU_DEP_2)
	v_dual_mov_b32 v4, v13 :: v_dual_mov_b32 v10, s6
	v_dual_mov_b32 v15, v8 :: v_dual_mov_b32 v1, v8
	s_delay_alu instid0(VALU_DEP_1) | instskip(NEXT) | instid1(VALU_DEP_2)
	v_pk_add_f32 v[6:7], v[16:17], v[14:15] neg_lo:[0,1] neg_hi:[0,1]
	v_pk_add_f32 v[2:3], v[2:3], v[0:1] neg_lo:[0,1] neg_hi:[0,1]
	v_mov_b32_e32 v2, s6
	s_delay_alu instid0(VALU_DEP_3) | instskip(NEXT) | instid1(VALU_DEP_1)
	v_pk_add_f32 v[4:5], v[4:5], v[6:7] neg_lo:[0,1] neg_hi:[0,1]
	v_pk_add_f32 v[2:3], v[2:3], v[4:5]
	s_delay_alu instid0(VALU_DEP_1) | instskip(NEXT) | instid1(VALU_DEP_2)
	v_readfirstlane_b32 s7, v2
	v_mov_b32_e32 v6, v3
	s_delay_alu instid0(VALU_DEP_1) | instskip(NEXT) | instid1(VALU_DEP_3)
	v_pk_add_f32 v[6:7], v[2:3], v[6:7]
	v_mov_b32_e32 v2, s7
	s_delay_alu instid0(VALU_DEP_2) | instskip(SKIP_1) | instid1(VALU_DEP_2)
	v_pk_add_f32 v[8:9], v[12:13], v[6:7]
	v_mov_b32_e32 v5, v6
	v_readfirstlane_b32 s8, v8
	s_delay_alu instid0(VALU_DEP_1) | instskip(NEXT) | instid1(VALU_DEP_1)
	v_mov_b32_e32 v3, s8
	v_pk_add_f32 v[2:3], v[2:3], v[10:11] neg_lo:[0,1] neg_hi:[0,1]
	s_delay_alu instid0(VALU_DEP_1) | instskip(NEXT) | instid1(VALU_DEP_2)
	v_readfirstlane_b32 s9, v2
	v_pk_add_f32 v[2:3], v[4:5], v[2:3] neg_lo:[0,1] neg_hi:[0,1]
	s_sub_f32 s7, s7, s9
	s_delay_alu instid0(VALU_DEP_1) | instskip(NEXT) | instid1(SALU_CYCLE_2)
	v_readfirstlane_b32 s9, v2
	s_sub_f32 s6, s6, s7
	v_readfirstlane_b32 s7, v3
	s_delay_alu instid0(SALU_CYCLE_2) | instskip(NEXT) | instid1(SALU_CYCLE_3)
	s_add_f32 s6, s9, s6
	s_add_f32 s6, s6, s7
	s_delay_alu instid0(SALU_CYCLE_3) | instskip(NEXT) | instid1(SALU_CYCLE_3)
	s_add_f32 s7, s8, s6
	s_mul_f32 s9, s3, s7
	s_sub_f32 s8, s7, s8
	s_delay_alu instid0(SALU_CYCLE_2) | instskip(NEXT) | instid1(SALU_CYCLE_2)
	s_xor_b32 s10, s9, 0x80000000
	s_sub_f32 s6, s6, s8
	s_fmac_f32 s10, s3, s7
	s_delay_alu instid0(SALU_CYCLE_3) | instskip(SKIP_1) | instid1(SALU_CYCLE_2)
	s_fmac_f32 s10, s3, s6
	v_cmp_class_f32_e64 s6, s9, 0x204
	s_add_f32 s7, s9, s10
	s_and_b32 s6, s6, exec_lo
	s_delay_alu instid0(SALU_CYCLE_2) | instskip(SKIP_1) | instid1(SALU_CYCLE_1)
	s_sub_f32 s6, s7, s9
	s_cselect_b32 s7, s9, s7
	s_and_b32 s8, s7, 0x7fffffff
	s_delay_alu instid0(SALU_CYCLE_1) | instskip(SKIP_1) | instid1(SALU_CYCLE_2)
	s_sub_f32 s6, s10, s6
	s_cmp_neq_f32 s8, 0x7f800000
	s_cselect_b32 s6, s6, 0
	s_cmp_eq_f32 s7, 0x42b17218
	s_cselect_b32 s8, 0x37000000, 0
	s_delay_alu instid0(SALU_CYCLE_1) | instskip(SKIP_1) | instid1(SALU_CYCLE_2)
	s_sub_f32 s7, s7, s8
	s_add_f32 s6, s8, s6
	s_mul_f32 s9, s7, 0x3fb8aa3b
	s_delay_alu instid0(SALU_CYCLE_3) | instskip(SKIP_3) | instid1(SALU_CYCLE_1)
	s_xor_b32 s10, s9, 0x80000000
	s_rndne_f32 s11, s9
	s_fmamk_f32 s10, s7, 0x3fb8aa3b, s10
	s_cmp_nlt_f32 s7, 0xc2ce8ed0
	s_sub_f32 s9, s9, s11
	s_delay_alu instid0(SALU_CYCLE_1)
	s_fmamk_f32 s10, s7, 0x32a5705f, s10
	s_cselect_b32 vcc_lo, -1, 0
	s_cmp_ngt_f32 s7, 0x42b17218
	s_trunc_f32 s7, s3
	s_add_f32 s9, s9, s10
	s_cvt_i32_f32 s10, s11
	s_delay_alu instid0(SALU_CYCLE_2)
	v_s_exp_f32 s9, s9
	v_nop
	s_delay_alu instid0(TRANS32_DEP_1) | instid1(SALU_CYCLE_1)
	v_ldexp_f32 v1, s9, s10
	s_mul_f32 s9, s3, 0.5
	s_delay_alu instid0(VALU_DEP_1) | instskip(SKIP_3) | instid1(VALU_DEP_1)
	v_cndmask_b32_e32 v1, 0, v1, vcc_lo
	s_cselect_b32 vcc_lo, -1, 0
	s_cmp_eq_f32 s7, s3
	s_trunc_f32 s10, s9
	v_cndmask_b32_e32 v1, 0x7f800000, v1, vcc_lo
	s_cselect_b32 s11, -1, 0
	s_delay_alu instid0(SALU_CYCLE_1) | instskip(NEXT) | instid1(VALU_DEP_1)
	s_cmp_neq_f32 s10, s9
	v_fma_f32 v2, s6, v1, v1
	v_cmp_class_f32_e64 vcc_lo, v1, 0x204
	s_cselect_b32 s8, -1, 0
	s_delay_alu instid0(SALU_CYCLE_1)
	s_and_b32 s6, s11, s8
	v_cndmask_b32_e32 v1, v2, v1, vcc_lo
	s_and_b32 s8, s6, exec_lo
	s_cselect_b32 s8, s2, 1.0
	s_cmp_eq_f32 s7, s3
	v_cmp_class_f32_e64 s7, s2, 0x204
	v_bfi_b32 v1, 0x7fffffff, v1, s8
	s_cselect_b32 vcc_lo, -1, 0
	s_cmp_lt_f32 s2, 0
	s_delay_alu instid0(VALU_DEP_1) | instskip(SKIP_2) | instid1(VALU_DEP_1)
	v_cndmask_b32_e32 v2, 0x7fc00000, v1, vcc_lo
	s_cselect_b32 vcc_lo, -1, 0
	s_cmp_eq_f32 s2, 0
	v_cndmask_b32_e32 v1, v1, v2, vcc_lo
	s_cselect_b32 s8, -1, 0
	s_delay_alu instid0(SALU_CYCLE_1) | instskip(SKIP_2) | instid1(SALU_CYCLE_1)
	s_or_b32 vcc_lo, s8, s7
	s_cmp_lt_f32 s3, 0
	s_cselect_b32 s3, -1, 0
	s_xor_b32 s3, s3, s8
	s_delay_alu instid0(SALU_CYCLE_1)
	s_and_b32 s3, s3, exec_lo
	s_cselect_b32 s3, 0, 0x7f800000
	s_and_b32 s6, s6, exec_lo
	s_cselect_b32 s6, s2, 0
	s_cmp_o_f32 s2, s2
	v_mov_b32_e32 v2, s6
	s_delay_alu instid0(VALU_DEP_1) | instskip(NEXT) | instid1(VALU_DEP_1)
	v_bfi_b32 v2, 0x7fffffff, s3, v2
	v_cndmask_b32_e32 v1, v1, v2, vcc_lo
	s_cselect_b32 vcc_lo, -1, 0
	s_delay_alu instid0(VALU_DEP_1)
	v_cndmask_b32_e32 v171, 0x7fc00000, v1, vcc_lo
.LBB27_2:
	s_load_b512 s[8:23], s[0:1], 0x0
	s_bfe_u32 s2, ttmp6, 0x4000c
	v_bfe_u32 v163, v0, 10, 10
	s_add_co_i32 s2, s2, 1
	s_and_b32 s3, ttmp6, 15
	s_mul_i32 s2, ttmp9, s2
	v_and_b32_e32 v165, 0x3ff, v0
	s_add_co_i32 s3, s3, s2
	v_cmp_eq_u32_e64 s2, 0, v163
	v_mbcnt_lo_u32_b32 v170, -1, 0
	s_cmp_eq_u32 s52, 0
	s_mov_b32 s49, s43
	s_mov_b32 s41, s43
	;; [unrolled: 1-line block ×3, first 2 shown]
	s_cselect_b32 s33, ttmp9, s3
	s_and_saveexec_b32 s26, s2
	s_cbranch_execz .LBB27_11
; %bb.3:
	s_load_b96 s[56:58], s[0:1], 0x70
	s_mov_b32 s25, s24
	v_xor_b32_e32 v7, 2, v170
	s_wait_kmcnt 0x0
	s_mul_i32 s3, s30, s58
	s_mul_i32 s6, s56, s33
	;; [unrolled: 1-line block ×3, first 2 shown]
	s_add_co_i32 s3, s3, s6
	s_delay_alu instid0(SALU_CYCLE_1) | instskip(NEXT) | instid1(SALU_CYCLE_1)
	s_add_co_i32 s6, s3, s7
	s_ashr_i32 s7, s6, 31
	s_delay_alu instid0(SALU_CYCLE_1)
	s_add_nc_u64 s[6:7], s[8:9], s[6:7]
	s_mov_b32 s8, exec_lo
	global_load_b128 v[0:3], v165, s[6:7] scale_offset
	s_wait_loadcnt 0x0
	v_dual_mov_b32 v4, v3 :: v_dual_mov_b32 v5, v1
	v_dual_mul_f32 v10, s24, v0 :: v_dual_bitop2_b32 v1, 4, v170 bitop3:0x14
	v_mul_f32_e32 v11, s24, v2
	s_delay_alu instid0(VALU_DEP_3) | instskip(NEXT) | instid1(VALU_DEP_3)
	v_pk_mul_f32 v[4:5], s[4:5], v[4:5] op_sel_hi:[0,1]
	v_cmp_gt_i32_e32 vcc_lo, 32, v1
	s_delay_alu instid0(VALU_DEP_2) | instskip(SKIP_2) | instid1(VALU_DEP_2)
	v_max_num_f32_e64 v3, |v10|, |v5|
	v_cndmask_b32_e32 v1, v170, v1, vcc_lo
	v_cmp_gt_i32_e32 vcc_lo, 32, v7
	v_dual_fma_f32 v0, s24, v0, v5 :: v_dual_lshlrev_b32 v6, 2, v1
	s_delay_alu instid0(VALU_DEP_4) | instskip(NEXT) | instid1(VALU_DEP_2)
	v_max3_num_f32 v1, v3, |v11|, |v4|
	v_dual_cndmask_b32 v7, v170, v7 :: v_dual_fmac_f32 v0, s24, v2
	ds_bpermute_b32 v3, v6, v1
	v_dual_lshlrev_b32 v8, 2, v7 :: v_dual_bitop2_b32 v7, 1, v170 bitop3:0x14
	v_add_f32_e32 v0, v0, v4
	s_delay_alu instid0(VALU_DEP_2) | instskip(SKIP_2) | instid1(VALU_DEP_1)
	v_cmp_gt_i32_e32 vcc_lo, 32, v7
	ds_bpermute_b32 v2, v6, v0
	v_cndmask_b32_e32 v7, v170, v7, vcc_lo
	v_lshlrev_b32_e32 v7, 2, v7
	s_wait_dscnt 0x1
	v_max_num_f32_e32 v3, v3, v3
	s_wait_dscnt 0x0
	s_delay_alu instid0(VALU_DEP_1) | instskip(SKIP_4) | instid1(VALU_DEP_1)
	v_dual_max_num_f32 v1, v1, v3 :: v_dual_add_f32 v0, v0, v2
	ds_bpermute_b32 v3, v8, v1
	ds_bpermute_b32 v2, v8, v0
	s_wait_dscnt 0x1
	v_max_num_f32_e32 v3, v3, v3
	v_max_num_f32_e32 v1, v1, v3
	ds_bpermute_b32 v3, v7, v1
	s_wait_dscnt 0x0
	v_max_num_f32_e32 v3, v3, v3
	s_delay_alu instid0(VALU_DEP_1) | instskip(NEXT) | instid1(VALU_DEP_1)
	v_max_num_f32_e32 v3, v1, v3
	v_div_scale_f32 v9, null, 0x42fe0000, 0x42fe0000, v3
	s_delay_alu instid0(VALU_DEP_1) | instskip(SKIP_1) | instid1(TRANS32_DEP_1)
	v_rcp_f32_e32 v12, v9
	v_nop
	v_fma_f32 v1, -v9, v12, 1.0
	s_delay_alu instid0(VALU_DEP_1) | instskip(SKIP_1) | instid1(VALU_DEP_1)
	v_fmac_f32_e32 v12, v1, v12
	v_div_scale_f32 v13, vcc_lo, v3, 0x42fe0000, v3
	v_mul_f32_e32 v14, v13, v12
	s_delay_alu instid0(VALU_DEP_1) | instskip(NEXT) | instid1(VALU_DEP_1)
	v_fma_f32 v1, -v9, v14, v13
	v_dual_fmac_f32 v14, v1, v12 :: v_dual_add_f32 v1, v0, v2
	s_delay_alu instid0(VALU_DEP_1) | instskip(SKIP_2) | instid1(VALU_DEP_1)
	v_fma_f32 v0, -v9, v14, v13
	ds_bpermute_b32 v9, v7, v1
	v_div_fmas_f32 v0, v0, v12, v14
	v_div_fixup_f32 v0, v0, 0x42fe0000, v3
	v_dual_mov_b32 v3, 0 :: v_dual_lshlrev_b32 v2, 4, v165
	s_delay_alu instid0(VALU_DEP_1) | instskip(NEXT) | instid1(VALU_DEP_3)
	v_mov_b32_e32 v12, v3
	v_cmpx_neq_f32_e32 0, v0
	s_cbranch_execz .LBB27_5
; %bb.4:
	v_div_scale_f32 v12, null, v0, v0, v10
	v_div_scale_f32 v13, null, v0, v0, v4
	;; [unrolled: 1-line block ×3, first 2 shown]
	s_delay_alu instid0(VALU_DEP_3) | instskip(NEXT) | instid1(VALU_DEP_2)
	v_rcp_f32_e32 v14, v12
	v_rcp_f32_e32 v16, v13
	v_div_scale_f32 v17, null, v0, v0, v11
	s_delay_alu instid0(VALU_DEP_2) | instskip(SKIP_1) | instid1(TRANS32_DEP_3)
	v_rcp_f32_e32 v20, v15
	v_div_scale_f32 v19, vcc_lo, v10, v0, v10
	v_fma_f32 v18, -v12, v14, 1.0
	s_delay_alu instid0(TRANS32_DEP_2) | instskip(SKIP_2) | instid1(VALU_DEP_2)
	v_fma_f32 v21, -v13, v16, 1.0
	v_rcp_f32_e32 v22, v17
	v_div_scale_f32 v26, s4, v5, v0, v5
	v_dual_fmac_f32 v14, v18, v14 :: v_dual_fmac_f32 v16, v21, v16
	v_div_scale_f32 v18, s3, v4, v0, v4
	v_fma_f32 v21, -v15, v20, 1.0
	s_delay_alu instid0(VALU_DEP_3) | instskip(NEXT) | instid1(TRANS32_DEP_1)
	v_mul_f32_e32 v24, v19, v14
	v_fma_f32 v23, -v17, v22, 1.0
	s_delay_alu instid0(VALU_DEP_4) | instskip(NEXT) | instid1(VALU_DEP_4)
	v_mul_f32_e32 v25, v18, v16
	v_fmac_f32_e32 v20, v21, v20
	s_delay_alu instid0(VALU_DEP_3) | instskip(NEXT) | instid1(VALU_DEP_3)
	v_dual_fma_f32 v21, -v12, v24, v19 :: v_dual_fmac_f32 v22, v23, v22
	v_fma_f32 v27, -v13, v25, v18
	v_div_scale_f32 v23, s5, v11, v0, v11
	s_delay_alu instid0(VALU_DEP_3) | instskip(NEXT) | instid1(VALU_DEP_1)
	v_dual_mul_f32 v28, v26, v20 :: v_dual_fmac_f32 v24, v21, v14
	v_dual_mul_f32 v21, v23, v22 :: v_dual_fma_f32 v12, -v12, v24, v19
	s_delay_alu instid0(VALU_DEP_4) | instskip(NEXT) | instid1(VALU_DEP_2)
	v_fmac_f32_e32 v25, v27, v16
	v_div_fmas_f32 v12, v12, v14, v24
	s_delay_alu instid0(VALU_DEP_2) | instskip(NEXT) | instid1(VALU_DEP_4)
	v_fma_f32 v13, -v13, v25, v18
	v_dual_fma_f32 v18, -v17, v21, v23 :: v_dual_fma_f32 v27, -v15, v28, v26
	s_mov_b32 vcc_lo, s3
	s_delay_alu instid0(VALU_DEP_3) | instskip(NEXT) | instid1(VALU_DEP_2)
	v_div_fixup_f32 v10, v12, v0, v10
	v_dual_fmac_f32 v21, v18, v22 :: v_dual_fmac_f32 v28, v27, v20
	v_div_fmas_f32 v13, v13, v16, v25
	s_mov_b32 vcc_lo, s4
	s_delay_alu instid0(VALU_DEP_2) | instskip(NEXT) | instid1(VALU_DEP_2)
	v_dual_fma_f32 v14, -v15, v28, v26 :: v_dual_fma_f32 v15, -v17, v21, v23
	v_div_fixup_f32 v4, v13, v0, v4
	v_trunc_f32_e32 v17, v10
	s_delay_alu instid0(VALU_DEP_3) | instskip(SKIP_1) | instid1(VALU_DEP_3)
	v_div_fmas_f32 v14, v14, v20, v28
	s_mov_b32 vcc_lo, s5
	v_trunc_f32_e32 v12, v4
	v_div_fmas_f32 v15, v15, v22, v21
	s_delay_alu instid0(VALU_DEP_3) | instskip(NEXT) | instid1(VALU_DEP_3)
	v_div_fixup_f32 v5, v14, v0, v5
	v_sub_f32_e32 v18, v4, v12
	s_delay_alu instid0(VALU_DEP_3) | instskip(NEXT) | instid1(VALU_DEP_3)
	v_div_fixup_f32 v11, v15, v0, v11
	v_trunc_f32_e32 v13, v5
	s_delay_alu instid0(VALU_DEP_2) | instskip(NEXT) | instid1(VALU_DEP_1)
	v_trunc_f32_e32 v14, v11
	v_dual_sub_f32 v16, v5, v13 :: v_dual_sub_f32 v15, v11, v14
	s_delay_alu instid0(VALU_DEP_1) | instskip(NEXT) | instid1(VALU_DEP_1)
	v_cmp_ge_f32_e64 s3, |v15|, 0.5
	v_cndmask_b32_e64 v15, 0, 1.0, s3
	s_delay_alu instid0(VALU_DEP_3) | instskip(NEXT) | instid1(VALU_DEP_2)
	v_cmp_ge_f32_e64 s3, |v16|, 0.5
	v_bfi_b32 v11, 0x7fffffff, v15, v11
	s_delay_alu instid0(VALU_DEP_2) | instskip(SKIP_2) | instid1(VALU_DEP_3)
	v_cndmask_b32_e64 v16, 0, 1.0, s3
	v_sub_f32_e32 v15, v10, v17
	v_cmp_ge_f32_e64 s3, |v18|, 0.5
	v_bfi_b32 v5, 0x7fffffff, v16, v5
	v_add_f32_e32 v11, v14, v11
	s_delay_alu instid0(VALU_DEP_3) | instskip(SKIP_1) | instid1(VALU_DEP_4)
	v_cndmask_b32_e64 v18, 0, 1.0, s3
	v_cmp_ge_f32_e64 s3, |v15|, 0.5
	v_add_f32_e32 v5, v13, v5
	s_delay_alu instid0(VALU_DEP_4) | instskip(NEXT) | instid1(VALU_DEP_4)
	v_cvt_i32_f32_e32 v11, v11
	v_bfi_b32 v4, 0x7fffffff, v18, v4
	s_delay_alu instid0(VALU_DEP_4) | instskip(NEXT) | instid1(VALU_DEP_4)
	v_cndmask_b32_e64 v14, 0, 1.0, s3
	v_cvt_i32_f32_e32 v5, v5
	s_delay_alu instid0(VALU_DEP_4) | instskip(NEXT) | instid1(VALU_DEP_3)
	v_and_b32_e32 v11, 0xff, v11
	v_bfi_b32 v10, 0x7fffffff, v14, v10
	v_add_f32_e32 v4, v12, v4
	s_delay_alu instid0(VALU_DEP_4) | instskip(NEXT) | instid1(VALU_DEP_3)
	v_and_b32_e32 v5, 0xff, v5
	v_dual_add_f32 v10, v17, v10 :: v_dual_lshlrev_b32 v11, 16, v11
	s_delay_alu instid0(VALU_DEP_3) | instskip(NEXT) | instid1(VALU_DEP_3)
	v_cvt_i32_f32_e32 v4, v4
	v_lshlrev_b32_e32 v5, 8, v5
	s_delay_alu instid0(VALU_DEP_3) | instskip(NEXT) | instid1(VALU_DEP_3)
	v_cvt_i32_f32_e32 v10, v10
	v_lshl_or_b32 v4, v4, 24, v11
	s_delay_alu instid0(VALU_DEP_2) | instskip(NEXT) | instid1(VALU_DEP_1)
	v_and_b32_e32 v10, 0xff, v10
	v_or3_b32 v12, v4, v5, v10
.LBB27_5:
	s_or_b32 exec_lo, exec_lo, s8
	v_dual_lshlrev_b32 v4, 2, v165 :: v_dual_bitop2_b32 v5, 7, v165 bitop3:0x40
	v_add_nc_u64_e32 v[2:3], s[6:7], v[2:3]
	s_delay_alu instid0(VALU_DEP_2)
	v_cmp_eq_u32_e64 s3, 0, v5
	ds_store_b32 v4, v12
	s_and_saveexec_b32 s4, s3
	s_cbranch_execz .LBB27_7
; %bb.6:
	s_wait_dscnt 0x1
	v_add_f32_e32 v1, v1, v9
	ds_store_b64 v165, v[0:1] offset:256
.LBB27_7:
	s_or_b32 exec_lo, exec_lo, s4
	global_load_b128 v[12:15], v[2:3], off offset:512
	v_mov_b64_e32 v[0:1], s[24:25]
	s_mov_b32 s7, exec_lo
	s_wait_loadcnt 0x0
	v_dual_mov_b32 v2, v15 :: v_dual_mov_b32 v3, v13
	s_wait_dscnt 0x1
	v_dual_mul_f32 v9, s24, v12 :: v_dual_mul_f32 v10, s24, v14
	s_delay_alu instid0(VALU_DEP_2) | instskip(NEXT) | instid1(VALU_DEP_1)
	v_pk_mul_f32 v[2:3], v[0:1], v[2:3]
	v_max_num_f32_e64 v0, |v9|, |v3|
	v_fma_f32 v5, s24, v12, v3
	s_delay_alu instid0(VALU_DEP_2) | instskip(NEXT) | instid1(VALU_DEP_2)
	v_max3_num_f32 v0, v0, |v10|, |v2|
	v_fmac_f32_e32 v5, s24, v14
	ds_bpermute_b32 v1, v6, v0
	s_wait_dscnt 0x0
	v_max_num_f32_e32 v1, v1, v1
	s_delay_alu instid0(VALU_DEP_1) | instskip(SKIP_3) | instid1(VALU_DEP_1)
	v_max_num_f32_e32 v0, v0, v1
	ds_bpermute_b32 v1, v8, v0
	s_wait_dscnt 0x0
	v_max_num_f32_e32 v1, v1, v1
	v_max_num_f32_e32 v0, v0, v1
	ds_bpermute_b32 v1, v7, v0
	s_wait_dscnt 0x0
	v_max_num_f32_e32 v1, v1, v1
	s_delay_alu instid0(VALU_DEP_1) | instskip(SKIP_2) | instid1(VALU_DEP_1)
	v_dual_add_f32 v5, v5, v2 :: v_dual_max_num_f32 v0, v0, v1
	ds_bpermute_b32 v6, v6, v5
	v_div_scale_f32 v11, null, 0x42fe0000, 0x42fe0000, v0
	v_rcp_f32_e32 v12, v11
	s_wait_dscnt 0x0
	v_add_f32_e32 v1, v5, v6
	s_delay_alu instid0(TRANS32_DEP_1) | instskip(NEXT) | instid1(VALU_DEP_1)
	v_fma_f32 v5, -v11, v12, 1.0
	v_fmac_f32_e32 v12, v5, v12
	ds_bpermute_b32 v6, v8, v1
	v_div_scale_f32 v8, vcc_lo, v0, 0x42fe0000, v0
	s_delay_alu instid0(VALU_DEP_1) | instskip(SKIP_1) | instid1(VALU_DEP_1)
	v_mul_f32_e32 v13, v8, v12
	s_wait_dscnt 0x0
	v_dual_fma_f32 v5, -v11, v13, v8 :: v_dual_add_f32 v1, v1, v6
	s_delay_alu instid0(VALU_DEP_1) | instskip(SKIP_2) | instid1(VALU_DEP_1)
	v_fmac_f32_e32 v13, v5, v12
	ds_bpermute_b32 v5, v7, v1
	v_fma_f32 v6, -v11, v13, v8
	v_div_fmas_f32 v6, v6, v12, v13
	s_delay_alu instid0(VALU_DEP_1) | instskip(SKIP_1) | instid1(VALU_DEP_2)
	v_div_fixup_f32 v0, v6, 0x42fe0000, v0
	v_mov_b32_e32 v6, 0
	v_cmpx_neq_f32_e32 0, v0
	s_cbranch_execz .LBB27_9
; %bb.8:
	v_div_scale_f32 v6, null, v0, v0, v9
	v_div_scale_f32 v7, null, v0, v0, v2
	v_div_scale_f32 v13, null, v0, v0, v10
	s_delay_alu instid0(VALU_DEP_3) | instskip(NEXT) | instid1(VALU_DEP_2)
	v_rcp_f32_e32 v8, v6
	v_rcp_f32_e32 v12, v7
	v_div_scale_f32 v11, null, v0, v0, v3
	s_delay_alu instid0(VALU_DEP_2) | instskip(SKIP_1) | instid1(TRANS32_DEP_3)
	v_rcp_f32_e32 v18, v13
	v_div_scale_f32 v15, vcc_lo, v9, v0, v9
	v_fma_f32 v14, -v6, v8, 1.0
	s_delay_alu instid0(TRANS32_DEP_2) | instskip(SKIP_2) | instid1(VALU_DEP_3)
	v_fma_f32 v17, -v7, v12, 1.0
	v_rcp_f32_e32 v16, v11
	v_div_scale_f32 v22, s5, v3, v0, v3
	v_fmac_f32_e32 v8, v14, v8
	v_div_scale_f32 v14, s4, v2, v0, v2
	v_fma_f32 v19, -v13, v18, 1.0
	v_fmac_f32_e32 v12, v17, v12
	s_delay_alu instid0(TRANS32_DEP_1) | instskip(NEXT) | instid1(VALU_DEP_3)
	v_fma_f32 v17, -v11, v16, 1.0
	v_fmac_f32_e32 v18, v19, v18
	v_div_scale_f32 v19, s6, v10, v0, v10
	s_delay_alu instid0(VALU_DEP_4) | instskip(NEXT) | instid1(VALU_DEP_1)
	v_mul_f32_e32 v21, v14, v12
	v_dual_fmac_f32 v16, v17, v16 :: v_dual_fma_f32 v23, -v7, v21, v14
	v_mul_f32_e32 v20, v15, v8
	s_delay_alu instid0(VALU_DEP_1) | instskip(NEXT) | instid1(VALU_DEP_1)
	v_fma_f32 v17, -v6, v20, v15
	v_dual_fmac_f32 v20, v17, v8 :: v_dual_mul_f32 v17, v19, v18
	s_delay_alu instid0(VALU_DEP_4) | instskip(NEXT) | instid1(VALU_DEP_1)
	v_fmac_f32_e32 v21, v23, v12
	v_fma_f32 v7, -v7, v21, v14
	s_delay_alu instid0(VALU_DEP_3) | instskip(NEXT) | instid1(VALU_DEP_1)
	v_fma_f32 v14, -v13, v17, v19
	v_fmac_f32_e32 v17, v14, v18
	v_mul_f32_e32 v24, v22, v16
	v_fma_f32 v6, -v6, v20, v15
	s_delay_alu instid0(VALU_DEP_2) | instskip(NEXT) | instid1(VALU_DEP_2)
	v_fma_f32 v23, -v11, v24, v22
	v_div_fmas_f32 v6, v6, v8, v20
	s_mov_b32 vcc_lo, s4
	v_div_fmas_f32 v7, v7, v12, v21
	s_mov_b32 vcc_lo, s5
	s_delay_alu instid0(VALU_DEP_2) | instskip(SKIP_1) | instid1(VALU_DEP_3)
	v_div_fixup_f32 v6, v6, v0, v9
	v_fmac_f32_e32 v24, v23, v16
	v_div_fixup_f32 v2, v7, v0, v2
	s_delay_alu instid0(VALU_DEP_2) | instskip(NEXT) | instid1(VALU_DEP_2)
	v_dual_fma_f32 v8, -v11, v24, v22 :: v_dual_fma_f32 v11, -v13, v17, v19
	v_trunc_f32_e32 v9, v2
	v_trunc_f32_e32 v13, v6
	s_delay_alu instid0(VALU_DEP_3) | instskip(SKIP_1) | instid1(VALU_DEP_3)
	v_div_fmas_f32 v8, v8, v16, v24
	s_mov_b32 vcc_lo, s6
	v_sub_f32_e32 v14, v2, v9
	v_div_fmas_f32 v11, v11, v18, v17
	s_delay_alu instid0(VALU_DEP_3) | instskip(NEXT) | instid1(VALU_DEP_2)
	v_div_fixup_f32 v3, v8, v0, v3
	v_div_fixup_f32 v10, v11, v0, v10
	s_delay_alu instid0(VALU_DEP_2) | instskip(NEXT) | instid1(VALU_DEP_2)
	v_trunc_f32_e32 v7, v3
	v_trunc_f32_e32 v8, v10
	s_delay_alu instid0(VALU_DEP_1) | instskip(NEXT) | instid1(VALU_DEP_1)
	v_dual_sub_f32 v12, v3, v7 :: v_dual_sub_f32 v11, v10, v8
	v_cmp_ge_f32_e64 s4, |v11|, 0.5
	s_delay_alu instid0(VALU_DEP_1) | instskip(NEXT) | instid1(VALU_DEP_3)
	v_cndmask_b32_e64 v11, 0, 1.0, s4
	v_cmp_ge_f32_e64 s4, |v12|, 0.5
	s_delay_alu instid0(VALU_DEP_2) | instskip(NEXT) | instid1(VALU_DEP_2)
	v_bfi_b32 v10, 0x7fffffff, v11, v10
	v_cndmask_b32_e64 v12, 0, 1.0, s4
	v_sub_f32_e32 v11, v6, v13
	v_cmp_ge_f32_e64 s4, |v14|, 0.5
	s_delay_alu instid0(VALU_DEP_3) | instskip(SKIP_1) | instid1(VALU_DEP_3)
	v_bfi_b32 v3, 0x7fffffff, v12, v3
	v_add_f32_e32 v8, v8, v10
	v_cndmask_b32_e64 v14, 0, 1.0, s4
	v_cmp_ge_f32_e64 s4, |v11|, 0.5
	s_delay_alu instid0(VALU_DEP_4) | instskip(NEXT) | instid1(VALU_DEP_4)
	v_add_f32_e32 v3, v7, v3
	v_cvt_i32_f32_e32 v7, v8
	s_delay_alu instid0(VALU_DEP_4) | instskip(NEXT) | instid1(VALU_DEP_4)
	v_bfi_b32 v2, 0x7fffffff, v14, v2
	v_cndmask_b32_e64 v10, 0, 1.0, s4
	s_delay_alu instid0(VALU_DEP_4) | instskip(NEXT) | instid1(VALU_DEP_4)
	v_cvt_i32_f32_e32 v3, v3
	v_and_b32_e32 v7, 0xff, v7
	s_delay_alu instid0(VALU_DEP_4) | instskip(NEXT) | instid1(VALU_DEP_4)
	v_add_f32_e32 v2, v9, v2
	v_bfi_b32 v6, 0x7fffffff, v10, v6
	s_delay_alu instid0(VALU_DEP_4) | instskip(NEXT) | instid1(VALU_DEP_4)
	v_and_b32_e32 v3, 0xff, v3
	v_lshlrev_b32_e32 v7, 16, v7
	s_delay_alu instid0(VALU_DEP_4) | instskip(NEXT) | instid1(VALU_DEP_3)
	v_cvt_i32_f32_e32 v2, v2
	v_dual_add_f32 v6, v13, v6 :: v_dual_lshlrev_b32 v3, 8, v3
	s_delay_alu instid0(VALU_DEP_2) | instskip(NEXT) | instid1(VALU_DEP_2)
	v_lshl_or_b32 v2, v2, 24, v7
	v_cvt_i32_f32_e32 v6, v6
	s_delay_alu instid0(VALU_DEP_1) | instskip(NEXT) | instid1(VALU_DEP_1)
	v_and_b32_e32 v6, 0xff, v6
	v_or3_b32 v6, v2, v3, v6
.LBB27_9:
	s_or_b32 exec_lo, exec_lo, s7
	ds_store_b32 v4, v6 offset:128
	s_and_b32 exec_lo, exec_lo, s3
	s_cbranch_execz .LBB27_11
; %bb.10:
	s_wait_dscnt 0x1
	v_add_f32_e32 v1, v1, v5
	ds_store_b64 v165, v[0:1] offset:288
.LBB27_11:
	s_or_b32 exec_lo, exec_lo, s26
	v_dual_mov_b32 v176, 0 :: v_dual_bitop2_b32 v17, 1, v165 bitop3:0x40
	s_wait_dscnt 0x0
	s_barrier_signal -1
	s_barrier_wait -1
	s_delay_alu instid0(VALU_DEP_1)
	v_lshlrev_b32_e32 v32, 2, v17
	s_ashr_i32 s35, s34, 31
	s_ashr_i32 s3, s31, 31
	;; [unrolled: 1-line block ×3, first 2 shown]
	ds_load_2addr_b32 v[34:35], v32 offset1:2
	ds_load_2addr_b32 v[36:37], v32 offset0:4 offset1:6
	ds_load_2addr_b32 v[38:39], v32 offset0:8 offset1:10
	;; [unrolled: 1-line block ×3, first 2 shown]
	ds_load_b128 v[0:3], v176 offset:256
	ds_load_b128 v[4:7], v176 offset:272
	;; [unrolled: 1-line block ×4, first 2 shown]
	ds_load_2addr_b32 v[42:43], v32 offset0:16 offset1:18
	ds_load_2addr_b32 v[44:45], v32 offset0:20 offset1:22
	ds_load_2addr_b32 v[46:47], v32 offset0:24 offset1:26
	ds_load_2addr_b32 v[48:49], v32 offset0:28 offset1:30
	ds_load_2addr_b32 v[50:51], v32 offset0:32 offset1:34
	ds_load_2addr_b32 v[52:53], v32 offset0:36 offset1:38
	ds_load_2addr_b32 v[54:55], v32 offset0:40 offset1:42
	ds_load_2addr_b32 v[56:57], v32 offset0:44 offset1:46
	ds_load_2addr_b32 v[58:59], v32 offset0:48 offset1:50
	ds_load_2addr_b32 v[60:61], v32 offset0:52 offset1:54
	ds_load_2addr_b32 v[62:63], v32 offset0:56 offset1:58
	ds_load_2addr_b32 v[64:65], v32 offset0:60 offset1:62
	s_mul_u64 s[24:25], s[42:43], s[48:49]
	s_mul_u64 s[46:47], s[40:41], s[46:47]
	s_wait_kmcnt 0x0
	s_cmp_eq_u64 s[18:19], 0
	s_wait_dscnt 0x0
	s_barrier_signal -1
	s_barrier_wait -1
	s_cbranch_scc1 .LBB27_13
; %bb.12:
	s_load_b32 s4, s[0:1], 0xd0
	s_wait_kmcnt 0x0
	s_mul_i32 s4, s4, s30
	s_delay_alu instid0(SALU_CYCLE_1)
	s_add_co_i32 s4, s4, s33
	s_load_b32 s36, s[18:19], s4 offset:0x0 scale_offset
.LBB27_13:
	v_lshlrev_b32_e32 v16, 5, v163
	s_wait_xcnt 0x0
	s_bfe_u32 s4, ttmp6, 0x40010
	s_and_b32 s5, ttmp7, 0xffff
	s_add_co_i32 s4, s4, 1
	s_bfe_u32 s6, ttmp6, 0x40004
	s_mul_i32 s4, s5, s4
	v_dual_add_nc_u32 v172, v16, v165 :: v_dual_lshlrev_b32 v174, 2, v165
	s_add_co_i32 s6, s6, s4
	s_cmp_eq_u32 s52, 0
	s_mov_b32 s9, 0
	s_cselect_b32 s37, s5, s6
	v_lshlrev_b32_e32 v173, 1, v172
	s_lshl_b32 s38, s37, 7
	s_wait_kmcnt 0x0
	s_cmp_ge_i32 s38, s36
	s_cbranch_scc1 .LBB27_29
; %bb.14:
	s_clause 0x1
	s_load_b128 s[4:7], s[0:1], 0x98
	s_load_b64 s[26:27], s[0:1], 0x8c
	v_dual_add_f32 v96, v11, v11 :: v_dual_bitop2_b32 v88, 12, v174 bitop3:0x40
	v_dual_mov_b32 v67, 0 :: v_dual_bitop2_b32 v19, 30, v170 bitop3:0x40
	s_xor_b32 s8, s35, s3
	v_and_b32_e32 v18, 0x7e, v165
	v_cmp_eq_u32_e64 s3, 0, v17
	v_dual_add_f32 v90, v15, v15 :: v_dual_bitop2_b32 v17, 4, v170 bitop3:0x14
	v_dual_lshlrev_b32 v175, 1, v16 :: v_dual_bitop2_b32 v20, 1, v170 bitop3:0x14
	v_dual_mov_b32 v15, v14 :: v_dual_bitop2_b32 v22, 8, v170 bitop3:0x14
	v_dual_mov_b32 v77, v67 :: v_dual_bitop2_b32 v178, 16, v32 bitop3:0x54
	v_dual_add_f32 v94, v13, v13 :: v_dual_bitop2_b32 v23, 16, v170 bitop3:0x14
	s_mul_i32 s43, s25, s51
	s_wait_kmcnt 0x0
	v_mul_lo_u32 v80, v16, s6
	v_xor_b32_e32 v21, 2, v170
	v_dual_add_nc_u32 v16, v16, v18 :: v_dual_add_nc_u32 v18, 2, v19
	s_sub_co_i32 s42, s42, s43
	s_add_co_i32 s18, s25, 1
	s_sub_co_i32 s43, s42, s51
	s_delay_alu instid0(VALU_DEP_1) | instskip(SKIP_3) | instid1(VALU_DEP_4)
	v_mul_lo_u32 v128, v16, s26
	s_cmp_ge_u32 s42, s51
	s_mul_i32 s41, s47, s50
	s_cselect_b32 s18, s18, s25
	v_add_nc_u32_e32 v86, s6, v80
	v_cmp_gt_i32_e32 vcc_lo, 32, v21
	s_cselect_b32 s25, s43, s42
	s_add_co_i32 s42, s18, 1
	s_cmp_ge_u32 s25, s51
	v_dual_mov_b32 v11, v10 :: v_dual_add_nc_u32 v92, s6, v86
	s_cselect_b32 s18, s42, s18
	s_mul_i32 s24, s45, s33
	s_clause 0x2
	s_load_b64 s[46:47], s[0:1], 0xa8
	s_load_b64 s[44:45], s[0:1], 0xc8
	s_load_b32 s48, s[0:1], 0xd4
	v_dual_add_f32 v1, v1, v1 :: v_dual_add_nc_u32 v98, s6, v92
	v_or_b32_e32 v177, 8, v32
	s_xor_b32 s18, s18, s8
	s_sub_co_i32 s25, s40, s41
	s_delay_alu instid0(VALU_DEP_2)
	v_add_nc_u32_e32 v100, s6, v98
	s_sub_co_i32 s8, s18, s8
	s_sub_co_i32 s49, s25, s50
	s_mul_i32 s40, s8, s27
	s_mul_i32 s42, s8, s7
	v_dual_mov_b32 v69, v67 :: v_dual_add_nc_u32 v102, s6, v100
	s_ashr_i32 s41, s40, 31
	s_ashr_i32 s43, s42, 31
	s_cmp_ge_u32 s25, s50
	s_delay_alu instid0(VALU_DEP_1) | instskip(SKIP_3) | instid1(VALU_DEP_2)
	v_dual_mov_b32 v75, v67 :: v_dual_add_nc_u32 v104, s6, v102
	v_mov_b32_e32 v79, v67
	s_cselect_b32 s7, s49, s25
	s_mul_u64 s[4:5], s[4:5], s[30:31]
	v_dual_cndmask_b32 v19, v170, v21 :: v_dual_add_nc_u32 v106, s6, v104
	v_cmp_gt_i32_e32 vcc_lo, 32, v17
	s_sub_co_i32 s8, s7, s50
	s_add_nc_u64 s[4:5], s[10:11], s[4:5]
	s_delay_alu instid0(VALU_DEP_2)
	v_add_nc_u32_e32 v108, s6, v106
	s_cmp_ge_u32 s7, s50
	v_cndmask_b32_e32 v17, v170, v17, vcc_lo
	v_cmp_gt_i32_e32 vcc_lo, 32, v22
	s_add_nc_u64 s[40:41], s[4:5], s[40:41]
	s_cselect_b32 s4, s8, s7
	s_wait_kmcnt 0x0
	s_mul_u64 s[46:47], s[46:47], s[30:31]
	s_xor_b32 s4, s4, s31
	v_cndmask_b32_e32 v21, v170, v22, vcc_lo
	v_cmp_gt_i32_e32 vcc_lo, 32, v23
	v_dual_mov_b32 v113, v67 :: v_dual_add_nc_u32 v110, s6, v108
	s_sub_co_i32 s4, s4, s31
	s_add_nc_u64 s[10:11], s[12:13], s[46:47]
	s_delay_alu instid0(VALU_DEP_1)
	v_dual_cndmask_b32 v22, v170, v23, vcc_lo :: v_dual_add_nc_u32 v114, s6, v110
	v_mov_b32_e32 v97, v96
	v_cmp_lt_i32_e32 vcc_lo, v20, v18
	v_lshlrev_b32_e32 v181, 2, v17
	s_ashr_i32 s5, s4, 31
	v_dual_add_nc_u32 v116, s6, v114 :: v_dual_lshlrev_b32 v180, 2, v19
	v_cndmask_b32_e32 v18, v170, v20, vcc_lo
	s_add_nc_u64 s[12:13], s[10:11], s[42:43]
	s_mul_u64 s[10:11], s[44:45], s[4:5]
	s_delay_alu instid0(VALU_DEP_2) | instskip(SKIP_2) | instid1(VALU_DEP_2)
	v_dual_add_nc_u32 v118, s6, v116 :: v_dual_lshlrev_b32 v182, 2, v21
	v_dual_mov_b32 v13, v12 :: v_dual_add_nc_u32 v24, 0x80, v174
	s_ashr_i32 s25, s24, 31
	v_add_nc_u32_e32 v120, s6, v118
	v_lshlrev_b32_e32 v184, 2, v18
	s_add_nc_u64 s[10:11], s[14:15], s[10:11]
	v_dual_lshrrev_b32 v162, 5, v24 :: v_dual_bitop2_b32 v189, 28, v174 bitop3:0x40
	s_delay_alu instid0(VALU_DEP_3)
	v_add_nc_u32_e32 v122, s6, v120
	s_lshl_b32 s8, s38, 1
	s_add_nc_u64 s[10:11], s[10:11], s[24:25]
	s_cmp_lg_u64 s[14:15], 0
	s_add_nc_u64 s[10:11], s[10:11], s[8:9]
	v_add_nc_u32_e32 v124, s6, v122
	s_mul_i32 s8, s6, s38
	v_bitop3_b32 v68, v32, 12, 24 bitop3:0xc8
	v_bitop3_b32 v70, v32, 12, 56 bitop3:0xc8
	;; [unrolled: 1-line block ×3, first 2 shown]
	v_add_nc_u32_e32 v126, s6, v124
	v_ashrrev_i32_e32 v129, 31, v128
	v_bitop3_b32 v74, v32, 12, 0x78 bitop3:0xc8
	v_bitop3_b32 v76, v32, 12, 0x98 bitop3:0xc8
	;; [unrolled: 1-line block ×3, first 2 shown]
	v_add_nc_u32_e32 v130, s6, v126
	v_bitop3_b32 v82, v32, 12, 0xd8 bitop3:0xc8
	v_bitop3_b32 v84, v32, 12, 0xf8 bitop3:0xc8
	v_dual_mov_b32 v33, v67 :: v_dual_bitop2_b32 v179, 24, v32 bitop3:0x54
	s_delay_alu instid0(VALU_DEP_4) | instskip(SKIP_1) | instid1(VALU_DEP_2)
	v_dual_mov_b32 v71, v67 :: v_dual_add_nc_u32 v132, s6, v130
	v_dual_mov_b32 v73, v67 :: v_dual_mov_b32 v83, v67
	v_dual_mov_b32 v85, v67 :: v_dual_add_nc_u32 v134, s6, v132
	v_dual_mov_b32 v89, v67 :: v_dual_add_nc_u32 v138, s26, v128
	v_dual_mov_b32 v91, v90 :: v_dual_bitop2_b32 v112, 12, v24 bitop3:0x40
	s_delay_alu instid0(VALU_DEP_3) | instskip(SKIP_2) | instid1(VALU_DEP_3)
	v_dual_mov_b32 v95, v94 :: v_dual_add_nc_u32 v136, s6, v134
	v_ashrrev_i32_e32 v87, 31, v86
	v_dual_lshlrev_b32 v183, 2, v22 :: v_dual_lshlrev_b32 v66, 1, v16
	v_dual_ashrrev_i32 v99, 31, v98 :: v_dual_add_nc_u32 v140, s6, v136
	v_dual_ashrrev_i32 v81, 31, v80 :: v_dual_ashrrev_i32 v139, 31, v138
	v_dual_ashrrev_i32 v105, 31, v104 :: v_dual_ashrrev_i32 v107, 31, v106
	s_delay_alu instid0(VALU_DEP_3) | instskip(SKIP_3) | instid1(VALU_DEP_4)
	v_add_nc_u32_e32 v142, s6, v140
	v_ashrrev_i32_e32 v93, 31, v92
	v_dual_ashrrev_i32 v109, 31, v108 :: v_dual_ashrrev_i32 v115, 31, v114
	v_ashrrev_i32_e32 v103, 31, v102
	v_add_nc_u32_e32 v144, s6, v142
	v_dual_ashrrev_i32 v119, 31, v118 :: v_dual_ashrrev_i32 v121, 31, v120
	v_dual_ashrrev_i32 v125, 31, v124 :: v_dual_ashrrev_i32 v127, 31, v126
	s_delay_alu instid0(VALU_DEP_3) | instskip(SKIP_2) | instid1(VALU_DEP_3)
	v_add_nc_u32_e32 v146, s6, v144
	v_dual_ashrrev_i32 v101, 31, v100 :: v_dual_ashrrev_i32 v131, 31, v130
	v_dual_ashrrev_i32 v133, 31, v132 :: v_dual_ashrrev_i32 v111, 31, v110
	v_add_nc_u32_e32 v148, s6, v146
	v_dual_ashrrev_i32 v135, 31, v134 :: v_dual_ashrrev_i32 v141, 31, v140
	v_dual_ashrrev_i32 v145, 31, v144 :: v_dual_ashrrev_i32 v147, 31, v146
	s_delay_alu instid0(VALU_DEP_3) | instskip(SKIP_2) | instid1(VALU_DEP_3)
	v_add_nc_u32_e32 v150, s6, v148
	v_ashrrev_i32_e32 v117, 31, v116
	v_dual_ashrrev_i32 v149, 31, v148 :: v_dual_add_f32 v3, v3, v3
	v_dual_add_f32 v5, v5, v5 :: v_dual_add_nc_u32 v152, s6, v150
	v_ashrrev_i32_e32 v123, 31, v122
	v_ashrrev_i32_e32 v151, 31, v150
	v_bitop3_b32 v185, v32, 28, 56 bitop3:0xc8
	v_ashrrev_i32_e32 v137, 31, v136
	v_add_nc_u32_e32 v154, s6, v152
	v_bitop3_b32 v186, v32, 28, 0x58 bitop3:0xc8
	v_dual_add_f32 v7, v7, v7 :: v_dual_add_f32 v9, v9, v9
	v_bitop3_b32 v187, v32, 28, 0x78 bitop3:0xc8
	s_delay_alu instid0(VALU_DEP_4)
	v_add_nc_u32_e32 v156, s6, v154
	v_ashrrev_i32_e32 v143, 31, v142
	v_ashrrev_i32_e32 v155, 31, v154
	v_bitop3_b32 v188, v32, 28, 0x98 bitop3:0xc8
	v_ashrrev_i32_e32 v153, 31, v152
	v_dual_add_nc_u32 v158, s6, v156 :: v_dual_ashrrev_i32 v157, 31, v156
	v_bitop3_b32 v190, v32, 28, 0xb8 bitop3:0xc8
	v_bitop3_b32 v191, v32, 28, 0xd8 bitop3:0xc8
	;; [unrolled: 1-line block ×3, first 2 shown]
	s_delay_alu instid0(VALU_DEP_4) | instskip(SKIP_2) | instid1(VALU_DEP_3)
	v_dual_add_nc_u32 v160, s6, v158 :: v_dual_ashrrev_i32 v159, 31, v158
	v_dual_mov_b32 v24, v67 :: v_dual_bitop2_b32 v193, 4, v165 bitop3:0x40
	v_dual_mov_b32 v22, v67 :: v_dual_bitop2_b32 v194, 1, v189 bitop3:0x54
	v_dual_ashrrev_i32 v161, 31, v160 :: v_dual_bitop2_b32 v195, 2, v189 bitop3:0x54
	v_dual_mov_b32 v176, v67 :: v_dual_bitop2_b32 v196, 3, v189 bitop3:0x54
	v_dual_mov_b32 v23, v67 :: v_dual_mov_b32 v26, 0xfeffffff
	v_mov_b32_e32 v25, v67
	v_bfe_u32 v164, v165, 3, 27
	s_cselect_b32 s27, -1, 0
	s_lshl_b32 s4, s48, 7
	s_add_nc_u64 s[12:13], s[12:13], s[8:9]
	s_mul_i32 s8, s26, s38
	s_mov_b32 s5, s9
	s_mov_b32 s19, s9
	s_mul_i32 s18, s4, s6
	s_add_nc_u64 s[14:15], s[40:41], s[8:9]
	s_mul_i32 s8, s4, s26
	s_mov_b32 s24, 0xbbbac73d
	s_lshl_b64 s[6:7], s[4:5], 1
.LBB27_15:                              ; =>This Inner Loop Header: Depth=1
	v_add_nc_u64_e32 v[16:17], s[14:15], v[128:129]
	s_delay_alu instid0(VALU_DEP_1)
	v_add_nc_u64_e32 v[20:21], v[16:17], v[32:33]
	s_clause 0x1
	global_load_b32 v18, v[20:21], off offset:6
	global_load_b32 v27, v[16:17], off offset:2
	s_wait_loadcnt 0x1
	v_and_b32_e32 v29, 0xf0f0f0f, v18
	s_wait_loadcnt 0x0
	v_dual_ashrrev_i32 v19, v32, v27 :: v_dual_lshrrev_b32 v18, 4, v18
	s_delay_alu instid0(VALU_DEP_1) | instskip(NEXT) | instid1(VALU_DEP_1)
	v_lshlrev_b32_e32 v28, 4, v19
	v_dual_lshlrev_b32 v30, 11, v19 :: v_dual_bitop2_b32 v28, 16, v28 bitop3:0x40
	v_dual_lshlrev_b32 v31, 18, v19 :: v_dual_lshlrev_b32 v19, 25, v19
	s_delay_alu instid0(VALU_DEP_2) | instskip(NEXT) | instid1(VALU_DEP_2)
	v_and_b32_e32 v30, 0x1000, v30
	v_and_b32_e32 v31, 0x100000, v31
	s_delay_alu instid0(VALU_DEP_3) | instskip(NEXT) | instid1(VALU_DEP_1)
	v_and_b32_e32 v19, 0x10000000, v19
	v_or3_b32 v19, v19, v29, v31
	global_load_b32 v29, v[20:21], off offset:14
	v_or3_b32 v19, v19, v28, v30
	global_load_u16 v28, v[16:17], off
	v_ashrrev_i32_e32 v30, v177, v27
	v_dot4_i32_iu8 v19, v19, v34, 0 neg_lo:[1,1,0]
	s_delay_alu instid0(VALU_DEP_2) | instskip(SKIP_1) | instid1(VALU_DEP_3)
	v_dual_lshlrev_b32 v167, 18, v30 :: v_dual_lshlrev_b32 v31, 4, v30
	v_lshlrev_b32_e32 v166, 11, v30
	v_cvt_f32_i32_e32 v19, v19
	v_lshlrev_b32_e32 v30, 25, v30
	s_delay_alu instid0(VALU_DEP_4) | instskip(SKIP_4) | instid1(VALU_DEP_1)
	v_and_b32_e32 v167, 0x100000, v167
	v_and_b32_e32 v31, 16, v31
	;; [unrolled: 1-line block ×3, first 2 shown]
	v_fma_f32 v19, v0, v19, -v1
	v_and_b32_e32 v30, 0x10000000, v30
	v_or3_b32 v30, v167, v30, v31
	s_wait_loadcnt 0x1
	v_and_b32_e32 v29, 0xf0f0f0f, v29
	s_wait_loadcnt 0x0
	v_fma_mix_f32 v19, v19, v28, 0 op_sel_hi:[0,1,0]
	s_delay_alu instid0(VALU_DEP_2) | instskip(NEXT) | instid1(VALU_DEP_1)
	v_or3_b32 v29, v30, v166, v29
	v_dot4_i32_iu8 v29, v29, v35, 0 neg_lo:[1,1,0]
	s_delay_alu instid0(VALU_DEP_1) | instskip(NEXT) | instid1(VALU_DEP_1)
	v_cvt_f32_i32_e32 v29, v29
	v_fma_f32 v29, v0, v29, -v1
	s_delay_alu instid0(VALU_DEP_1) | instskip(SKIP_2) | instid1(VALU_DEP_2)
	v_fma_mix_f32 v19, v29, v28, v19 op_sel_hi:[0,1,0]
	v_ashrrev_i32_e32 v29, v178, v27
	v_and_b32_e32 v18, 0xf0f0f0f, v18
	v_dual_lshlrev_b32 v30, 4, v29 :: v_dual_lshlrev_b32 v31, 11, v29
	v_dual_lshlrev_b32 v166, 18, v29 :: v_dual_lshlrev_b32 v29, 25, v29
	s_delay_alu instid0(VALU_DEP_2) | instskip(NEXT) | instid1(VALU_DEP_3)
	v_and_b32_e32 v30, 16, v30
	v_and_b32_e32 v31, 0x1000, v31
	s_delay_alu instid0(VALU_DEP_3) | instskip(NEXT) | instid1(VALU_DEP_4)
	v_and_b32_e32 v166, 0x100000, v166
	v_and_b32_e32 v29, 0x10000000, v29
	s_delay_alu instid0(VALU_DEP_1) | instskip(NEXT) | instid1(VALU_DEP_1)
	v_or3_b32 v18, v29, v18, v166
	v_or3_b32 v18, v18, v30, v31
	s_delay_alu instid0(VALU_DEP_1) | instskip(NEXT) | instid1(VALU_DEP_1)
	v_dot4_i32_iu8 v18, v18, v36, 0 neg_lo:[1,1,0]
	v_cvt_f32_i32_e32 v18, v18
	s_delay_alu instid0(VALU_DEP_1) | instskip(NEXT) | instid1(VALU_DEP_1)
	v_fma_f32 v18, v0, v18, -v1
	v_fma_mix_f32 v29, v18, v28, v19 op_sel_hi:[0,1,0]
	v_add_nc_u64_e32 v[18:19], v[16:17], v[68:69]
	global_load_b32 v18, v[18:19], off offset:6
	s_wait_xcnt 0x0
	v_ashrrev_i32_e32 v19, v179, v27
	s_delay_alu instid0(VALU_DEP_1) | instskip(SKIP_1) | instid1(VALU_DEP_2)
	v_dual_lshlrev_b32 v27, 4, v19 :: v_dual_lshlrev_b32 v30, 11, v19
	v_dual_lshlrev_b32 v31, 18, v19 :: v_dual_lshlrev_b32 v19, 25, v19
	v_and_b32_e32 v27, 16, v27
	s_delay_alu instid0(VALU_DEP_3) | instskip(NEXT) | instid1(VALU_DEP_3)
	v_and_b32_e32 v30, 0x1000, v30
	v_and_b32_e32 v31, 0x100000, v31
	s_delay_alu instid0(VALU_DEP_4) | instskip(NEXT) | instid1(VALU_DEP_1)
	v_and_b32_e32 v19, 0x10000000, v19
	v_or3_b32 v19, v31, v19, v27
	s_wait_loadcnt 0x0
	v_lshrrev_b32_e32 v18, 4, v18
	s_delay_alu instid0(VALU_DEP_1) | instskip(NEXT) | instid1(VALU_DEP_1)
	v_and_b32_e32 v18, 0xf0f0f0f, v18
	v_or3_b32 v18, v19, v30, v18
	s_clause 0x1
	global_load_b32 v19, v[20:21], off offset:28
	global_load_b32 v27, v[16:17], off offset:24
	v_dot4_i32_iu8 v18, v18, v37, 0 neg_lo:[1,1,0]
	s_delay_alu instid0(VALU_DEP_1) | instskip(NEXT) | instid1(VALU_DEP_1)
	v_cvt_f32_i32_e32 v18, v18
	v_fma_f32 v18, v0, v18, -v1
	s_delay_alu instid0(VALU_DEP_1) | instskip(SKIP_4) | instid1(VALU_DEP_1)
	v_fma_mix_f32 v18, v18, v28, v29 op_sel_hi:[0,1,0]
	s_wait_loadcnt 0x1
	v_and_b32_e32 v30, 0xf0f0f0f, v19
	s_wait_loadcnt 0x0
	v_ashrrev_i32_e32 v28, v32, v27
	v_lshlrev_b32_e32 v29, 4, v28
	s_delay_alu instid0(VALU_DEP_1) | instskip(SKIP_1) | instid1(VALU_DEP_2)
	v_dual_lshlrev_b32 v31, 11, v28 :: v_dual_bitop2_b32 v29, 16, v29 bitop3:0x40
	v_dual_lshlrev_b32 v166, 18, v28 :: v_dual_lshlrev_b32 v28, 25, v28
	v_and_b32_e32 v31, 0x1000, v31
	s_delay_alu instid0(VALU_DEP_2) | instskip(NEXT) | instid1(VALU_DEP_3)
	v_and_b32_e32 v166, 0x100000, v166
	v_and_b32_e32 v28, 0x10000000, v28
	s_delay_alu instid0(VALU_DEP_1) | instskip(SKIP_1) | instid1(VALU_DEP_2)
	v_or3_b32 v28, v28, v30, v166
	v_ashrrev_i32_e32 v30, v177, v27
	v_or3_b32 v28, v28, v29, v31
	global_load_u16 v29, v[16:17], off offset:22
	v_dual_lshlrev_b32 v31, 4, v30 :: v_dual_lshlrev_b32 v166, 11, v30
	v_lshlrev_b32_e32 v167, 18, v30
	v_dot4_i32_iu8 v28, v28, v38, 0 neg_lo:[1,1,0]
	s_delay_alu instid0(VALU_DEP_3) | instskip(NEXT) | instid1(VALU_DEP_4)
	v_dual_lshlrev_b32 v30, 25, v30 :: v_dual_bitop2_b32 v31, 16, v31 bitop3:0x40
	v_and_b32_e32 v166, 0x1000, v166
	s_delay_alu instid0(VALU_DEP_4) | instskip(NEXT) | instid1(VALU_DEP_4)
	v_and_b32_e32 v167, 0x100000, v167
	v_cvt_f32_i32_e32 v28, v28
	s_delay_alu instid0(VALU_DEP_4) | instskip(NEXT) | instid1(VALU_DEP_2)
	v_and_b32_e32 v30, 0x10000000, v30
	v_fma_f32 v28, v2, v28, -v3
	s_delay_alu instid0(VALU_DEP_2) | instskip(SKIP_1) | instid1(VALU_DEP_2)
	v_or3_b32 v30, v167, v30, v31
	s_wait_loadcnt 0x0
	v_fma_mix_f32 v18, v28, v29, v18 op_sel_hi:[0,1,0]
	global_load_b32 v28, v[20:21], off offset:36
	s_wait_loadcnt 0x0
	v_and_b32_e32 v28, 0xf0f0f0f, v28
	s_delay_alu instid0(VALU_DEP_1) | instskip(NEXT) | instid1(VALU_DEP_1)
	v_or3_b32 v28, v30, v166, v28
	v_dot4_i32_iu8 v28, v28, v39, 0 neg_lo:[1,1,0]
	s_delay_alu instid0(VALU_DEP_1) | instskip(NEXT) | instid1(VALU_DEP_1)
	v_cvt_f32_i32_e32 v28, v28
	v_fma_f32 v28, v2, v28, -v3
	s_delay_alu instid0(VALU_DEP_1) | instskip(SKIP_1) | instid1(VALU_DEP_1)
	v_fma_mix_f32 v18, v28, v29, v18 op_sel_hi:[0,1,0]
	v_ashrrev_i32_e32 v28, v178, v27
	v_dual_lshrrev_b32 v19, 4, v19 :: v_dual_lshlrev_b32 v30, 4, v28
	s_delay_alu instid0(VALU_DEP_1) | instskip(NEXT) | instid1(VALU_DEP_2)
	v_and_b32_e32 v19, 0xf0f0f0f, v19
	v_dual_lshlrev_b32 v31, 11, v28 :: v_dual_bitop2_b32 v30, 16, v30 bitop3:0x40
	v_dual_lshlrev_b32 v166, 18, v28 :: v_dual_lshlrev_b32 v28, 25, v28
	s_delay_alu instid0(VALU_DEP_2) | instskip(NEXT) | instid1(VALU_DEP_2)
	v_and_b32_e32 v31, 0x1000, v31
	v_and_b32_e32 v166, 0x100000, v166
	s_delay_alu instid0(VALU_DEP_3) | instskip(NEXT) | instid1(VALU_DEP_1)
	v_and_b32_e32 v28, 0x10000000, v28
	v_or3_b32 v19, v28, v19, v166
	s_delay_alu instid0(VALU_DEP_1) | instskip(NEXT) | instid1(VALU_DEP_1)
	v_or3_b32 v19, v19, v30, v31
	v_dot4_i32_iu8 v19, v19, v40, 0 neg_lo:[1,1,0]
	s_delay_alu instid0(VALU_DEP_1) | instskip(NEXT) | instid1(VALU_DEP_1)
	v_cvt_f32_i32_e32 v19, v19
	v_fma_f32 v19, v2, v19, -v3
	s_delay_alu instid0(VALU_DEP_1) | instskip(SKIP_4) | instid1(VALU_DEP_1)
	v_fma_mix_f32 v28, v19, v29, v18 op_sel_hi:[0,1,0]
	v_add_nc_u64_e32 v[18:19], v[16:17], v[70:71]
	global_load_b32 v18, v[18:19], off offset:28
	s_wait_xcnt 0x0
	v_ashrrev_i32_e32 v19, v185, v27
	v_dual_lshlrev_b32 v27, 4, v19 :: v_dual_lshlrev_b32 v30, 11, v19
	v_dual_lshlrev_b32 v31, 18, v19 :: v_dual_lshlrev_b32 v19, 25, v19
	s_delay_alu instid0(VALU_DEP_2) | instskip(NEXT) | instid1(VALU_DEP_3)
	v_and_b32_e32 v27, 16, v27
	v_and_b32_e32 v30, 0x1000, v30
	s_delay_alu instid0(VALU_DEP_3) | instskip(NEXT) | instid1(VALU_DEP_4)
	v_and_b32_e32 v31, 0x100000, v31
	v_and_b32_e32 v19, 0x10000000, v19
	s_delay_alu instid0(VALU_DEP_1) | instskip(SKIP_2) | instid1(VALU_DEP_1)
	v_or3_b32 v19, v31, v19, v27
	s_wait_loadcnt 0x0
	v_lshrrev_b32_e32 v18, 4, v18
	v_and_b32_e32 v18, 0xf0f0f0f, v18
	s_delay_alu instid0(VALU_DEP_1) | instskip(SKIP_4) | instid1(VALU_DEP_1)
	v_or3_b32 v18, v19, v30, v18
	s_clause 0x1
	global_load_b32 v19, v[20:21], off offset:50
	global_load_b32 v27, v[16:17], off offset:46
	v_dot4_i32_iu8 v18, v18, v41, 0 neg_lo:[1,1,0]
	v_cvt_f32_i32_e32 v18, v18
	s_delay_alu instid0(VALU_DEP_1) | instskip(NEXT) | instid1(VALU_DEP_1)
	v_fma_f32 v18, v2, v18, -v3
	v_fma_mix_f32 v18, v18, v29, v28 op_sel_hi:[0,1,0]
	s_wait_loadcnt 0x1
	v_and_b32_e32 v30, 0xf0f0f0f, v19
	s_wait_loadcnt 0x0
	v_ashrrev_i32_e32 v28, v32, v27
	s_delay_alu instid0(VALU_DEP_1) | instskip(NEXT) | instid1(VALU_DEP_1)
	v_lshlrev_b32_e32 v29, 4, v28
	v_dual_lshlrev_b32 v31, 11, v28 :: v_dual_bitop2_b32 v29, 16, v29 bitop3:0x40
	v_dual_lshlrev_b32 v166, 18, v28 :: v_dual_lshlrev_b32 v28, 25, v28
	s_delay_alu instid0(VALU_DEP_2) | instskip(NEXT) | instid1(VALU_DEP_2)
	v_and_b32_e32 v31, 0x1000, v31
	v_and_b32_e32 v166, 0x100000, v166
	s_delay_alu instid0(VALU_DEP_3) | instskip(NEXT) | instid1(VALU_DEP_1)
	v_and_b32_e32 v28, 0x10000000, v28
	v_or3_b32 v28, v28, v30, v166
	v_ashrrev_i32_e32 v30, v177, v27
	s_delay_alu instid0(VALU_DEP_2) | instskip(SKIP_4) | instid1(VALU_DEP_3)
	v_or3_b32 v28, v28, v29, v31
	global_load_u16 v29, v[16:17], off offset:44
	v_dual_lshlrev_b32 v31, 4, v30 :: v_dual_lshlrev_b32 v166, 11, v30
	v_lshlrev_b32_e32 v167, 18, v30
	v_dot4_i32_iu8 v28, v28, v42, 0 neg_lo:[1,1,0]
	v_dual_lshlrev_b32 v30, 25, v30 :: v_dual_bitop2_b32 v31, 16, v31 bitop3:0x40
	s_delay_alu instid0(VALU_DEP_4) | instskip(NEXT) | instid1(VALU_DEP_4)
	v_and_b32_e32 v166, 0x1000, v166
	v_and_b32_e32 v167, 0x100000, v167
	s_delay_alu instid0(VALU_DEP_4) | instskip(NEXT) | instid1(VALU_DEP_4)
	v_cvt_f32_i32_e32 v28, v28
	v_and_b32_e32 v30, 0x10000000, v30
	s_delay_alu instid0(VALU_DEP_2) | instskip(NEXT) | instid1(VALU_DEP_2)
	v_fma_f32 v28, v4, v28, -v5
	v_or3_b32 v30, v167, v30, v31
	s_wait_loadcnt 0x0
	s_delay_alu instid0(VALU_DEP_2) | instskip(SKIP_3) | instid1(VALU_DEP_1)
	v_fma_mix_f32 v18, v28, v29, v18 op_sel_hi:[0,1,0]
	global_load_b32 v28, v[20:21], off offset:58
	s_wait_loadcnt 0x0
	v_and_b32_e32 v28, 0xf0f0f0f, v28
	v_or3_b32 v28, v30, v166, v28
	s_delay_alu instid0(VALU_DEP_1) | instskip(NEXT) | instid1(VALU_DEP_1)
	v_dot4_i32_iu8 v28, v28, v43, 0 neg_lo:[1,1,0]
	v_cvt_f32_i32_e32 v28, v28
	s_delay_alu instid0(VALU_DEP_1) | instskip(NEXT) | instid1(VALU_DEP_1)
	v_fma_f32 v28, v4, v28, -v5
	v_fma_mix_f32 v18, v28, v29, v18 op_sel_hi:[0,1,0]
	v_ashrrev_i32_e32 v28, v178, v27
	s_delay_alu instid0(VALU_DEP_1) | instskip(NEXT) | instid1(VALU_DEP_1)
	v_dual_lshrrev_b32 v19, 4, v19 :: v_dual_lshlrev_b32 v30, 4, v28
	v_and_b32_e32 v19, 0xf0f0f0f, v19
	s_delay_alu instid0(VALU_DEP_2) | instskip(SKIP_1) | instid1(VALU_DEP_2)
	v_dual_lshlrev_b32 v31, 11, v28 :: v_dual_bitop2_b32 v30, 16, v30 bitop3:0x40
	v_dual_lshlrev_b32 v166, 18, v28 :: v_dual_lshlrev_b32 v28, 25, v28
	v_and_b32_e32 v31, 0x1000, v31
	s_delay_alu instid0(VALU_DEP_2) | instskip(NEXT) | instid1(VALU_DEP_3)
	v_and_b32_e32 v166, 0x100000, v166
	v_and_b32_e32 v28, 0x10000000, v28
	s_delay_alu instid0(VALU_DEP_1) | instskip(NEXT) | instid1(VALU_DEP_1)
	v_or3_b32 v19, v28, v19, v166
	v_or3_b32 v19, v19, v30, v31
	s_delay_alu instid0(VALU_DEP_1) | instskip(NEXT) | instid1(VALU_DEP_1)
	v_dot4_i32_iu8 v19, v19, v44, 0 neg_lo:[1,1,0]
	v_cvt_f32_i32_e32 v19, v19
	s_delay_alu instid0(VALU_DEP_1) | instskip(NEXT) | instid1(VALU_DEP_1)
	v_fma_f32 v19, v4, v19, -v5
	v_fma_mix_f32 v28, v19, v29, v18 op_sel_hi:[0,1,0]
	v_add_nc_u64_e32 v[18:19], v[16:17], v[72:73]
	global_load_b32 v18, v[18:19], off offset:50
	s_wait_xcnt 0x0
	v_ashrrev_i32_e32 v19, v186, v27
	s_delay_alu instid0(VALU_DEP_1) | instskip(SKIP_1) | instid1(VALU_DEP_2)
	v_dual_lshlrev_b32 v27, 4, v19 :: v_dual_lshlrev_b32 v30, 11, v19
	v_dual_lshlrev_b32 v31, 18, v19 :: v_dual_lshlrev_b32 v19, 25, v19
	v_and_b32_e32 v27, 16, v27
	s_delay_alu instid0(VALU_DEP_3) | instskip(NEXT) | instid1(VALU_DEP_3)
	v_and_b32_e32 v30, 0x1000, v30
	v_and_b32_e32 v31, 0x100000, v31
	s_delay_alu instid0(VALU_DEP_4) | instskip(NEXT) | instid1(VALU_DEP_1)
	v_and_b32_e32 v19, 0x10000000, v19
	v_or3_b32 v19, v31, v19, v27
	s_wait_loadcnt 0x0
	v_lshrrev_b32_e32 v18, 4, v18
	s_delay_alu instid0(VALU_DEP_1) | instskip(NEXT) | instid1(VALU_DEP_1)
	v_and_b32_e32 v18, 0xf0f0f0f, v18
	v_or3_b32 v18, v19, v30, v18
	s_clause 0x1
	global_load_b32 v19, v[20:21], off offset:72
	global_load_b32 v27, v[16:17], off offset:68
	v_dot4_i32_iu8 v18, v18, v45, 0 neg_lo:[1,1,0]
	s_delay_alu instid0(VALU_DEP_1) | instskip(NEXT) | instid1(VALU_DEP_1)
	v_cvt_f32_i32_e32 v18, v18
	v_fma_f32 v18, v4, v18, -v5
	s_delay_alu instid0(VALU_DEP_1) | instskip(SKIP_4) | instid1(VALU_DEP_1)
	v_fma_mix_f32 v18, v18, v29, v28 op_sel_hi:[0,1,0]
	s_wait_loadcnt 0x1
	v_and_b32_e32 v30, 0xf0f0f0f, v19
	s_wait_loadcnt 0x0
	v_ashrrev_i32_e32 v28, v32, v27
	v_lshlrev_b32_e32 v29, 4, v28
	s_delay_alu instid0(VALU_DEP_1) | instskip(SKIP_1) | instid1(VALU_DEP_2)
	v_dual_lshlrev_b32 v31, 11, v28 :: v_dual_bitop2_b32 v29, 16, v29 bitop3:0x40
	v_dual_lshlrev_b32 v166, 18, v28 :: v_dual_lshlrev_b32 v28, 25, v28
	v_and_b32_e32 v31, 0x1000, v31
	s_delay_alu instid0(VALU_DEP_2) | instskip(NEXT) | instid1(VALU_DEP_3)
	v_and_b32_e32 v166, 0x100000, v166
	v_and_b32_e32 v28, 0x10000000, v28
	s_delay_alu instid0(VALU_DEP_1) | instskip(SKIP_1) | instid1(VALU_DEP_2)
	v_or3_b32 v28, v28, v30, v166
	v_ashrrev_i32_e32 v30, v177, v27
	v_or3_b32 v28, v28, v29, v31
	global_load_u16 v29, v[16:17], off offset:66
	v_dual_lshlrev_b32 v31, 4, v30 :: v_dual_lshlrev_b32 v166, 11, v30
	v_lshlrev_b32_e32 v167, 18, v30
	v_dot4_i32_iu8 v28, v28, v46, 0 neg_lo:[1,1,0]
	s_delay_alu instid0(VALU_DEP_3) | instskip(NEXT) | instid1(VALU_DEP_4)
	v_dual_lshlrev_b32 v30, 25, v30 :: v_dual_bitop2_b32 v31, 16, v31 bitop3:0x40
	v_and_b32_e32 v166, 0x1000, v166
	s_delay_alu instid0(VALU_DEP_4) | instskip(NEXT) | instid1(VALU_DEP_4)
	v_and_b32_e32 v167, 0x100000, v167
	v_cvt_f32_i32_e32 v28, v28
	s_delay_alu instid0(VALU_DEP_4) | instskip(NEXT) | instid1(VALU_DEP_2)
	v_and_b32_e32 v30, 0x10000000, v30
	v_fma_f32 v28, v6, v28, -v7
	s_delay_alu instid0(VALU_DEP_2) | instskip(SKIP_1) | instid1(VALU_DEP_2)
	v_or3_b32 v30, v167, v30, v31
	s_wait_loadcnt 0x0
	v_fma_mix_f32 v18, v28, v29, v18 op_sel_hi:[0,1,0]
	global_load_b32 v28, v[20:21], off offset:80
	s_wait_loadcnt 0x0
	v_and_b32_e32 v28, 0xf0f0f0f, v28
	s_delay_alu instid0(VALU_DEP_1) | instskip(NEXT) | instid1(VALU_DEP_1)
	v_or3_b32 v28, v30, v166, v28
	v_dot4_i32_iu8 v28, v28, v47, 0 neg_lo:[1,1,0]
	s_delay_alu instid0(VALU_DEP_1) | instskip(NEXT) | instid1(VALU_DEP_1)
	v_cvt_f32_i32_e32 v28, v28
	v_fma_f32 v28, v6, v28, -v7
	s_delay_alu instid0(VALU_DEP_1) | instskip(SKIP_1) | instid1(VALU_DEP_1)
	v_fma_mix_f32 v18, v28, v29, v18 op_sel_hi:[0,1,0]
	v_ashrrev_i32_e32 v28, v178, v27
	v_dual_lshrrev_b32 v19, 4, v19 :: v_dual_lshlrev_b32 v30, 4, v28
	s_delay_alu instid0(VALU_DEP_1) | instskip(NEXT) | instid1(VALU_DEP_2)
	v_and_b32_e32 v19, 0xf0f0f0f, v19
	v_dual_lshlrev_b32 v31, 11, v28 :: v_dual_bitop2_b32 v30, 16, v30 bitop3:0x40
	v_dual_lshlrev_b32 v166, 18, v28 :: v_dual_lshlrev_b32 v28, 25, v28
	s_delay_alu instid0(VALU_DEP_2) | instskip(NEXT) | instid1(VALU_DEP_2)
	v_and_b32_e32 v31, 0x1000, v31
	v_and_b32_e32 v166, 0x100000, v166
	s_delay_alu instid0(VALU_DEP_3) | instskip(NEXT) | instid1(VALU_DEP_1)
	v_and_b32_e32 v28, 0x10000000, v28
	v_or3_b32 v19, v28, v19, v166
	s_delay_alu instid0(VALU_DEP_1) | instskip(NEXT) | instid1(VALU_DEP_1)
	v_or3_b32 v19, v19, v30, v31
	v_dot4_i32_iu8 v19, v19, v48, 0 neg_lo:[1,1,0]
	s_delay_alu instid0(VALU_DEP_1) | instskip(NEXT) | instid1(VALU_DEP_1)
	v_cvt_f32_i32_e32 v19, v19
	v_fma_f32 v19, v6, v19, -v7
	s_delay_alu instid0(VALU_DEP_1) | instskip(SKIP_4) | instid1(VALU_DEP_1)
	v_fma_mix_f32 v28, v19, v29, v18 op_sel_hi:[0,1,0]
	v_add_nc_u64_e32 v[18:19], v[16:17], v[74:75]
	global_load_b32 v18, v[18:19], off offset:72
	s_wait_xcnt 0x0
	v_ashrrev_i32_e32 v19, v187, v27
	v_dual_lshlrev_b32 v27, 4, v19 :: v_dual_lshlrev_b32 v30, 11, v19
	v_dual_lshlrev_b32 v31, 18, v19 :: v_dual_lshlrev_b32 v19, 25, v19
	s_delay_alu instid0(VALU_DEP_2) | instskip(NEXT) | instid1(VALU_DEP_3)
	v_and_b32_e32 v27, 16, v27
	v_and_b32_e32 v30, 0x1000, v30
	s_delay_alu instid0(VALU_DEP_3) | instskip(NEXT) | instid1(VALU_DEP_4)
	v_and_b32_e32 v31, 0x100000, v31
	v_and_b32_e32 v19, 0x10000000, v19
	s_delay_alu instid0(VALU_DEP_1) | instskip(SKIP_2) | instid1(VALU_DEP_1)
	v_or3_b32 v19, v31, v19, v27
	s_wait_loadcnt 0x0
	v_lshrrev_b32_e32 v18, 4, v18
	v_and_b32_e32 v18, 0xf0f0f0f, v18
	s_delay_alu instid0(VALU_DEP_1) | instskip(SKIP_4) | instid1(VALU_DEP_1)
	v_or3_b32 v18, v19, v30, v18
	s_clause 0x1
	global_load_b32 v19, v[20:21], off offset:94
	global_load_b32 v27, v[16:17], off offset:90
	v_dot4_i32_iu8 v18, v18, v49, 0 neg_lo:[1,1,0]
	v_cvt_f32_i32_e32 v18, v18
	s_delay_alu instid0(VALU_DEP_1) | instskip(NEXT) | instid1(VALU_DEP_1)
	v_fma_f32 v18, v6, v18, -v7
	v_fma_mix_f32 v18, v18, v29, v28 op_sel_hi:[0,1,0]
	s_wait_loadcnt 0x1
	v_and_b32_e32 v30, 0xf0f0f0f, v19
	s_wait_loadcnt 0x0
	v_ashrrev_i32_e32 v28, v32, v27
	s_delay_alu instid0(VALU_DEP_1) | instskip(NEXT) | instid1(VALU_DEP_1)
	v_lshlrev_b32_e32 v29, 4, v28
	v_dual_lshlrev_b32 v31, 11, v28 :: v_dual_bitop2_b32 v29, 16, v29 bitop3:0x40
	v_dual_lshlrev_b32 v166, 18, v28 :: v_dual_lshlrev_b32 v28, 25, v28
	s_delay_alu instid0(VALU_DEP_2) | instskip(NEXT) | instid1(VALU_DEP_2)
	v_and_b32_e32 v31, 0x1000, v31
	v_and_b32_e32 v166, 0x100000, v166
	s_delay_alu instid0(VALU_DEP_3) | instskip(NEXT) | instid1(VALU_DEP_1)
	v_and_b32_e32 v28, 0x10000000, v28
	v_or3_b32 v28, v28, v30, v166
	v_ashrrev_i32_e32 v30, v177, v27
	s_delay_alu instid0(VALU_DEP_2) | instskip(SKIP_4) | instid1(VALU_DEP_3)
	v_or3_b32 v28, v28, v29, v31
	global_load_u16 v29, v[16:17], off offset:88
	v_dual_lshlrev_b32 v31, 4, v30 :: v_dual_lshlrev_b32 v166, 11, v30
	v_lshlrev_b32_e32 v167, 18, v30
	v_dot4_i32_iu8 v28, v28, v50, 0 neg_lo:[1,1,0]
	v_dual_lshlrev_b32 v30, 25, v30 :: v_dual_bitop2_b32 v31, 16, v31 bitop3:0x40
	s_delay_alu instid0(VALU_DEP_4) | instskip(NEXT) | instid1(VALU_DEP_4)
	v_and_b32_e32 v166, 0x1000, v166
	v_and_b32_e32 v167, 0x100000, v167
	s_delay_alu instid0(VALU_DEP_4) | instskip(NEXT) | instid1(VALU_DEP_4)
	v_cvt_f32_i32_e32 v28, v28
	v_and_b32_e32 v30, 0x10000000, v30
	s_delay_alu instid0(VALU_DEP_2) | instskip(NEXT) | instid1(VALU_DEP_2)
	v_fma_f32 v28, v8, v28, -v9
	v_or3_b32 v30, v167, v30, v31
	s_wait_loadcnt 0x0
	s_delay_alu instid0(VALU_DEP_2) | instskip(SKIP_3) | instid1(VALU_DEP_1)
	v_fma_mix_f32 v18, v28, v29, v18 op_sel_hi:[0,1,0]
	global_load_b32 v28, v[20:21], off offset:102
	s_wait_loadcnt 0x0
	v_and_b32_e32 v28, 0xf0f0f0f, v28
	v_or3_b32 v28, v30, v166, v28
	s_delay_alu instid0(VALU_DEP_1) | instskip(NEXT) | instid1(VALU_DEP_1)
	v_dot4_i32_iu8 v28, v28, v51, 0 neg_lo:[1,1,0]
	v_cvt_f32_i32_e32 v28, v28
	s_delay_alu instid0(VALU_DEP_1) | instskip(NEXT) | instid1(VALU_DEP_1)
	v_fma_f32 v28, v8, v28, -v9
	v_fma_mix_f32 v18, v28, v29, v18 op_sel_hi:[0,1,0]
	v_ashrrev_i32_e32 v28, v178, v27
	s_delay_alu instid0(VALU_DEP_1) | instskip(NEXT) | instid1(VALU_DEP_1)
	v_dual_lshrrev_b32 v19, 4, v19 :: v_dual_lshlrev_b32 v30, 4, v28
	v_and_b32_e32 v19, 0xf0f0f0f, v19
	s_delay_alu instid0(VALU_DEP_2) | instskip(SKIP_1) | instid1(VALU_DEP_2)
	v_dual_lshlrev_b32 v31, 11, v28 :: v_dual_bitop2_b32 v30, 16, v30 bitop3:0x40
	v_dual_lshlrev_b32 v166, 18, v28 :: v_dual_lshlrev_b32 v28, 25, v28
	v_and_b32_e32 v31, 0x1000, v31
	s_delay_alu instid0(VALU_DEP_2) | instskip(NEXT) | instid1(VALU_DEP_3)
	v_and_b32_e32 v166, 0x100000, v166
	v_and_b32_e32 v28, 0x10000000, v28
	s_delay_alu instid0(VALU_DEP_1) | instskip(NEXT) | instid1(VALU_DEP_1)
	v_or3_b32 v19, v28, v19, v166
	v_or3_b32 v19, v19, v30, v31
	s_delay_alu instid0(VALU_DEP_1) | instskip(NEXT) | instid1(VALU_DEP_1)
	v_dot4_i32_iu8 v19, v19, v52, 0 neg_lo:[1,1,0]
	v_cvt_f32_i32_e32 v19, v19
	s_delay_alu instid0(VALU_DEP_1) | instskip(NEXT) | instid1(VALU_DEP_1)
	v_fma_f32 v19, v8, v19, -v9
	v_fma_mix_f32 v28, v19, v29, v18 op_sel_hi:[0,1,0]
	v_add_nc_u64_e32 v[18:19], v[16:17], v[76:77]
	global_load_b32 v18, v[18:19], off offset:94
	s_wait_xcnt 0x0
	v_ashrrev_i32_e32 v19, v188, v27
	s_delay_alu instid0(VALU_DEP_1) | instskip(SKIP_1) | instid1(VALU_DEP_2)
	v_dual_lshlrev_b32 v27, 4, v19 :: v_dual_lshlrev_b32 v30, 11, v19
	v_dual_lshlrev_b32 v31, 18, v19 :: v_dual_lshlrev_b32 v19, 25, v19
	v_and_b32_e32 v27, 16, v27
	s_delay_alu instid0(VALU_DEP_3) | instskip(NEXT) | instid1(VALU_DEP_3)
	v_and_b32_e32 v30, 0x1000, v30
	v_and_b32_e32 v31, 0x100000, v31
	s_delay_alu instid0(VALU_DEP_4) | instskip(NEXT) | instid1(VALU_DEP_1)
	v_and_b32_e32 v19, 0x10000000, v19
	v_or3_b32 v19, v31, v19, v27
	s_wait_loadcnt 0x0
	v_lshrrev_b32_e32 v18, 4, v18
	s_delay_alu instid0(VALU_DEP_1) | instskip(NEXT) | instid1(VALU_DEP_1)
	v_and_b32_e32 v18, 0xf0f0f0f, v18
	v_or3_b32 v18, v19, v30, v18
	s_clause 0x1
	global_load_b32 v27, v[20:21], off offset:116
	global_load_b32 v30, v[16:17], off offset:112
	v_dot4_i32_iu8 v18, v18, v53, 0 neg_lo:[1,1,0]
	s_delay_alu instid0(VALU_DEP_1) | instskip(NEXT) | instid1(VALU_DEP_1)
	v_cvt_f32_i32_e32 v18, v18
	v_fma_f32 v18, v8, v18, -v9
	s_delay_alu instid0(VALU_DEP_1) | instskip(SKIP_4) | instid1(VALU_DEP_1)
	v_fma_mix_f32 v19, v18, v29, v28 op_sel_hi:[0,1,0]
	s_wait_loadcnt 0x1
	v_and_b32_e32 v29, 0xf0f0f0f, v27
	s_wait_loadcnt 0x0
	v_ashrrev_i32_e32 v18, v32, v30
	v_lshlrev_b32_e32 v28, 4, v18
	s_delay_alu instid0(VALU_DEP_1) | instskip(SKIP_1) | instid1(VALU_DEP_2)
	v_dual_lshlrev_b32 v31, 11, v18 :: v_dual_bitop2_b32 v28, 16, v28 bitop3:0x40
	v_dual_lshlrev_b32 v166, 18, v18 :: v_dual_lshlrev_b32 v18, 25, v18
	v_and_b32_e32 v31, 0x1000, v31
	s_delay_alu instid0(VALU_DEP_2) | instskip(NEXT) | instid1(VALU_DEP_3)
	v_and_b32_e32 v166, 0x100000, v166
	v_and_b32_e32 v18, 0x10000000, v18
	s_delay_alu instid0(VALU_DEP_1) | instskip(SKIP_3) | instid1(VALU_DEP_2)
	v_or3_b32 v18, v18, v29, v166
	global_load_u16 v29, v[16:17], off offset:110
	v_or3_b32 v18, v18, v28, v31
	v_ashrrev_i32_e32 v31, v177, v30
	v_dot4_i32_iu8 v28, v18, v54, 0 neg_lo:[1,1,0]
	s_delay_alu instid0(VALU_DEP_2) | instskip(SKIP_1) | instid1(VALU_DEP_3)
	v_dual_lshlrev_b32 v166, 4, v31 :: v_dual_lshlrev_b32 v167, 11, v31
	v_dual_lshlrev_b32 v168, 18, v31 :: v_dual_lshlrev_b32 v31, 25, v31
	v_cvt_f32_i32_e32 v28, v28
	s_delay_alu instid0(VALU_DEP_3) | instskip(NEXT) | instid1(VALU_DEP_4)
	v_and_b32_e32 v166, 16, v166
	v_and_b32_e32 v167, 0x1000, v167
	s_delay_alu instid0(VALU_DEP_4) | instskip(SKIP_2) | instid1(VALU_DEP_2)
	v_and_b32_e32 v168, 0x100000, v168
	v_and_b32_e32 v31, 0x10000000, v31
	v_fma_f32 v28, v10, v28, -v96
	v_or3_b32 v31, v168, v31, v166
	s_wait_loadcnt 0x0
	s_delay_alu instid0(VALU_DEP_2) | instskip(SKIP_4) | instid1(VALU_DEP_1)
	v_fma_mix_f32 v19, v28, v29, v19 op_sel_hi:[0,1,0]
	global_load_b32 v28, v[20:21], off offset:124
	v_cvt_f32_f16_e32 v18, v29
	s_wait_loadcnt 0x0
	v_and_b32_e32 v28, 0xf0f0f0f, v28
	v_or3_b32 v28, v31, v167, v28
	s_delay_alu instid0(VALU_DEP_1) | instskip(NEXT) | instid1(VALU_DEP_1)
	v_dot4_i32_iu8 v28, v28, v55, 0 neg_lo:[1,1,0]
	v_cvt_f32_i32_e32 v28, v28
	s_delay_alu instid0(VALU_DEP_1) | instskip(NEXT) | instid1(VALU_DEP_1)
	v_fma_f32 v28, v10, v28, -v96
	v_fma_mix_f32 v31, v28, v29, v19 op_sel_hi:[0,1,0]
	v_dual_lshrrev_b32 v19, 4, v27 :: v_dual_ashrrev_i32 v27, v178, v30
	s_delay_alu instid0(VALU_DEP_1) | instskip(NEXT) | instid1(VALU_DEP_2)
	v_and_b32_e32 v19, 0xf0f0f0f, v19
	v_dual_lshlrev_b32 v28, 4, v27 :: v_dual_lshlrev_b32 v29, 11, v27
	v_dual_lshlrev_b32 v166, 18, v27 :: v_dual_lshlrev_b32 v27, 25, v27
	s_delay_alu instid0(VALU_DEP_2) | instskip(NEXT) | instid1(VALU_DEP_3)
	v_and_b32_e32 v28, 16, v28
	v_and_b32_e32 v29, 0x1000, v29
	s_delay_alu instid0(VALU_DEP_3) | instskip(NEXT) | instid1(VALU_DEP_4)
	v_and_b32_e32 v166, 0x100000, v166
	v_and_b32_e32 v27, 0x10000000, v27
	s_delay_alu instid0(VALU_DEP_1) | instskip(NEXT) | instid1(VALU_DEP_1)
	v_or3_b32 v19, v27, v19, v166
	v_or3_b32 v19, v19, v28, v29
	v_add_nc_u64_e32 v[28:29], v[16:17], v[78:79]
	s_delay_alu instid0(VALU_DEP_2) | instskip(SKIP_3) | instid1(VALU_DEP_1)
	v_dot4_i32_iu8 v19, v19, v56, 0 neg_lo:[1,1,0]
	global_load_b32 v27, v[28:29], off offset:116
	s_wait_xcnt 0x0
	v_ashrrev_i32_e32 v28, v190, v30
	v_dual_lshlrev_b32 v166, 18, v28 :: v_dual_lshlrev_b32 v29, 4, v28
	v_dual_lshlrev_b32 v30, 11, v28 :: v_dual_lshlrev_b32 v28, 25, v28
	s_delay_alu instid0(VALU_DEP_2) | instskip(NEXT) | instid1(VALU_DEP_3)
	v_and_b32_e32 v166, 0x100000, v166
	v_and_b32_e32 v29, 16, v29
	s_delay_alu instid0(VALU_DEP_3) | instskip(NEXT) | instid1(VALU_DEP_4)
	v_and_b32_e32 v30, 0x1000, v30
	v_and_b32_e32 v28, 0x10000000, v28
	s_delay_alu instid0(VALU_DEP_1) | instskip(SKIP_2) | instid1(VALU_DEP_1)
	v_or3_b32 v28, v166, v28, v29
	s_wait_loadcnt 0x0
	v_lshrrev_b32_e32 v27, 4, v27
	v_and_b32_e32 v27, 0xf0f0f0f, v27
	s_delay_alu instid0(VALU_DEP_1) | instskip(SKIP_1) | instid1(VALU_DEP_2)
	v_or3_b32 v27, v28, v30, v27
	v_cvt_f32_i32_e32 v28, v19
	v_dot4_i32_iu8 v27, v27, v57, 0 neg_lo:[1,1,0]
	s_delay_alu instid0(VALU_DEP_1) | instskip(SKIP_4) | instid1(VALU_DEP_1)
	v_cvt_f32_i32_e32 v29, v27
	s_clause 0x1
	global_load_b32 v27, v[20:21], off offset:138
	global_load_b32 v30, v[16:17], off offset:134
	v_pk_fma_f32 v[28:29], v[10:11], v[28:29], v[96:97] neg_lo:[0,0,1] neg_hi:[0,0,1]
	v_pk_mul_f32 v[18:19], v[28:29], v[18:19] op_sel_hi:[1,0]
	s_delay_alu instid0(VALU_DEP_1) | instskip(NEXT) | instid1(VALU_DEP_1)
	v_add_f32_e32 v18, v18, v31
	v_add_f32_e32 v19, v18, v19
	s_wait_loadcnt 0x1
	v_and_b32_e32 v29, 0xf0f0f0f, v27
	s_wait_loadcnt 0x0
	v_ashrrev_i32_e32 v18, v32, v30
	s_delay_alu instid0(VALU_DEP_1) | instskip(SKIP_1) | instid1(VALU_DEP_2)
	v_dual_lshlrev_b32 v28, 4, v18 :: v_dual_lshlrev_b32 v31, 11, v18
	v_dual_lshlrev_b32 v166, 18, v18 :: v_dual_lshlrev_b32 v18, 25, v18
	v_and_b32_e32 v28, 16, v28
	s_delay_alu instid0(VALU_DEP_3) | instskip(NEXT) | instid1(VALU_DEP_3)
	v_and_b32_e32 v31, 0x1000, v31
	v_and_b32_e32 v166, 0x100000, v166
	s_delay_alu instid0(VALU_DEP_4) | instskip(NEXT) | instid1(VALU_DEP_1)
	v_and_b32_e32 v18, 0x10000000, v18
	v_or3_b32 v18, v18, v29, v166
	global_load_b32 v29, v[20:21], off offset:146
	v_or3_b32 v18, v18, v28, v31
	v_ashrrev_i32_e32 v31, v177, v30
	s_delay_alu instid0(VALU_DEP_2) | instskip(SKIP_4) | instid1(VALU_DEP_3)
	v_dot4_i32_iu8 v28, v18, v58, 0 neg_lo:[1,1,0]
	global_load_u16 v18, v[16:17], off offset:132
	v_dual_lshlrev_b32 v166, 4, v31 :: v_dual_lshlrev_b32 v167, 11, v31
	v_dual_lshlrev_b32 v168, 18, v31 :: v_dual_lshlrev_b32 v31, 25, v31
	v_cvt_f32_i32_e32 v28, v28
	v_and_b32_e32 v166, 16, v166
	s_delay_alu instid0(VALU_DEP_4) | instskip(NEXT) | instid1(VALU_DEP_4)
	v_and_b32_e32 v167, 0x1000, v167
	v_and_b32_e32 v168, 0x100000, v168
	;; [unrolled: 1-line block ×3, first 2 shown]
	s_delay_alu instid0(VALU_DEP_1) | instskip(SKIP_2) | instid1(VALU_DEP_1)
	v_or3_b32 v31, v168, v31, v166
	s_wait_loadcnt 0x1
	v_and_b32_e32 v29, 0xf0f0f0f, v29
	v_or3_b32 v29, v31, v167, v29
	s_wait_loadcnt 0x0
	v_cvt_f32_f16_e32 v18, v18
	s_delay_alu instid0(VALU_DEP_2) | instskip(NEXT) | instid1(VALU_DEP_1)
	v_dot4_i32_iu8 v29, v29, v59, 0 neg_lo:[1,1,0]
	v_cvt_f32_i32_e32 v29, v29
	s_delay_alu instid0(VALU_DEP_1) | instskip(NEXT) | instid1(VALU_DEP_1)
	v_pk_fma_f32 v[28:29], v[12:13], v[28:29], v[94:95] neg_lo:[0,0,1] neg_hi:[0,0,1]
	v_pk_mul_f32 v[28:29], v[28:29], v[18:19] op_sel_hi:[1,0]
	s_delay_alu instid0(VALU_DEP_1) | instskip(NEXT) | instid1(VALU_DEP_1)
	v_add_f32_e32 v19, v19, v28
	v_dual_add_f32 v31, v19, v29 :: v_dual_lshrrev_b32 v19, 4, v27
	v_ashrrev_i32_e32 v27, v178, v30
	s_delay_alu instid0(VALU_DEP_2) | instskip(NEXT) | instid1(VALU_DEP_2)
	v_and_b32_e32 v19, 0xf0f0f0f, v19
	v_dual_lshlrev_b32 v28, 4, v27 :: v_dual_lshlrev_b32 v29, 11, v27
	v_dual_lshlrev_b32 v166, 18, v27 :: v_dual_lshlrev_b32 v27, 25, v27
	s_delay_alu instid0(VALU_DEP_2) | instskip(NEXT) | instid1(VALU_DEP_3)
	v_and_b32_e32 v28, 16, v28
	v_and_b32_e32 v29, 0x1000, v29
	s_delay_alu instid0(VALU_DEP_3) | instskip(NEXT) | instid1(VALU_DEP_4)
	v_and_b32_e32 v166, 0x100000, v166
	v_and_b32_e32 v27, 0x10000000, v27
	s_delay_alu instid0(VALU_DEP_1) | instskip(NEXT) | instid1(VALU_DEP_1)
	v_or3_b32 v19, v27, v19, v166
	v_or3_b32 v19, v19, v28, v29
	v_add_nc_u64_e32 v[28:29], v[16:17], v[82:83]
	s_delay_alu instid0(VALU_DEP_2) | instskip(SKIP_3) | instid1(VALU_DEP_1)
	v_dot4_i32_iu8 v19, v19, v60, 0 neg_lo:[1,1,0]
	global_load_b32 v27, v[28:29], off offset:138
	s_wait_xcnt 0x0
	v_ashrrev_i32_e32 v28, v191, v30
	v_dual_lshlrev_b32 v166, 18, v28 :: v_dual_lshlrev_b32 v29, 4, v28
	v_dual_lshlrev_b32 v30, 11, v28 :: v_dual_lshlrev_b32 v28, 25, v28
	s_delay_alu instid0(VALU_DEP_2) | instskip(NEXT) | instid1(VALU_DEP_3)
	v_and_b32_e32 v166, 0x100000, v166
	v_and_b32_e32 v29, 16, v29
	s_delay_alu instid0(VALU_DEP_3) | instskip(NEXT) | instid1(VALU_DEP_4)
	v_and_b32_e32 v30, 0x1000, v30
	v_and_b32_e32 v28, 0x10000000, v28
	s_delay_alu instid0(VALU_DEP_1) | instskip(SKIP_2) | instid1(VALU_DEP_1)
	v_or3_b32 v28, v166, v28, v29
	s_wait_loadcnt 0x0
	v_lshrrev_b32_e32 v27, 4, v27
	v_and_b32_e32 v27, 0xf0f0f0f, v27
	s_delay_alu instid0(VALU_DEP_1) | instskip(SKIP_1) | instid1(VALU_DEP_2)
	v_or3_b32 v27, v28, v30, v27
	v_cvt_f32_i32_e32 v28, v19
	v_dot4_i32_iu8 v27, v27, v61, 0 neg_lo:[1,1,0]
	s_delay_alu instid0(VALU_DEP_1) | instskip(NEXT) | instid1(VALU_DEP_1)
	v_cvt_f32_i32_e32 v29, v27
	v_pk_fma_f32 v[28:29], v[12:13], v[28:29], v[94:95] neg_lo:[0,0,1] neg_hi:[0,0,1]
	s_delay_alu instid0(VALU_DEP_1) | instskip(NEXT) | instid1(VALU_DEP_1)
	v_pk_mul_f32 v[18:19], v[28:29], v[18:19] op_sel_hi:[1,0]
	v_add_f32_e32 v18, v18, v31
	s_delay_alu instid0(VALU_DEP_1)
	v_add_f32_e32 v27, v18, v19
	s_clause 0x2
	global_load_b32 v28, v[20:21], off offset:160
	global_load_b32 v19, v[16:17], off offset:156
	;; [unrolled: 1-line block ×3, first 2 shown]
	s_wait_loadcnt 0x2
	v_and_b32_e32 v30, 0xf0f0f0f, v28
	s_wait_loadcnt 0x1
	s_wait_xcnt 0x0
	v_dual_ashrrev_i32 v18, v32, v19 :: v_dual_ashrrev_i32 v21, v177, v19
	s_wait_loadcnt 0x0
	v_and_b32_e32 v20, 0xf0f0f0f, v20
	s_delay_alu instid0(VALU_DEP_2) | instskip(SKIP_1) | instid1(VALU_DEP_2)
	v_dual_lshlrev_b32 v29, 4, v18 :: v_dual_lshlrev_b32 v31, 11, v18
	v_dual_lshlrev_b32 v166, 18, v18 :: v_dual_lshlrev_b32 v18, 25, v18
	v_and_b32_e32 v29, 16, v29
	s_delay_alu instid0(VALU_DEP_3) | instskip(NEXT) | instid1(VALU_DEP_3)
	v_and_b32_e32 v31, 0x1000, v31
	v_and_b32_e32 v166, 0x100000, v166
	s_delay_alu instid0(VALU_DEP_4) | instskip(NEXT) | instid1(VALU_DEP_1)
	v_and_b32_e32 v18, 0x10000000, v18
	v_or3_b32 v18, v18, v30, v166
	v_lshlrev_b32_e32 v30, 4, v21
	s_delay_alu instid0(VALU_DEP_2) | instskip(NEXT) | instid1(VALU_DEP_2)
	v_or3_b32 v18, v18, v29, v31
	v_dual_lshlrev_b32 v31, 11, v21 :: v_dual_bitop2_b32 v30, 16, v30 bitop3:0x40
	v_dual_lshlrev_b32 v166, 18, v21 :: v_dual_lshlrev_b32 v21, 25, v21
	s_delay_alu instid0(VALU_DEP_3)
	v_dot4_i32_iu8 v29, v18, v62, 0 neg_lo:[1,1,0]
	global_load_u16 v18, v[16:17], off offset:154
	s_wait_xcnt 0x0
	v_add_nc_u64_e32 v[16:17], v[16:17], v[84:85]
	v_and_b32_e32 v166, 0x100000, v166
	v_and_b32_e32 v21, 0x10000000, v21
	;; [unrolled: 1-line block ×3, first 2 shown]
	global_load_b32 v16, v[16:17], off offset:160
	v_or3_b32 v21, v166, v21, v30
	s_wait_xcnt 0x0
	v_ashrrev_i32_e32 v17, v192, v19
	s_delay_alu instid0(VALU_DEP_2) | instskip(NEXT) | instid1(VALU_DEP_1)
	v_or3_b32 v20, v21, v31, v20
	v_dot4_i32_iu8 v20, v20, v63, 0 neg_lo:[1,1,0]
	s_delay_alu instid0(VALU_DEP_1) | instskip(SKIP_1) | instid1(VALU_DEP_1)
	v_cvt_f32_i32_e32 v21, v20
	v_cvt_f32_i32_e32 v20, v29
	v_pk_fma_f32 v[20:21], v[14:15], v[20:21], v[90:91] neg_lo:[0,0,1] neg_hi:[0,0,1]
	s_wait_loadcnt 0x1
	v_cvt_f32_f16_e32 v18, v18
	s_delay_alu instid0(VALU_DEP_1) | instskip(SKIP_2) | instid1(VALU_DEP_2)
	v_pk_mul_f32 v[20:21], v[20:21], v[18:19] op_sel_hi:[1,0]
	s_wait_loadcnt 0x0
	v_lshrrev_b32_e32 v16, 4, v16
	v_dual_add_f32 v20, v27, v20 :: v_dual_ashrrev_i32 v27, v178, v19
	v_lshlrev_b32_e32 v19, 4, v17
	s_delay_alu instid0(VALU_DEP_3) | instskip(NEXT) | instid1(VALU_DEP_3)
	v_and_b32_e32 v16, 0xf0f0f0f, v16
	v_dual_add_f32 v20, v20, v21 :: v_dual_lshrrev_b32 v21, 4, v28
	s_delay_alu instid0(VALU_DEP_4) | instskip(SKIP_1) | instid1(VALU_DEP_3)
	v_dual_lshlrev_b32 v28, 4, v27 :: v_dual_lshlrev_b32 v29, 11, v27
	v_dual_lshlrev_b32 v30, 18, v27 :: v_dual_lshlrev_b32 v27, 25, v27
	v_and_b32_e32 v21, 0xf0f0f0f, v21
	s_delay_alu instid0(VALU_DEP_3) | instskip(NEXT) | instid1(VALU_DEP_4)
	v_and_b32_e32 v28, 16, v28
	v_and_b32_e32 v29, 0x1000, v29
	s_delay_alu instid0(VALU_DEP_4) | instskip(SKIP_2) | instid1(VALU_DEP_2)
	v_and_b32_e32 v30, 0x100000, v30
	v_and_b32_e32 v27, 0x10000000, v27
	;; [unrolled: 1-line block ×3, first 2 shown]
	v_or3_b32 v21, v27, v21, v30
	v_lshlrev_b32_e32 v27, 11, v17
	s_delay_alu instid0(VALU_DEP_2) | instskip(SKIP_1) | instid1(VALU_DEP_3)
	v_or3_b32 v21, v21, v28, v29
	v_dual_lshlrev_b32 v28, 18, v17 :: v_dual_lshlrev_b32 v17, 25, v17
	v_and_b32_e32 v27, 0x1000, v27
	s_delay_alu instid0(VALU_DEP_3) | instskip(NEXT) | instid1(VALU_DEP_3)
	v_dot4_i32_iu8 v21, v21, v64, 0 neg_lo:[1,1,0]
	v_and_b32_e32 v28, 0x100000, v28
	s_delay_alu instid0(VALU_DEP_4) | instskip(NEXT) | instid1(VALU_DEP_1)
	v_and_b32_e32 v17, 0x10000000, v17
	v_or3_b32 v17, v28, v17, v19
	s_delay_alu instid0(VALU_DEP_1) | instskip(NEXT) | instid1(VALU_DEP_1)
	v_or3_b32 v16, v17, v27, v16
	v_dot4_i32_iu8 v16, v16, v65, 0 neg_lo:[1,1,0]
	s_delay_alu instid0(VALU_DEP_1) | instskip(SKIP_1) | instid1(VALU_DEP_1)
	v_cvt_f32_i32_e32 v17, v16
	v_cvt_f32_i32_e32 v16, v21
	v_pk_fma_f32 v[16:17], v[14:15], v[16:17], v[90:91] neg_lo:[0,0,1] neg_hi:[0,0,1]
	s_delay_alu instid0(VALU_DEP_1) | instskip(NEXT) | instid1(VALU_DEP_1)
	v_pk_mul_f32 v[16:17], v[16:17], v[18:19] op_sel_hi:[1,0]
	v_add_f32_e32 v16, v16, v20
	s_delay_alu instid0(VALU_DEP_1) | instskip(SKIP_3) | instid1(VALU_DEP_1)
	v_add_f32_e32 v16, v16, v17
	ds_bpermute_b32 v17, v184, v16
	s_wait_dscnt 0x0
	v_add_f32_e32 v16, v16, v17
                                        ; implicit-def: $vgpr17
	v_cmp_ngt_f32_e64 s5, 0x3f200000, |v16|
	s_and_saveexec_b32 s25, s5
	s_delay_alu instid0(SALU_CYCLE_1)
	s_xor_b32 s5, exec_lo, s25
	s_cbranch_execz .LBB27_17
; %bb.16:                               ;   in Loop: Header=BB27_15 Depth=1
	v_add_f32_e64 v17, |v16|, |v16|
	s_delay_alu instid0(VALU_DEP_1) | instskip(SKIP_1) | instid1(VALU_DEP_2)
	v_mul_f32_e32 v18, 0x3fb8aa3b, v17
	v_cmp_ngt_f32_e32 vcc_lo, 0xc2ce8ed0, v17
	v_rndne_f32_e32 v19, v18
	v_fma_f32 v20, 0x3fb8aa3b, v17, -v18
	s_delay_alu instid0(VALU_DEP_2) | instskip(NEXT) | instid1(VALU_DEP_2)
	v_sub_f32_e32 v18, v18, v19
	v_fmac_f32_e32 v20, 0x32a5705f, v17
	v_cvt_i32_f32_e32 v19, v19
	s_delay_alu instid0(VALU_DEP_2) | instskip(NEXT) | instid1(VALU_DEP_1)
	v_add_f32_e32 v18, v18, v20
	v_exp_f32_e32 v18, v18
	v_nop
	s_delay_alu instid0(TRANS32_DEP_1) | instskip(NEXT) | instid1(VALU_DEP_1)
	v_ldexp_f32 v18, v18, v19
	v_cndmask_b32_e32 v18, 0, v18, vcc_lo
	v_cmp_nlt_f32_e32 vcc_lo, 0x42b17218, v17
	s_delay_alu instid0(VALU_DEP_2) | instskip(NEXT) | instid1(VALU_DEP_1)
	v_cndmask_b32_e32 v17, 0x7f800000, v18, vcc_lo
	v_add_f32_e32 v17, 1.0, v17
	s_delay_alu instid0(VALU_DEP_1) | instskip(SKIP_1) | instid1(TRANS32_DEP_1)
	v_rcp_f32_e32 v17, v17
	v_nop
	v_fma_f32 v17, v17, -2.0, 1.0
.LBB27_17:                              ;   in Loop: Header=BB27_15 Depth=1
	s_and_not1_saveexec_b32 s5, s5
	s_cbranch_execz .LBB27_19
; %bb.18:                               ;   in Loop: Header=BB27_15 Depth=1
	v_mul_f32_e32 v17, v16, v16
	s_delay_alu instid0(VALU_DEP_1) | instskip(NEXT) | instid1(VALU_DEP_1)
	v_fmaak_f32 v18, s24, v17, 0x3ca908c9
	v_fmaak_f32 v18, v17, v18, 0xbd5c1c4e
	s_delay_alu instid0(VALU_DEP_1) | instskip(NEXT) | instid1(VALU_DEP_1)
	v_fmaak_f32 v18, v17, v18, 0x3e088382
	v_fmaak_f32 v18, v17, v18, 0xbeaaaa99
	s_delay_alu instid0(VALU_DEP_1) | instskip(NEXT) | instid1(VALU_DEP_1)
	v_mul_f32_e64 v18, |v16|, v18
	v_fma_f32 v17, v17, v18, |v16|
.LBB27_19:                              ;   in Loop: Header=BB27_15 Depth=1
	s_or_b32 exec_lo, exec_lo, s5
	s_delay_alu instid0(VALU_DEP_1) | instskip(SKIP_2) | instid1(VALU_DEP_2)
	v_bfi_b32 v18, 0x7fffffff, v17, v16
	v_add_nc_u64_e32 v[16:17], s[10:11], v[66:67]
	s_and_not1_b32 vcc_lo, exec_lo, s27
	v_mul_f32_e32 v27, s39, v18
	s_cbranch_vccnz .LBB27_21
; %bb.20:                               ;   in Loop: Header=BB27_15 Depth=1
	global_load_u16 v18, v[16:17], off
	s_wait_loadcnt 0x0
	v_fma_mix_f32 v27, v171, v18, v27 op_sel_hi:[0,1,0]
.LBB27_21:                              ;   in Loop: Header=BB27_15 Depth=1
	v_add_nc_u64_e32 v[18:19], s[14:15], v[138:139]
	s_delay_alu instid0(VALU_DEP_1)
	v_add_nc_u64_e32 v[20:21], v[18:19], v[32:33]
	s_clause 0x1
	global_load_b32 v28, v[20:21], off offset:6
	global_load_b32 v30, v[18:19], off offset:2
	s_wait_loadcnt 0x1
	v_and_b32_e32 v166, 0xf0f0f0f, v28
	s_wait_loadcnt 0x0
	v_dual_ashrrev_i32 v29, v32, v30 :: v_dual_lshrrev_b32 v28, 4, v28
	s_delay_alu instid0(VALU_DEP_1) | instskip(NEXT) | instid1(VALU_DEP_1)
	v_lshlrev_b32_e32 v31, 4, v29
	v_dual_lshlrev_b32 v167, 11, v29 :: v_dual_bitop2_b32 v31, 16, v31 bitop3:0x40
	v_dual_lshlrev_b32 v168, 18, v29 :: v_dual_lshlrev_b32 v29, 25, v29
	s_delay_alu instid0(VALU_DEP_2) | instskip(NEXT) | instid1(VALU_DEP_2)
	v_and_b32_e32 v167, 0x1000, v167
	v_and_b32_e32 v168, 0x100000, v168
	s_delay_alu instid0(VALU_DEP_3) | instskip(NEXT) | instid1(VALU_DEP_1)
	v_and_b32_e32 v29, 0x10000000, v29
	v_or3_b32 v29, v29, v166, v168
	global_load_b32 v166, v[20:21], off offset:14
	v_or3_b32 v29, v29, v31, v167
	global_load_u16 v31, v[18:19], off
	v_ashrrev_i32_e32 v167, v177, v30
	v_dot4_i32_iu8 v29, v29, v34, 0 neg_lo:[1,1,0]
	s_delay_alu instid0(VALU_DEP_2) | instskip(SKIP_1) | instid1(VALU_DEP_3)
	v_dual_lshlrev_b32 v168, 4, v167 :: v_dual_lshlrev_b32 v169, 11, v167
	v_lshlrev_b32_e32 v197, 18, v167
	v_cvt_f32_i32_e32 v29, v29
	s_delay_alu instid0(VALU_DEP_3) | instskip(NEXT) | instid1(VALU_DEP_4)
	v_dual_lshlrev_b32 v167, 25, v167 :: v_dual_bitop2_b32 v168, 16, v168 bitop3:0x40
	v_and_b32_e32 v169, 0x1000, v169
	s_delay_alu instid0(VALU_DEP_4) | instskip(NEXT) | instid1(VALU_DEP_4)
	v_and_b32_e32 v197, 0x100000, v197
	v_fma_f32 v29, v0, v29, -v1
	s_delay_alu instid0(VALU_DEP_4) | instskip(NEXT) | instid1(VALU_DEP_1)
	v_and_b32_e32 v167, 0x10000000, v167
	v_or3_b32 v167, v197, v167, v168
	s_wait_loadcnt 0x1
	v_and_b32_e32 v166, 0xf0f0f0f, v166
	s_wait_loadcnt 0x0
	v_fma_mix_f32 v29, v29, v31, 0 op_sel_hi:[0,1,0]
	s_delay_alu instid0(VALU_DEP_2) | instskip(NEXT) | instid1(VALU_DEP_1)
	v_or3_b32 v166, v167, v169, v166
	v_dot4_i32_iu8 v166, v166, v35, 0 neg_lo:[1,1,0]
	s_delay_alu instid0(VALU_DEP_1) | instskip(NEXT) | instid1(VALU_DEP_1)
	v_cvt_f32_i32_e32 v166, v166
	v_fma_f32 v166, v0, v166, -v1
	s_delay_alu instid0(VALU_DEP_1) | instskip(SKIP_2) | instid1(VALU_DEP_2)
	v_fma_mix_f32 v29, v166, v31, v29 op_sel_hi:[0,1,0]
	v_ashrrev_i32_e32 v166, v178, v30
	v_and_b32_e32 v28, 0xf0f0f0f, v28
	v_dual_lshlrev_b32 v167, 4, v166 :: v_dual_lshlrev_b32 v168, 11, v166
	v_dual_lshlrev_b32 v169, 18, v166 :: v_dual_lshlrev_b32 v166, 25, v166
	s_delay_alu instid0(VALU_DEP_2) | instskip(NEXT) | instid1(VALU_DEP_3)
	v_and_b32_e32 v167, 16, v167
	v_and_b32_e32 v168, 0x1000, v168
	s_delay_alu instid0(VALU_DEP_3) | instskip(NEXT) | instid1(VALU_DEP_4)
	v_and_b32_e32 v169, 0x100000, v169
	v_and_b32_e32 v166, 0x10000000, v166
	s_delay_alu instid0(VALU_DEP_1) | instskip(NEXT) | instid1(VALU_DEP_1)
	v_or3_b32 v28, v166, v28, v169
	v_or3_b32 v28, v28, v167, v168
	s_delay_alu instid0(VALU_DEP_1) | instskip(NEXT) | instid1(VALU_DEP_1)
	v_dot4_i32_iu8 v28, v28, v36, 0 neg_lo:[1,1,0]
	v_cvt_f32_i32_e32 v28, v28
	s_delay_alu instid0(VALU_DEP_1) | instskip(NEXT) | instid1(VALU_DEP_1)
	v_fma_f32 v28, v0, v28, -v1
	v_fma_mix_f32 v166, v28, v31, v29 op_sel_hi:[0,1,0]
	v_add_nc_u64_e32 v[28:29], v[18:19], v[68:69]
	global_load_b32 v28, v[28:29], off offset:6
	s_wait_xcnt 0x0
	v_ashrrev_i32_e32 v29, v179, v30
	s_delay_alu instid0(VALU_DEP_1) | instskip(SKIP_1) | instid1(VALU_DEP_2)
	v_dual_lshlrev_b32 v30, 4, v29 :: v_dual_lshlrev_b32 v167, 11, v29
	v_dual_lshlrev_b32 v168, 18, v29 :: v_dual_lshlrev_b32 v29, 25, v29
	v_and_b32_e32 v30, 16, v30
	s_delay_alu instid0(VALU_DEP_3) | instskip(NEXT) | instid1(VALU_DEP_3)
	v_and_b32_e32 v167, 0x1000, v167
	v_and_b32_e32 v168, 0x100000, v168
	s_delay_alu instid0(VALU_DEP_4) | instskip(NEXT) | instid1(VALU_DEP_1)
	v_and_b32_e32 v29, 0x10000000, v29
	v_or3_b32 v29, v168, v29, v30
	s_wait_loadcnt 0x0
	v_lshrrev_b32_e32 v28, 4, v28
	s_delay_alu instid0(VALU_DEP_1) | instskip(NEXT) | instid1(VALU_DEP_1)
	v_and_b32_e32 v28, 0xf0f0f0f, v28
	v_or3_b32 v28, v29, v167, v28
	s_clause 0x1
	global_load_b32 v29, v[20:21], off offset:28
	global_load_b32 v30, v[18:19], off offset:24
	v_dot4_i32_iu8 v28, v28, v37, 0 neg_lo:[1,1,0]
	s_delay_alu instid0(VALU_DEP_1) | instskip(NEXT) | instid1(VALU_DEP_1)
	v_cvt_f32_i32_e32 v28, v28
	v_fma_f32 v28, v0, v28, -v1
	s_delay_alu instid0(VALU_DEP_1) | instskip(SKIP_4) | instid1(VALU_DEP_1)
	v_fma_mix_f32 v28, v28, v31, v166 op_sel_hi:[0,1,0]
	s_wait_loadcnt 0x1
	v_and_b32_e32 v167, 0xf0f0f0f, v29
	s_wait_loadcnt 0x0
	v_dual_ashrrev_i32 v31, v32, v30 :: v_dual_lshrrev_b32 v29, 4, v29
	v_dual_lshlrev_b32 v166, 4, v31 :: v_dual_lshlrev_b32 v168, 11, v31
	v_dual_lshlrev_b32 v169, 18, v31 :: v_dual_lshlrev_b32 v31, 25, v31
	s_delay_alu instid0(VALU_DEP_3) | instskip(NEXT) | instid1(VALU_DEP_3)
	v_and_b32_e32 v29, 0xf0f0f0f, v29
	v_and_b32_e32 v166, 16, v166
	s_delay_alu instid0(VALU_DEP_4) | instskip(NEXT) | instid1(VALU_DEP_4)
	v_and_b32_e32 v168, 0x1000, v168
	v_and_b32_e32 v169, 0x100000, v169
	;; [unrolled: 1-line block ×3, first 2 shown]
	s_delay_alu instid0(VALU_DEP_1) | instskip(SKIP_1) | instid1(VALU_DEP_2)
	v_or3_b32 v31, v31, v167, v169
	v_ashrrev_i32_e32 v167, v177, v30
	v_or3_b32 v31, v31, v166, v168
	global_load_u16 v166, v[18:19], off offset:22
	v_dual_lshlrev_b32 v168, 4, v167 :: v_dual_lshlrev_b32 v169, 11, v167
	v_dual_lshlrev_b32 v197, 18, v167 :: v_dual_lshlrev_b32 v167, 25, v167
	v_dot4_i32_iu8 v31, v31, v38, 0 neg_lo:[1,1,0]
	s_delay_alu instid0(VALU_DEP_3) | instskip(NEXT) | instid1(VALU_DEP_4)
	v_and_b32_e32 v168, 16, v168
	v_and_b32_e32 v169, 0x1000, v169
	s_delay_alu instid0(VALU_DEP_4) | instskip(SKIP_2) | instid1(VALU_DEP_2)
	v_and_b32_e32 v197, 0x100000, v197
	v_and_b32_e32 v167, 0x10000000, v167
	v_cvt_f32_i32_e32 v31, v31
	v_or3_b32 v167, v197, v167, v168
	s_delay_alu instid0(VALU_DEP_2) | instskip(SKIP_1) | instid1(VALU_DEP_1)
	v_fma_f32 v31, v2, v31, -v3
	s_wait_loadcnt 0x0
	v_fma_mix_f32 v28, v31, v166, v28 op_sel_hi:[0,1,0]
	global_load_b32 v31, v[20:21], off offset:36
	s_wait_loadcnt 0x0
	v_and_b32_e32 v31, 0xf0f0f0f, v31
	s_delay_alu instid0(VALU_DEP_1) | instskip(NEXT) | instid1(VALU_DEP_1)
	v_or3_b32 v31, v167, v169, v31
	v_dot4_i32_iu8 v31, v31, v39, 0 neg_lo:[1,1,0]
	s_delay_alu instid0(VALU_DEP_1) | instskip(NEXT) | instid1(VALU_DEP_1)
	v_cvt_f32_i32_e32 v31, v31
	v_fma_f32 v31, v2, v31, -v3
	s_delay_alu instid0(VALU_DEP_1) | instskip(SKIP_1) | instid1(VALU_DEP_1)
	v_fma_mix_f32 v28, v31, v166, v28 op_sel_hi:[0,1,0]
	v_ashrrev_i32_e32 v31, v178, v30
	v_lshlrev_b32_e32 v167, 4, v31
	s_delay_alu instid0(VALU_DEP_1) | instskip(SKIP_2) | instid1(VALU_DEP_2)
	v_and_b32_e32 v167, 16, v167
	v_dual_lshlrev_b32 v168, 11, v31 :: v_dual_lshlrev_b32 v169, 18, v31
	v_lshlrev_b32_e32 v31, 25, v31
	v_and_b32_e32 v168, 0x1000, v168
	s_delay_alu instid0(VALU_DEP_3) | instskip(NEXT) | instid1(VALU_DEP_3)
	v_and_b32_e32 v169, 0x100000, v169
	v_and_b32_e32 v31, 0x10000000, v31
	s_delay_alu instid0(VALU_DEP_1) | instskip(NEXT) | instid1(VALU_DEP_1)
	v_or3_b32 v29, v31, v29, v169
	v_or3_b32 v29, v29, v167, v168
	s_delay_alu instid0(VALU_DEP_1) | instskip(NEXT) | instid1(VALU_DEP_1)
	v_dot4_i32_iu8 v29, v29, v40, 0 neg_lo:[1,1,0]
	v_cvt_f32_i32_e32 v29, v29
	s_delay_alu instid0(VALU_DEP_1) | instskip(NEXT) | instid1(VALU_DEP_1)
	v_fma_f32 v29, v2, v29, -v3
	v_fma_mix_f32 v31, v29, v166, v28 op_sel_hi:[0,1,0]
	v_add_nc_u64_e32 v[28:29], v[18:19], v[70:71]
	global_load_b32 v28, v[28:29], off offset:28
	s_wait_xcnt 0x0
	v_ashrrev_i32_e32 v29, v185, v30
	s_delay_alu instid0(VALU_DEP_1) | instskip(SKIP_1) | instid1(VALU_DEP_2)
	v_dual_lshlrev_b32 v30, 4, v29 :: v_dual_lshlrev_b32 v167, 11, v29
	v_dual_lshlrev_b32 v168, 18, v29 :: v_dual_lshlrev_b32 v29, 25, v29
	v_and_b32_e32 v30, 16, v30
	s_delay_alu instid0(VALU_DEP_3) | instskip(NEXT) | instid1(VALU_DEP_3)
	v_and_b32_e32 v167, 0x1000, v167
	v_and_b32_e32 v168, 0x100000, v168
	s_delay_alu instid0(VALU_DEP_4) | instskip(NEXT) | instid1(VALU_DEP_1)
	v_and_b32_e32 v29, 0x10000000, v29
	v_or3_b32 v29, v168, v29, v30
	s_wait_loadcnt 0x0
	v_lshrrev_b32_e32 v28, 4, v28
	s_delay_alu instid0(VALU_DEP_1) | instskip(NEXT) | instid1(VALU_DEP_1)
	v_and_b32_e32 v28, 0xf0f0f0f, v28
	v_or3_b32 v28, v29, v167, v28
	s_clause 0x1
	global_load_b32 v29, v[20:21], off offset:50
	global_load_b32 v30, v[18:19], off offset:46
	v_dot4_i32_iu8 v28, v28, v41, 0 neg_lo:[1,1,0]
	s_delay_alu instid0(VALU_DEP_1) | instskip(NEXT) | instid1(VALU_DEP_1)
	v_cvt_f32_i32_e32 v28, v28
	v_fma_f32 v28, v2, v28, -v3
	s_delay_alu instid0(VALU_DEP_1) | instskip(SKIP_4) | instid1(VALU_DEP_1)
	v_fma_mix_f32 v28, v28, v166, v31 op_sel_hi:[0,1,0]
	s_wait_loadcnt 0x1
	v_and_b32_e32 v167, 0xf0f0f0f, v29
	s_wait_loadcnt 0x0
	v_dual_ashrrev_i32 v31, v32, v30 :: v_dual_lshrrev_b32 v29, 4, v29
	v_dual_lshlrev_b32 v166, 4, v31 :: v_dual_lshlrev_b32 v168, 11, v31
	v_dual_lshlrev_b32 v169, 18, v31 :: v_dual_lshlrev_b32 v31, 25, v31
	s_delay_alu instid0(VALU_DEP_3) | instskip(NEXT) | instid1(VALU_DEP_3)
	v_and_b32_e32 v29, 0xf0f0f0f, v29
	v_and_b32_e32 v166, 16, v166
	s_delay_alu instid0(VALU_DEP_4) | instskip(NEXT) | instid1(VALU_DEP_4)
	v_and_b32_e32 v168, 0x1000, v168
	v_and_b32_e32 v169, 0x100000, v169
	;; [unrolled: 1-line block ×3, first 2 shown]
	s_delay_alu instid0(VALU_DEP_1) | instskip(SKIP_1) | instid1(VALU_DEP_2)
	v_or3_b32 v31, v31, v167, v169
	v_ashrrev_i32_e32 v167, v177, v30
	v_or3_b32 v31, v31, v166, v168
	global_load_u16 v166, v[18:19], off offset:44
	v_dual_lshlrev_b32 v168, 4, v167 :: v_dual_lshlrev_b32 v169, 11, v167
	v_dual_lshlrev_b32 v197, 18, v167 :: v_dual_lshlrev_b32 v167, 25, v167
	v_dot4_i32_iu8 v31, v31, v42, 0 neg_lo:[1,1,0]
	s_delay_alu instid0(VALU_DEP_3) | instskip(NEXT) | instid1(VALU_DEP_4)
	v_and_b32_e32 v168, 16, v168
	v_and_b32_e32 v169, 0x1000, v169
	s_delay_alu instid0(VALU_DEP_4) | instskip(SKIP_2) | instid1(VALU_DEP_2)
	v_and_b32_e32 v197, 0x100000, v197
	v_and_b32_e32 v167, 0x10000000, v167
	v_cvt_f32_i32_e32 v31, v31
	v_or3_b32 v167, v197, v167, v168
	s_delay_alu instid0(VALU_DEP_2) | instskip(SKIP_1) | instid1(VALU_DEP_1)
	v_fma_f32 v31, v4, v31, -v5
	s_wait_loadcnt 0x0
	v_fma_mix_f32 v28, v31, v166, v28 op_sel_hi:[0,1,0]
	global_load_b32 v31, v[20:21], off offset:58
	s_wait_loadcnt 0x0
	v_and_b32_e32 v31, 0xf0f0f0f, v31
	s_delay_alu instid0(VALU_DEP_1) | instskip(NEXT) | instid1(VALU_DEP_1)
	v_or3_b32 v31, v167, v169, v31
	v_dot4_i32_iu8 v31, v31, v43, 0 neg_lo:[1,1,0]
	s_delay_alu instid0(VALU_DEP_1) | instskip(NEXT) | instid1(VALU_DEP_1)
	v_cvt_f32_i32_e32 v31, v31
	v_fma_f32 v31, v4, v31, -v5
	s_delay_alu instid0(VALU_DEP_1) | instskip(SKIP_1) | instid1(VALU_DEP_1)
	v_fma_mix_f32 v28, v31, v166, v28 op_sel_hi:[0,1,0]
	v_ashrrev_i32_e32 v31, v178, v30
	v_lshlrev_b32_e32 v167, 4, v31
	s_delay_alu instid0(VALU_DEP_1) | instskip(SKIP_2) | instid1(VALU_DEP_2)
	v_and_b32_e32 v167, 16, v167
	v_dual_lshlrev_b32 v168, 11, v31 :: v_dual_lshlrev_b32 v169, 18, v31
	v_lshlrev_b32_e32 v31, 25, v31
	v_and_b32_e32 v168, 0x1000, v168
	s_delay_alu instid0(VALU_DEP_3) | instskip(NEXT) | instid1(VALU_DEP_3)
	v_and_b32_e32 v169, 0x100000, v169
	v_and_b32_e32 v31, 0x10000000, v31
	s_delay_alu instid0(VALU_DEP_1) | instskip(NEXT) | instid1(VALU_DEP_1)
	v_or3_b32 v29, v31, v29, v169
	v_or3_b32 v29, v29, v167, v168
	s_delay_alu instid0(VALU_DEP_1) | instskip(NEXT) | instid1(VALU_DEP_1)
	v_dot4_i32_iu8 v29, v29, v44, 0 neg_lo:[1,1,0]
	v_cvt_f32_i32_e32 v29, v29
	s_delay_alu instid0(VALU_DEP_1) | instskip(NEXT) | instid1(VALU_DEP_1)
	v_fma_f32 v29, v4, v29, -v5
	v_fma_mix_f32 v31, v29, v166, v28 op_sel_hi:[0,1,0]
	v_add_nc_u64_e32 v[28:29], v[18:19], v[72:73]
	global_load_b32 v28, v[28:29], off offset:50
	s_wait_xcnt 0x0
	v_ashrrev_i32_e32 v29, v186, v30
	s_delay_alu instid0(VALU_DEP_1) | instskip(SKIP_1) | instid1(VALU_DEP_2)
	v_dual_lshlrev_b32 v30, 4, v29 :: v_dual_lshlrev_b32 v167, 11, v29
	v_dual_lshlrev_b32 v168, 18, v29 :: v_dual_lshlrev_b32 v29, 25, v29
	v_and_b32_e32 v30, 16, v30
	s_delay_alu instid0(VALU_DEP_3) | instskip(NEXT) | instid1(VALU_DEP_3)
	v_and_b32_e32 v167, 0x1000, v167
	v_and_b32_e32 v168, 0x100000, v168
	s_delay_alu instid0(VALU_DEP_4) | instskip(NEXT) | instid1(VALU_DEP_1)
	v_and_b32_e32 v29, 0x10000000, v29
	v_or3_b32 v29, v168, v29, v30
	s_wait_loadcnt 0x0
	v_lshrrev_b32_e32 v28, 4, v28
	s_delay_alu instid0(VALU_DEP_1) | instskip(NEXT) | instid1(VALU_DEP_1)
	v_and_b32_e32 v28, 0xf0f0f0f, v28
	v_or3_b32 v28, v29, v167, v28
	s_clause 0x1
	global_load_b32 v29, v[20:21], off offset:72
	global_load_b32 v30, v[18:19], off offset:68
	v_dot4_i32_iu8 v28, v28, v45, 0 neg_lo:[1,1,0]
	s_delay_alu instid0(VALU_DEP_1) | instskip(NEXT) | instid1(VALU_DEP_1)
	v_cvt_f32_i32_e32 v28, v28
	v_fma_f32 v28, v4, v28, -v5
	s_delay_alu instid0(VALU_DEP_1) | instskip(SKIP_4) | instid1(VALU_DEP_1)
	v_fma_mix_f32 v28, v28, v166, v31 op_sel_hi:[0,1,0]
	s_wait_loadcnt 0x1
	v_and_b32_e32 v167, 0xf0f0f0f, v29
	s_wait_loadcnt 0x0
	v_dual_ashrrev_i32 v31, v32, v30 :: v_dual_lshrrev_b32 v29, 4, v29
	v_dual_lshlrev_b32 v166, 4, v31 :: v_dual_lshlrev_b32 v168, 11, v31
	v_dual_lshlrev_b32 v169, 18, v31 :: v_dual_lshlrev_b32 v31, 25, v31
	s_delay_alu instid0(VALU_DEP_3) | instskip(NEXT) | instid1(VALU_DEP_3)
	v_and_b32_e32 v29, 0xf0f0f0f, v29
	v_and_b32_e32 v166, 16, v166
	s_delay_alu instid0(VALU_DEP_4) | instskip(NEXT) | instid1(VALU_DEP_4)
	v_and_b32_e32 v168, 0x1000, v168
	v_and_b32_e32 v169, 0x100000, v169
	;; [unrolled: 1-line block ×3, first 2 shown]
	s_delay_alu instid0(VALU_DEP_1) | instskip(SKIP_1) | instid1(VALU_DEP_2)
	v_or3_b32 v31, v31, v167, v169
	v_ashrrev_i32_e32 v167, v177, v30
	v_or3_b32 v31, v31, v166, v168
	global_load_u16 v166, v[18:19], off offset:66
	v_dual_lshlrev_b32 v168, 4, v167 :: v_dual_lshlrev_b32 v169, 11, v167
	v_dual_lshlrev_b32 v197, 18, v167 :: v_dual_lshlrev_b32 v167, 25, v167
	v_dot4_i32_iu8 v31, v31, v46, 0 neg_lo:[1,1,0]
	s_delay_alu instid0(VALU_DEP_3) | instskip(NEXT) | instid1(VALU_DEP_4)
	v_and_b32_e32 v168, 16, v168
	v_and_b32_e32 v169, 0x1000, v169
	s_delay_alu instid0(VALU_DEP_4) | instskip(SKIP_2) | instid1(VALU_DEP_2)
	v_and_b32_e32 v197, 0x100000, v197
	v_and_b32_e32 v167, 0x10000000, v167
	v_cvt_f32_i32_e32 v31, v31
	v_or3_b32 v167, v197, v167, v168
	s_delay_alu instid0(VALU_DEP_2) | instskip(SKIP_1) | instid1(VALU_DEP_1)
	v_fma_f32 v31, v6, v31, -v7
	s_wait_loadcnt 0x0
	v_fma_mix_f32 v28, v31, v166, v28 op_sel_hi:[0,1,0]
	global_load_b32 v31, v[20:21], off offset:80
	s_wait_loadcnt 0x0
	v_and_b32_e32 v31, 0xf0f0f0f, v31
	s_delay_alu instid0(VALU_DEP_1) | instskip(NEXT) | instid1(VALU_DEP_1)
	v_or3_b32 v31, v167, v169, v31
	v_dot4_i32_iu8 v31, v31, v47, 0 neg_lo:[1,1,0]
	s_delay_alu instid0(VALU_DEP_1) | instskip(NEXT) | instid1(VALU_DEP_1)
	v_cvt_f32_i32_e32 v31, v31
	v_fma_f32 v31, v6, v31, -v7
	s_delay_alu instid0(VALU_DEP_1) | instskip(SKIP_1) | instid1(VALU_DEP_1)
	v_fma_mix_f32 v28, v31, v166, v28 op_sel_hi:[0,1,0]
	v_ashrrev_i32_e32 v31, v178, v30
	v_lshlrev_b32_e32 v167, 4, v31
	s_delay_alu instid0(VALU_DEP_1) | instskip(SKIP_2) | instid1(VALU_DEP_2)
	v_and_b32_e32 v167, 16, v167
	v_dual_lshlrev_b32 v168, 11, v31 :: v_dual_lshlrev_b32 v169, 18, v31
	v_lshlrev_b32_e32 v31, 25, v31
	v_and_b32_e32 v168, 0x1000, v168
	s_delay_alu instid0(VALU_DEP_3) | instskip(NEXT) | instid1(VALU_DEP_3)
	v_and_b32_e32 v169, 0x100000, v169
	v_and_b32_e32 v31, 0x10000000, v31
	s_delay_alu instid0(VALU_DEP_1) | instskip(NEXT) | instid1(VALU_DEP_1)
	v_or3_b32 v29, v31, v29, v169
	v_or3_b32 v29, v29, v167, v168
	s_delay_alu instid0(VALU_DEP_1) | instskip(NEXT) | instid1(VALU_DEP_1)
	v_dot4_i32_iu8 v29, v29, v48, 0 neg_lo:[1,1,0]
	v_cvt_f32_i32_e32 v29, v29
	s_delay_alu instid0(VALU_DEP_1) | instskip(NEXT) | instid1(VALU_DEP_1)
	v_fma_f32 v29, v6, v29, -v7
	v_fma_mix_f32 v31, v29, v166, v28 op_sel_hi:[0,1,0]
	v_add_nc_u64_e32 v[28:29], v[18:19], v[74:75]
	global_load_b32 v28, v[28:29], off offset:72
	s_wait_xcnt 0x0
	v_ashrrev_i32_e32 v29, v187, v30
	s_delay_alu instid0(VALU_DEP_1) | instskip(SKIP_1) | instid1(VALU_DEP_2)
	v_dual_lshlrev_b32 v30, 4, v29 :: v_dual_lshlrev_b32 v167, 11, v29
	v_dual_lshlrev_b32 v168, 18, v29 :: v_dual_lshlrev_b32 v29, 25, v29
	v_and_b32_e32 v30, 16, v30
	s_delay_alu instid0(VALU_DEP_3) | instskip(NEXT) | instid1(VALU_DEP_3)
	v_and_b32_e32 v167, 0x1000, v167
	v_and_b32_e32 v168, 0x100000, v168
	s_delay_alu instid0(VALU_DEP_4) | instskip(NEXT) | instid1(VALU_DEP_1)
	v_and_b32_e32 v29, 0x10000000, v29
	v_or3_b32 v29, v168, v29, v30
	s_wait_loadcnt 0x0
	v_lshrrev_b32_e32 v28, 4, v28
	s_delay_alu instid0(VALU_DEP_1) | instskip(NEXT) | instid1(VALU_DEP_1)
	v_and_b32_e32 v28, 0xf0f0f0f, v28
	v_or3_b32 v28, v29, v167, v28
	s_clause 0x1
	global_load_b32 v29, v[20:21], off offset:94
	global_load_b32 v30, v[18:19], off offset:90
	v_dot4_i32_iu8 v28, v28, v49, 0 neg_lo:[1,1,0]
	s_delay_alu instid0(VALU_DEP_1) | instskip(NEXT) | instid1(VALU_DEP_1)
	v_cvt_f32_i32_e32 v28, v28
	v_fma_f32 v28, v6, v28, -v7
	s_delay_alu instid0(VALU_DEP_1) | instskip(SKIP_4) | instid1(VALU_DEP_1)
	v_fma_mix_f32 v28, v28, v166, v31 op_sel_hi:[0,1,0]
	s_wait_loadcnt 0x1
	v_and_b32_e32 v167, 0xf0f0f0f, v29
	s_wait_loadcnt 0x0
	v_dual_ashrrev_i32 v31, v32, v30 :: v_dual_lshrrev_b32 v29, 4, v29
	v_dual_lshlrev_b32 v166, 4, v31 :: v_dual_lshlrev_b32 v168, 11, v31
	v_dual_lshlrev_b32 v169, 18, v31 :: v_dual_lshlrev_b32 v31, 25, v31
	s_delay_alu instid0(VALU_DEP_3) | instskip(NEXT) | instid1(VALU_DEP_3)
	v_and_b32_e32 v29, 0xf0f0f0f, v29
	v_and_b32_e32 v166, 16, v166
	s_delay_alu instid0(VALU_DEP_4) | instskip(NEXT) | instid1(VALU_DEP_4)
	v_and_b32_e32 v168, 0x1000, v168
	v_and_b32_e32 v169, 0x100000, v169
	;; [unrolled: 1-line block ×3, first 2 shown]
	s_delay_alu instid0(VALU_DEP_1) | instskip(SKIP_1) | instid1(VALU_DEP_2)
	v_or3_b32 v31, v31, v167, v169
	v_ashrrev_i32_e32 v167, v177, v30
	v_or3_b32 v31, v31, v166, v168
	global_load_u16 v166, v[18:19], off offset:88
	v_dual_lshlrev_b32 v168, 4, v167 :: v_dual_lshlrev_b32 v169, 11, v167
	v_dual_lshlrev_b32 v197, 18, v167 :: v_dual_lshlrev_b32 v167, 25, v167
	v_dot4_i32_iu8 v31, v31, v50, 0 neg_lo:[1,1,0]
	s_delay_alu instid0(VALU_DEP_3) | instskip(NEXT) | instid1(VALU_DEP_4)
	v_and_b32_e32 v168, 16, v168
	v_and_b32_e32 v169, 0x1000, v169
	s_delay_alu instid0(VALU_DEP_4) | instskip(SKIP_2) | instid1(VALU_DEP_2)
	v_and_b32_e32 v197, 0x100000, v197
	v_and_b32_e32 v167, 0x10000000, v167
	v_cvt_f32_i32_e32 v31, v31
	v_or3_b32 v167, v197, v167, v168
	s_delay_alu instid0(VALU_DEP_2) | instskip(SKIP_1) | instid1(VALU_DEP_1)
	v_fma_f32 v31, v8, v31, -v9
	s_wait_loadcnt 0x0
	v_fma_mix_f32 v28, v31, v166, v28 op_sel_hi:[0,1,0]
	global_load_b32 v31, v[20:21], off offset:102
	s_wait_loadcnt 0x0
	v_and_b32_e32 v31, 0xf0f0f0f, v31
	s_delay_alu instid0(VALU_DEP_1) | instskip(NEXT) | instid1(VALU_DEP_1)
	v_or3_b32 v31, v167, v169, v31
	v_dot4_i32_iu8 v31, v31, v51, 0 neg_lo:[1,1,0]
	s_delay_alu instid0(VALU_DEP_1) | instskip(NEXT) | instid1(VALU_DEP_1)
	v_cvt_f32_i32_e32 v31, v31
	v_fma_f32 v31, v8, v31, -v9
	s_delay_alu instid0(VALU_DEP_1) | instskip(SKIP_1) | instid1(VALU_DEP_1)
	v_fma_mix_f32 v28, v31, v166, v28 op_sel_hi:[0,1,0]
	v_ashrrev_i32_e32 v31, v178, v30
	v_lshlrev_b32_e32 v167, 4, v31
	s_delay_alu instid0(VALU_DEP_1) | instskip(SKIP_2) | instid1(VALU_DEP_2)
	v_and_b32_e32 v167, 16, v167
	v_dual_lshlrev_b32 v168, 11, v31 :: v_dual_lshlrev_b32 v169, 18, v31
	v_lshlrev_b32_e32 v31, 25, v31
	v_and_b32_e32 v168, 0x1000, v168
	s_delay_alu instid0(VALU_DEP_3) | instskip(NEXT) | instid1(VALU_DEP_3)
	v_and_b32_e32 v169, 0x100000, v169
	v_and_b32_e32 v31, 0x10000000, v31
	s_delay_alu instid0(VALU_DEP_1) | instskip(NEXT) | instid1(VALU_DEP_1)
	v_or3_b32 v29, v31, v29, v169
	v_or3_b32 v29, v29, v167, v168
	s_delay_alu instid0(VALU_DEP_1) | instskip(NEXT) | instid1(VALU_DEP_1)
	v_dot4_i32_iu8 v29, v29, v52, 0 neg_lo:[1,1,0]
	v_cvt_f32_i32_e32 v29, v29
	s_delay_alu instid0(VALU_DEP_1) | instskip(NEXT) | instid1(VALU_DEP_1)
	v_fma_f32 v29, v8, v29, -v9
	v_fma_mix_f32 v31, v29, v166, v28 op_sel_hi:[0,1,0]
	v_add_nc_u64_e32 v[28:29], v[18:19], v[76:77]
	global_load_b32 v28, v[28:29], off offset:94
	s_wait_xcnt 0x0
	v_ashrrev_i32_e32 v29, v188, v30
	s_delay_alu instid0(VALU_DEP_1) | instskip(SKIP_1) | instid1(VALU_DEP_2)
	v_dual_lshlrev_b32 v30, 4, v29 :: v_dual_lshlrev_b32 v167, 11, v29
	v_dual_lshlrev_b32 v168, 18, v29 :: v_dual_lshlrev_b32 v29, 25, v29
	v_and_b32_e32 v30, 16, v30
	s_delay_alu instid0(VALU_DEP_3) | instskip(NEXT) | instid1(VALU_DEP_3)
	v_and_b32_e32 v167, 0x1000, v167
	v_and_b32_e32 v168, 0x100000, v168
	s_delay_alu instid0(VALU_DEP_4) | instskip(NEXT) | instid1(VALU_DEP_1)
	v_and_b32_e32 v29, 0x10000000, v29
	v_or3_b32 v29, v168, v29, v30
	s_wait_loadcnt 0x0
	v_lshrrev_b32_e32 v28, 4, v28
	s_delay_alu instid0(VALU_DEP_1) | instskip(NEXT) | instid1(VALU_DEP_1)
	v_and_b32_e32 v28, 0xf0f0f0f, v28
	v_or3_b32 v28, v29, v167, v28
	s_delay_alu instid0(VALU_DEP_1) | instskip(NEXT) | instid1(VALU_DEP_1)
	v_dot4_i32_iu8 v28, v28, v53, 0 neg_lo:[1,1,0]
	v_cvt_f32_i32_e32 v28, v28
	s_delay_alu instid0(VALU_DEP_1) | instskip(NEXT) | instid1(VALU_DEP_1)
	v_fma_f32 v28, v8, v28, -v9
	v_fma_mix_f32 v29, v28, v166, v31 op_sel_hi:[0,1,0]
	s_clause 0x1
	global_load_b32 v30, v[20:21], off offset:116
	global_load_b32 v166, v[18:19], off offset:112
	s_wait_loadcnt 0x1
	v_and_b32_e32 v167, 0xf0f0f0f, v30
	s_wait_loadcnt 0x0
	v_ashrrev_i32_e32 v28, v32, v166
	s_delay_alu instid0(VALU_DEP_1) | instskip(NEXT) | instid1(VALU_DEP_1)
	v_lshlrev_b32_e32 v31, 4, v28
	v_dual_lshlrev_b32 v168, 11, v28 :: v_dual_bitop2_b32 v31, 16, v31 bitop3:0x40
	v_dual_lshlrev_b32 v169, 18, v28 :: v_dual_lshlrev_b32 v28, 25, v28
	s_delay_alu instid0(VALU_DEP_2) | instskip(NEXT) | instid1(VALU_DEP_2)
	v_and_b32_e32 v168, 0x1000, v168
	v_and_b32_e32 v169, 0x100000, v169
	s_delay_alu instid0(VALU_DEP_3) | instskip(NEXT) | instid1(VALU_DEP_1)
	v_and_b32_e32 v28, 0x10000000, v28
	v_or3_b32 v28, v28, v167, v169
	global_load_u16 v167, v[18:19], off offset:110
	v_or3_b32 v28, v28, v31, v168
	v_ashrrev_i32_e32 v168, v177, v166
	s_delay_alu instid0(VALU_DEP_2) | instskip(NEXT) | instid1(VALU_DEP_2)
	v_dot4_i32_iu8 v31, v28, v54, 0 neg_lo:[1,1,0]
	v_dual_lshlrev_b32 v169, 4, v168 :: v_dual_lshlrev_b32 v197, 11, v168
	v_dual_lshlrev_b32 v198, 18, v168 :: v_dual_lshlrev_b32 v168, 25, v168
	s_delay_alu instid0(VALU_DEP_3) | instskip(NEXT) | instid1(VALU_DEP_3)
	v_cvt_f32_i32_e32 v31, v31
	v_and_b32_e32 v169, 16, v169
	s_delay_alu instid0(VALU_DEP_4) | instskip(NEXT) | instid1(VALU_DEP_4)
	v_and_b32_e32 v197, 0x1000, v197
	v_and_b32_e32 v198, 0x100000, v198
	;; [unrolled: 1-line block ×3, first 2 shown]
	v_fma_f32 v31, v10, v31, -v96
	s_delay_alu instid0(VALU_DEP_2) | instskip(SKIP_1) | instid1(VALU_DEP_2)
	v_or3_b32 v168, v198, v168, v169
	s_wait_loadcnt 0x0
	v_fma_mix_f32 v29, v31, v167, v29 op_sel_hi:[0,1,0]
	global_load_b32 v31, v[20:21], off offset:124
	v_cvt_f32_f16_e64 v28, v167
	s_wait_loadcnt 0x0
	v_and_b32_e32 v31, 0xf0f0f0f, v31
	s_delay_alu instid0(VALU_DEP_1) | instskip(NEXT) | instid1(VALU_DEP_1)
	v_or3_b32 v31, v168, v197, v31
	v_dot4_i32_iu8 v31, v31, v55, 0 neg_lo:[1,1,0]
	s_delay_alu instid0(VALU_DEP_1) | instskip(NEXT) | instid1(VALU_DEP_1)
	v_cvt_f32_i32_e32 v31, v31
	v_fma_f32 v31, v10, v31, -v96
	s_delay_alu instid0(VALU_DEP_1) | instskip(SKIP_2) | instid1(VALU_DEP_1)
	v_fma_mix_f32 v167, v31, v167, v29 op_sel_hi:[0,1,0]
	v_lshrrev_b32_e32 v29, 4, v30
	v_ashrrev_i32_e32 v30, v178, v166
	v_lshlrev_b32_e32 v31, 4, v30
	s_delay_alu instid0(VALU_DEP_3) | instskip(NEXT) | instid1(VALU_DEP_2)
	v_and_b32_e32 v29, 0xf0f0f0f, v29
	v_dual_lshlrev_b32 v168, 11, v30 :: v_dual_bitop2_b32 v31, 16, v31 bitop3:0x40
	v_dual_lshlrev_b32 v169, 18, v30 :: v_dual_lshlrev_b32 v30, 25, v30
	s_delay_alu instid0(VALU_DEP_2) | instskip(NEXT) | instid1(VALU_DEP_2)
	v_and_b32_e32 v168, 0x1000, v168
	v_and_b32_e32 v169, 0x100000, v169
	s_delay_alu instid0(VALU_DEP_3) | instskip(NEXT) | instid1(VALU_DEP_1)
	v_and_b32_e32 v30, 0x10000000, v30
	v_or3_b32 v29, v30, v29, v169
	s_delay_alu instid0(VALU_DEP_1) | instskip(SKIP_1) | instid1(VALU_DEP_2)
	v_or3_b32 v29, v29, v31, v168
	v_add_nc_u64_e32 v[30:31], v[18:19], v[78:79]
	v_dot4_i32_iu8 v29, v29, v56, 0 neg_lo:[1,1,0]
	global_load_b32 v30, v[30:31], off offset:116
	s_wait_xcnt 0x0
	v_ashrrev_i32_e32 v31, v190, v166
	s_delay_alu instid0(VALU_DEP_1) | instskip(NEXT) | instid1(VALU_DEP_1)
	v_lshlrev_b32_e32 v166, 4, v31
	v_dual_lshlrev_b32 v169, 18, v31 :: v_dual_bitop2_b32 v166, 16, v166 bitop3:0x40
	v_dual_lshlrev_b32 v168, 11, v31 :: v_dual_lshlrev_b32 v31, 25, v31
	s_delay_alu instid0(VALU_DEP_2) | instskip(NEXT) | instid1(VALU_DEP_2)
	v_and_b32_e32 v169, 0x100000, v169
	v_and_b32_e32 v168, 0x1000, v168
	s_delay_alu instid0(VALU_DEP_3) | instskip(NEXT) | instid1(VALU_DEP_1)
	v_and_b32_e32 v31, 0x10000000, v31
	v_or3_b32 v31, v169, v31, v166
	s_wait_loadcnt 0x0
	v_lshrrev_b32_e32 v30, 4, v30
	s_delay_alu instid0(VALU_DEP_1) | instskip(NEXT) | instid1(VALU_DEP_1)
	v_and_b32_e32 v30, 0xf0f0f0f, v30
	v_or3_b32 v30, v31, v168, v30
	s_delay_alu instid0(VALU_DEP_1) | instskip(NEXT) | instid1(VALU_DEP_1)
	v_dot4_i32_iu8 v30, v30, v57, 0 neg_lo:[1,1,0]
	v_cvt_f32_i32_e32 v31, v30
	v_cvt_f32_i32_e32 v30, v29
	s_delay_alu instid0(VALU_DEP_1) | instskip(NEXT) | instid1(VALU_DEP_1)
	v_pk_fma_f32 v[30:31], v[10:11], v[30:31], v[96:97] neg_lo:[0,0,1] neg_hi:[0,0,1]
	v_pk_mul_f32 v[28:29], v[30:31], v[28:29] op_sel_hi:[1,0]
	s_delay_alu instid0(VALU_DEP_1)
	v_add_f32_e32 v28, v28, v167
	s_clause 0x1
	global_load_b32 v166, v[20:21], off offset:138
	global_load_b32 v167, v[18:19], off offset:134
	v_add_f32_e32 v29, v28, v29
	s_wait_loadcnt 0x1
	v_and_b32_e32 v31, 0xf0f0f0f, v166
	s_wait_loadcnt 0x0
	v_ashrrev_i32_e32 v28, v32, v167
	s_delay_alu instid0(VALU_DEP_1) | instskip(SKIP_1) | instid1(VALU_DEP_2)
	v_dual_lshlrev_b32 v30, 4, v28 :: v_dual_lshlrev_b32 v168, 11, v28
	v_dual_lshlrev_b32 v169, 18, v28 :: v_dual_lshlrev_b32 v28, 25, v28
	v_and_b32_e32 v30, 16, v30
	s_delay_alu instid0(VALU_DEP_3) | instskip(NEXT) | instid1(VALU_DEP_3)
	v_and_b32_e32 v168, 0x1000, v168
	v_and_b32_e32 v169, 0x100000, v169
	s_delay_alu instid0(VALU_DEP_4) | instskip(NEXT) | instid1(VALU_DEP_1)
	v_and_b32_e32 v28, 0x10000000, v28
	v_or3_b32 v28, v28, v31, v169
	global_load_b32 v31, v[20:21], off offset:146
	v_or3_b32 v28, v28, v30, v168
	v_ashrrev_i32_e32 v168, v177, v167
	s_delay_alu instid0(VALU_DEP_2) | instskip(SKIP_4) | instid1(VALU_DEP_3)
	v_dot4_i32_iu8 v30, v28, v58, 0 neg_lo:[1,1,0]
	global_load_u16 v28, v[18:19], off offset:132
	v_dual_lshlrev_b32 v169, 4, v168 :: v_dual_lshlrev_b32 v197, 11, v168
	v_dual_lshlrev_b32 v198, 18, v168 :: v_dual_lshlrev_b32 v168, 25, v168
	v_cvt_f32_i32_e32 v30, v30
	v_and_b32_e32 v169, 16, v169
	s_delay_alu instid0(VALU_DEP_4) | instskip(NEXT) | instid1(VALU_DEP_4)
	v_and_b32_e32 v197, 0x1000, v197
	v_and_b32_e32 v198, 0x100000, v198
	;; [unrolled: 1-line block ×3, first 2 shown]
	s_delay_alu instid0(VALU_DEP_1) | instskip(SKIP_2) | instid1(VALU_DEP_1)
	v_or3_b32 v168, v198, v168, v169
	s_wait_loadcnt 0x1
	v_and_b32_e32 v31, 0xf0f0f0f, v31
	v_or3_b32 v31, v168, v197, v31
	s_wait_loadcnt 0x0
	v_cvt_f32_f16_e32 v28, v28
	s_delay_alu instid0(VALU_DEP_2) | instskip(NEXT) | instid1(VALU_DEP_1)
	v_dot4_i32_iu8 v31, v31, v59, 0 neg_lo:[1,1,0]
	v_cvt_f32_i32_e32 v31, v31
	s_delay_alu instid0(VALU_DEP_1) | instskip(NEXT) | instid1(VALU_DEP_1)
	v_pk_fma_f32 v[30:31], v[12:13], v[30:31], v[94:95] neg_lo:[0,0,1] neg_hi:[0,0,1]
	v_pk_mul_f32 v[30:31], v[30:31], v[28:29] op_sel_hi:[1,0]
	s_delay_alu instid0(VALU_DEP_1) | instskip(NEXT) | instid1(VALU_DEP_1)
	v_dual_add_f32 v29, v29, v30 :: v_dual_ashrrev_i32 v30, v178, v167
	v_dual_add_f32 v168, v29, v31 :: v_dual_lshrrev_b32 v29, 4, v166
	s_delay_alu instid0(VALU_DEP_2) | instskip(SKIP_1) | instid1(VALU_DEP_3)
	v_dual_lshlrev_b32 v31, 4, v30 :: v_dual_lshlrev_b32 v166, 11, v30
	v_dual_lshlrev_b32 v169, 18, v30 :: v_dual_lshlrev_b32 v30, 25, v30
	v_and_b32_e32 v29, 0xf0f0f0f, v29
	s_delay_alu instid0(VALU_DEP_3) | instskip(NEXT) | instid1(VALU_DEP_4)
	v_and_b32_e32 v31, 16, v31
	v_and_b32_e32 v166, 0x1000, v166
	s_delay_alu instid0(VALU_DEP_4) | instskip(SKIP_1) | instid1(VALU_DEP_1)
	v_and_b32_e32 v169, 0x100000, v169
	v_and_b32_e32 v30, 0x10000000, v30
	v_or3_b32 v29, v30, v29, v169
	s_delay_alu instid0(VALU_DEP_1) | instskip(SKIP_1) | instid1(VALU_DEP_2)
	v_or3_b32 v29, v29, v31, v166
	v_add_nc_u64_e32 v[30:31], v[18:19], v[82:83]
	v_dot4_i32_iu8 v29, v29, v60, 0 neg_lo:[1,1,0]
	global_load_b32 v30, v[30:31], off offset:138
	s_wait_xcnt 0x0
	v_ashrrev_i32_e32 v31, v191, v167
	s_delay_alu instid0(VALU_DEP_1) | instskip(SKIP_1) | instid1(VALU_DEP_2)
	v_dual_lshlrev_b32 v169, 18, v31 :: v_dual_lshlrev_b32 v166, 4, v31
	v_dual_lshlrev_b32 v167, 11, v31 :: v_dual_lshlrev_b32 v31, 25, v31
	v_and_b32_e32 v169, 0x100000, v169
	s_delay_alu instid0(VALU_DEP_3) | instskip(NEXT) | instid1(VALU_DEP_3)
	v_and_b32_e32 v166, 16, v166
	v_and_b32_e32 v167, 0x1000, v167
	s_delay_alu instid0(VALU_DEP_4) | instskip(NEXT) | instid1(VALU_DEP_1)
	v_and_b32_e32 v31, 0x10000000, v31
	v_or3_b32 v31, v169, v31, v166
	s_wait_loadcnt 0x0
	v_lshrrev_b32_e32 v30, 4, v30
	s_delay_alu instid0(VALU_DEP_1) | instskip(NEXT) | instid1(VALU_DEP_1)
	v_and_b32_e32 v30, 0xf0f0f0f, v30
	v_or3_b32 v30, v31, v167, v30
	s_delay_alu instid0(VALU_DEP_1) | instskip(NEXT) | instid1(VALU_DEP_1)
	v_dot4_i32_iu8 v30, v30, v61, 0 neg_lo:[1,1,0]
	v_cvt_f32_i32_e32 v31, v30
	v_cvt_f32_i32_e32 v30, v29
	s_delay_alu instid0(VALU_DEP_1) | instskip(NEXT) | instid1(VALU_DEP_1)
	v_pk_fma_f32 v[30:31], v[12:13], v[30:31], v[94:95] neg_lo:[0,0,1] neg_hi:[0,0,1]
	v_pk_mul_f32 v[28:29], v[30:31], v[28:29] op_sel_hi:[1,0]
	s_clause 0x2
	global_load_b32 v30, v[20:21], off offset:160
	global_load_b32 v31, v[18:19], off offset:156
	;; [unrolled: 1-line block ×3, first 2 shown]
	v_add_f32_e32 v28, v28, v168
	s_delay_alu instid0(VALU_DEP_1)
	v_add_f32_e32 v29, v28, v29
	s_wait_loadcnt 0x2
	v_and_b32_e32 v167, 0xf0f0f0f, v30
	s_wait_loadcnt 0x1
	s_wait_xcnt 0x0
	v_dual_ashrrev_i32 v28, v32, v31 :: v_dual_ashrrev_i32 v21, v177, v31
	s_wait_loadcnt 0x0
	v_and_b32_e32 v20, 0xf0f0f0f, v20
	s_delay_alu instid0(VALU_DEP_2) | instskip(SKIP_1) | instid1(VALU_DEP_2)
	v_dual_lshlrev_b32 v166, 4, v28 :: v_dual_lshlrev_b32 v168, 11, v28
	v_dual_lshlrev_b32 v169, 18, v28 :: v_dual_lshlrev_b32 v28, 25, v28
	v_and_b32_e32 v166, 16, v166
	s_delay_alu instid0(VALU_DEP_3) | instskip(NEXT) | instid1(VALU_DEP_3)
	v_and_b32_e32 v168, 0x1000, v168
	v_and_b32_e32 v169, 0x100000, v169
	s_delay_alu instid0(VALU_DEP_4) | instskip(NEXT) | instid1(VALU_DEP_1)
	v_and_b32_e32 v28, 0x10000000, v28
	v_or3_b32 v28, v28, v167, v169
	v_dual_lshlrev_b32 v167, 4, v21 :: v_dual_lshlrev_b32 v169, 18, v21
	s_delay_alu instid0(VALU_DEP_2) | instskip(NEXT) | instid1(VALU_DEP_2)
	v_or3_b32 v28, v28, v166, v168
	v_dual_lshlrev_b32 v168, 11, v21 :: v_dual_bitop2_b32 v167, 16, v167 bitop3:0x40
	v_lshlrev_b32_e32 v21, 25, v21
	s_delay_alu instid0(VALU_DEP_4) | instskip(NEXT) | instid1(VALU_DEP_4)
	v_and_b32_e32 v169, 0x100000, v169
	v_dot4_i32_iu8 v166, v28, v62, 0 neg_lo:[1,1,0]
	global_load_u16 v28, v[18:19], off offset:154
	s_wait_xcnt 0x0
	v_add_nc_u64_e32 v[18:19], v[18:19], v[84:85]
	v_and_b32_e32 v21, 0x10000000, v21
	v_and_b32_e32 v168, 0x1000, v168
	s_delay_alu instid0(VALU_DEP_2) | instskip(SKIP_4) | instid1(VALU_DEP_1)
	v_or3_b32 v21, v169, v21, v167
	global_load_b32 v18, v[18:19], off offset:160
	s_wait_xcnt 0x0
	v_ashrrev_i32_e32 v19, v192, v31
	v_or3_b32 v20, v21, v168, v20
	v_dot4_i32_iu8 v20, v20, v63, 0 neg_lo:[1,1,0]
	s_delay_alu instid0(VALU_DEP_1) | instskip(SKIP_1) | instid1(VALU_DEP_1)
	v_cvt_f32_i32_e32 v21, v20
	v_cvt_f32_i32_e32 v20, v166
	v_pk_fma_f32 v[20:21], v[14:15], v[20:21], v[90:91] neg_lo:[0,0,1] neg_hi:[0,0,1]
	s_wait_loadcnt 0x1
	v_cvt_f32_f16_e32 v28, v28
	s_delay_alu instid0(VALU_DEP_1) | instskip(SKIP_1) | instid1(VALU_DEP_1)
	v_pk_mul_f32 v[20:21], v[20:21], v[28:29] op_sel_hi:[1,0]
	s_wait_loadcnt 0x0
	v_dual_lshrrev_b32 v18, 4, v18 :: v_dual_add_f32 v20, v29, v20
	v_ashrrev_i32_e32 v29, v178, v31
	s_delay_alu instid0(VALU_DEP_2) | instskip(NEXT) | instid1(VALU_DEP_3)
	v_and_b32_e32 v18, 0xf0f0f0f, v18
	v_dual_add_f32 v20, v20, v21 :: v_dual_lshrrev_b32 v21, 4, v30
	s_delay_alu instid0(VALU_DEP_3) | instskip(SKIP_1) | instid1(VALU_DEP_3)
	v_dual_lshlrev_b32 v30, 4, v29 :: v_dual_lshlrev_b32 v166, 11, v29
	v_dual_lshlrev_b32 v167, 18, v29 :: v_dual_lshlrev_b32 v29, 25, v29
	v_and_b32_e32 v21, 0xf0f0f0f, v21
	s_delay_alu instid0(VALU_DEP_3) | instskip(NEXT) | instid1(VALU_DEP_4)
	v_and_b32_e32 v30, 16, v30
	v_and_b32_e32 v166, 0x1000, v166
	s_delay_alu instid0(VALU_DEP_4) | instskip(SKIP_1) | instid1(VALU_DEP_1)
	v_and_b32_e32 v167, 0x100000, v167
	v_and_b32_e32 v29, 0x10000000, v29
	v_or3_b32 v21, v29, v21, v167
	v_lshlrev_b32_e32 v29, 4, v19
	s_delay_alu instid0(VALU_DEP_2) | instskip(NEXT) | instid1(VALU_DEP_2)
	v_or3_b32 v21, v21, v30, v166
	v_dual_lshlrev_b32 v30, 11, v19 :: v_dual_bitop2_b32 v29, 16, v29 bitop3:0x40
	v_dual_lshlrev_b32 v31, 18, v19 :: v_dual_lshlrev_b32 v19, 25, v19
	s_delay_alu instid0(VALU_DEP_3) | instskip(NEXT) | instid1(VALU_DEP_3)
	v_dot4_i32_iu8 v21, v21, v64, 0 neg_lo:[1,1,0]
	v_and_b32_e32 v30, 0x1000, v30
	s_delay_alu instid0(VALU_DEP_3) | instskip(NEXT) | instid1(VALU_DEP_4)
	v_and_b32_e32 v31, 0x100000, v31
	v_and_b32_e32 v19, 0x10000000, v19
	s_delay_alu instid0(VALU_DEP_1) | instskip(NEXT) | instid1(VALU_DEP_1)
	v_or3_b32 v19, v31, v19, v29
	v_or3_b32 v18, v19, v30, v18
	s_delay_alu instid0(VALU_DEP_1) | instskip(NEXT) | instid1(VALU_DEP_1)
	v_dot4_i32_iu8 v18, v18, v65, 0 neg_lo:[1,1,0]
	v_cvt_f32_i32_e32 v19, v18
	v_cvt_f32_i32_e32 v18, v21
	s_delay_alu instid0(VALU_DEP_1) | instskip(NEXT) | instid1(VALU_DEP_1)
	v_pk_fma_f32 v[18:19], v[14:15], v[18:19], v[90:91] neg_lo:[0,0,1] neg_hi:[0,0,1]
	v_pk_mul_f32 v[18:19], v[18:19], v[28:29] op_sel_hi:[1,0]
	s_delay_alu instid0(VALU_DEP_1) | instskip(NEXT) | instid1(VALU_DEP_1)
	v_add_f32_e32 v18, v18, v20
	v_add_f32_e32 v18, v18, v19
	ds_bpermute_b32 v19, v184, v18
	s_wait_dscnt 0x0
	v_add_f32_e32 v18, v18, v19
                                        ; implicit-def: $vgpr19
	s_delay_alu instid0(VALU_DEP_1) | instskip(SKIP_1) | instid1(SALU_CYCLE_1)
	v_cmp_ngt_f32_e64 s5, 0x3f200000, |v18|
	s_and_saveexec_b32 s25, s5
	s_xor_b32 s5, exec_lo, s25
	s_cbranch_execz .LBB27_23
; %bb.22:                               ;   in Loop: Header=BB27_15 Depth=1
	v_add_f32_e64 v19, |v18|, |v18|
	s_delay_alu instid0(VALU_DEP_1) | instskip(SKIP_1) | instid1(VALU_DEP_2)
	v_mul_f32_e32 v20, 0x3fb8aa3b, v19
	v_cmp_ngt_f32_e32 vcc_lo, 0xc2ce8ed0, v19
	v_rndne_f32_e32 v21, v20
	v_fma_f32 v28, 0x3fb8aa3b, v19, -v20
	s_delay_alu instid0(VALU_DEP_2) | instskip(NEXT) | instid1(VALU_DEP_2)
	v_sub_f32_e32 v20, v20, v21
	v_fmac_f32_e32 v28, 0x32a5705f, v19
	v_cvt_i32_f32_e32 v21, v21
	s_delay_alu instid0(VALU_DEP_2) | instskip(NEXT) | instid1(VALU_DEP_1)
	v_add_f32_e32 v20, v20, v28
	v_exp_f32_e32 v20, v20
	v_nop
	s_delay_alu instid0(TRANS32_DEP_1) | instskip(NEXT) | instid1(VALU_DEP_1)
	v_ldexp_f32 v20, v20, v21
	v_cndmask_b32_e32 v20, 0, v20, vcc_lo
	v_cmp_nlt_f32_e32 vcc_lo, 0x42b17218, v19
	s_delay_alu instid0(VALU_DEP_2) | instskip(NEXT) | instid1(VALU_DEP_1)
	v_cndmask_b32_e32 v19, 0x7f800000, v20, vcc_lo
	v_add_f32_e32 v19, 1.0, v19
	s_delay_alu instid0(VALU_DEP_1) | instskip(SKIP_1) | instid1(TRANS32_DEP_1)
	v_rcp_f32_e32 v19, v19
	v_nop
	v_fma_f32 v19, v19, -2.0, 1.0
.LBB27_23:                              ;   in Loop: Header=BB27_15 Depth=1
	s_and_not1_saveexec_b32 s5, s5
	s_cbranch_execz .LBB27_25
; %bb.24:                               ;   in Loop: Header=BB27_15 Depth=1
	v_mul_f32_e32 v19, v18, v18
	s_delay_alu instid0(VALU_DEP_1) | instskip(NEXT) | instid1(VALU_DEP_1)
	v_fmaak_f32 v20, s24, v19, 0x3ca908c9
	v_fmaak_f32 v20, v19, v20, 0xbd5c1c4e
	s_delay_alu instid0(VALU_DEP_1) | instskip(NEXT) | instid1(VALU_DEP_1)
	v_fmaak_f32 v20, v19, v20, 0x3e088382
	v_fmaak_f32 v20, v19, v20, 0xbeaaaa99
	s_delay_alu instid0(VALU_DEP_1) | instskip(NEXT) | instid1(VALU_DEP_1)
	v_mul_f32_e64 v20, |v18|, v20
	v_fma_f32 v19, v19, v20, |v18|
.LBB27_25:                              ;   in Loop: Header=BB27_15 Depth=1
	s_or_b32 exec_lo, exec_lo, s5
	s_delay_alu instid0(VALU_DEP_1) | instskip(SKIP_1) | instid1(VALU_DEP_1)
	v_bfi_b32 v18, 0x7fffffff, v19, v18
	s_and_not1_b32 vcc_lo, exec_lo, s27
	v_mul_f32_e32 v18, s39, v18
	s_cbranch_vccnz .LBB27_27
; %bb.26:                               ;   in Loop: Header=BB27_15 Depth=1
	global_load_u16 v16, v[16:17], off offset:2
	s_wait_loadcnt 0x0
	v_fma_mix_f32 v18, v171, v16, v18 op_sel_hi:[0,1,0]
.LBB27_27:                              ;   in Loop: Header=BB27_15 Depth=1
	s_delay_alu instid0(VALU_DEP_1)
	v_dual_add_f32 v16, 0x40051340, v27 :: v_dual_add_f32 v17, 0x40051340, v18
	v_add_nc_u64_e32 v[198:199], s[12:13], v[80:81]
	v_mul_hi_u32_u24_e32 v169, 22, v164
	v_mul_u32_u24_e32 v168, 22, v164
	s_add_co_i32 s38, s4, s38
	v_max3_num_f32 v16, v26, v16, v17
	s_add_nc_u64 s[14:15], s[14:15], s[8:9]
	s_add_nc_u64 s[10:11], s[10:11], s[6:7]
	v_add_nc_u64_e32 v[166:167], v[198:199], v[168:169]
	s_cmp_ge_i32 s38, s36
	ds_bpermute_b32 v17, v180, v16
	v_add_nc_u64_e32 v[200:201], v[166:167], v[88:89]
	s_wait_dscnt 0x0
	v_max_num_f32_e32 v17, v17, v17
	s_delay_alu instid0(VALU_DEP_1) | instskip(SKIP_3) | instid1(VALU_DEP_1)
	v_max_num_f32_e32 v16, v16, v17
	ds_bpermute_b32 v17, v181, v16
	s_wait_dscnt 0x0
	v_max_num_f32_e32 v17, v17, v17
	v_max_num_f32_e32 v16, v16, v17
	ds_bpermute_b32 v17, v182, v16
	s_wait_dscnt 0x0
	v_max_num_f32_e32 v17, v17, v17
	s_delay_alu instid0(VALU_DEP_1) | instskip(SKIP_3) | instid1(VALU_DEP_1)
	v_max_num_f32_e32 v16, v16, v17
	ds_bpermute_b32 v17, v183, v16
	s_wait_dscnt 0x0
	v_max_num_f32_e32 v17, v17, v17
	v_dual_max_num_f32 v197, v16, v17 :: v_dual_cndmask_b32 v16, v18, v27, s3
	s_delay_alu instid0(VALU_DEP_1) | instskip(NEXT) | instid1(VALU_DEP_1)
	v_sub_f32_e32 v17, v26, v197
	v_mul_f32_e32 v18, 0x3fb8aa3b, v17
	v_cmp_ngt_f32_e32 vcc_lo, 0xc2ce8ed0, v17
	s_delay_alu instid0(VALU_DEP_4) | instskip(NEXT) | instid1(VALU_DEP_3)
	v_sub_f32_e32 v16, v16, v197
	v_fma_f32 v19, 0x3fb8aa3b, v17, -v18
	v_rndne_f32_e32 v20, v18
	s_delay_alu instid0(VALU_DEP_1) | instskip(NEXT) | instid1(VALU_DEP_1)
	v_dual_fmac_f32 v19, 0x32a5705f, v17 :: v_dual_sub_f32 v18, v18, v20
	v_add_f32_e32 v18, v18, v19
	v_cvt_i32_f32_e32 v19, v20
	s_delay_alu instid0(VALU_DEP_2) | instskip(SKIP_1) | instid1(TRANS32_DEP_1)
	v_exp_f32_e32 v18, v18
	v_nop
	v_ldexp_f32 v18, v18, v19
	s_delay_alu instid0(VALU_DEP_1) | instskip(SKIP_1) | instid1(VALU_DEP_2)
	v_cndmask_b32_e32 v18, 0, v18, vcc_lo
	v_cmp_nlt_f32_e32 vcc_lo, 0x42b17218, v17
	v_cndmask_b32_e32 v17, 0x7f800000, v18, vcc_lo
	v_mul_f32_e32 v18, 0x3fb8aa3b, v16
	v_cmp_ngt_f32_e32 vcc_lo, 0xc2ce8ed0, v16
	s_delay_alu instid0(VALU_DEP_2) | instskip(SKIP_1) | instid1(VALU_DEP_2)
	v_fma_f32 v19, 0x3fb8aa3b, v16, -v18
	v_rndne_f32_e32 v20, v18
	v_fmac_f32_e32 v19, 0x32a5705f, v16
	s_delay_alu instid0(VALU_DEP_2) | instskip(NEXT) | instid1(VALU_DEP_1)
	v_sub_f32_e32 v18, v18, v20
	v_add_f32_e32 v18, v18, v19
	v_cvt_i32_f32_e32 v19, v20
	s_delay_alu instid0(VALU_DEP_2) | instskip(SKIP_1) | instid1(TRANS32_DEP_1)
	v_exp_f32_e32 v18, v18
	v_nop
	v_ldexp_f32 v18, v18, v19
	s_delay_alu instid0(VALU_DEP_1) | instskip(SKIP_1) | instid1(VALU_DEP_2)
	v_cndmask_b32_e32 v18, 0, v18, vcc_lo
	v_cmp_nlt_f32_e32 vcc_lo, 0x42b17218, v16
	v_cndmask_b32_e32 v16, 0x7f800000, v18, vcc_lo
	s_delay_alu instid0(VALU_DEP_1) | instskip(SKIP_2) | instid1(VALU_DEP_2)
	v_fma_f32 v176, v176, v17, v16
	v_cvt_f16_f32_e32 v17, v17
	v_cvt_f16_f32_e32 v16, v16
	v_and_b32_e32 v17, 0xffff, v17
	ds_store_b16 v173, v16
	v_mul_u32_u24_e32 v17, 0x10001, v17
	s_delay_alu instid0(VALU_DEP_1)
	v_pk_mul_f16 v202, v22, v17
	v_pk_mul_f16 v203, v23, v17
	;; [unrolled: 1-line block ×4, first 2 shown]
	ds_load_b128 v[28:31], v175
	ds_load_b128 v[24:27], v175 offset:16
	ds_load_b128 v[20:23], v175 offset:32
	;; [unrolled: 1-line block ×3, first 2 shown]
	s_clause 0x2
	global_load_b32 v200, v[200:201], off offset:6
	global_load_b32 v201, v[166:167], off offset:2
	global_load_u16 v166, v[166:167], off
	s_wait_dscnt 0x3
	v_dual_lshrrev_b32 v206, 16, v28 :: v_dual_lshrrev_b32 v208, 16, v30
	v_and_b32_e32 v28, 0xffff, v28
	v_dual_lshrrev_b32 v207, 16, v29 :: v_dual_lshrrev_b32 v209, 16, v31
	s_delay_alu instid0(VALU_DEP_2)
	v_mul_u32_u24_e32 v28, 0x10001, v28
	s_wait_loadcnt 0x1
	v_dual_lshrrev_b32 v210, v189, v201 :: v_dual_lshrrev_b32 v211, v194, v201
	v_ashrrev_i32_e32 v200, v193, v200
	s_wait_loadcnt 0x0
	v_mul_u32_u24_e32 v166, 0x10001, v166
	s_delay_alu instid0(VALU_DEP_3) | instskip(NEXT) | instid1(VALU_DEP_3)
	v_dual_lshlrev_b32 v210, 4, v210 :: v_dual_lshlrev_b32 v211, 12, v211
	v_and_b32_e32 v200, 0xf0f0f0f, v200
	s_delay_alu instid0(VALU_DEP_2) | instskip(NEXT) | instid1(VALU_DEP_3)
	v_and_b32_e32 v210, 16, v210
	v_and_b32_e32 v211, 0x1000, v211
	s_delay_alu instid0(VALU_DEP_1) | instskip(SKIP_1) | instid1(VALU_DEP_1)
	v_or3_b32 v210, v210, v200, v211
	v_dual_lshrrev_b32 v211, v195, v201 :: v_dual_lshrrev_b32 v201, v196, v201
	v_dual_lshlrev_b32 v211, 20, v211 :: v_dual_lshlrev_b32 v201, 28, v201
	s_delay_alu instid0(VALU_DEP_1) | instskip(NEXT) | instid1(VALU_DEP_2)
	v_and_b32_e32 v211, 0x100000, v211
	v_and_b32_e32 v201, 0x10000000, v201
	s_delay_alu instid0(VALU_DEP_1) | instskip(SKIP_1) | instid1(VALU_DEP_1)
	v_or3_b32 v200, v200, v211, v201
	v_lshlrev_b16 v201, 8, v210
	v_add_nc_u16 v201, 0xf000, v201
	s_delay_alu instid0(VALU_DEP_1) | instskip(NEXT) | instid1(VALU_DEP_1)
	v_lshrrev_b16 v201, 8, v201
	v_bitop3_b16 v201, v210, v201, 0x1f00 bitop3:0xec
	s_delay_alu instid0(VALU_DEP_1) | instskip(NEXT) | instid1(VALU_DEP_1)
	v_add_nc_u16 v201, 0xf000, v201
	v_dual_lshrrev_b32 v200, 16, v200 :: v_dual_lshrrev_b32 v167, 8, v201
	s_delay_alu instid0(VALU_DEP_1) | instskip(SKIP_2) | instid1(VALU_DEP_4)
	v_lshlrev_b16 v210, 8, v200
	v_and_b32_e32 v200, 0x1f00, v200
	v_bfe_i32 v201, v201, 0, 8
	v_bfe_i32 v167, v167, 0, 8
	s_delay_alu instid0(VALU_DEP_4) | instskip(NEXT) | instid1(VALU_DEP_4)
	v_add_nc_u16 v210, 0xf000, v210
	v_add_nc_u16 v200, 0xf000, v200
	s_delay_alu instid0(VALU_DEP_4) | instskip(NEXT) | instid1(VALU_DEP_4)
	v_cvt_f16_i16_e64 v201, v201
	v_cvt_f16_i16_e64 v167, v167
	s_delay_alu instid0(VALU_DEP_3) | instskip(NEXT) | instid1(VALU_DEP_2)
	v_lshrrev_b32_e32 v200, 8, v200
	v_pack_b32_f16 v167, v201, v167
	v_ashrrev_i16 v201, 8, v210
	s_delay_alu instid0(VALU_DEP_3) | instskip(NEXT) | instid1(VALU_DEP_3)
	v_bfe_i32 v200, v200, 0, 8
	v_pk_mul_f16 v167, v167, v166
	s_delay_alu instid0(VALU_DEP_3) | instskip(NEXT) | instid1(VALU_DEP_3)
	v_cvt_f16_i16_e64 v201, v201
	v_cvt_f16_i16_e64 v200, v200
	s_delay_alu instid0(VALU_DEP_3) | instskip(SKIP_1) | instid1(VALU_DEP_3)
	v_pk_fma_f16 v210, v167, v28, v202
	v_mul_hi_u32_u24_e32 v167, 22, v162
	v_pack_b32_f16 v200, v201, v200
	s_delay_alu instid0(VALU_DEP_1) | instskip(NEXT) | instid1(VALU_DEP_1)
	v_pk_mul_f16 v166, v200, v166
	v_pk_fma_f16 v211, v166, v28, v203
	v_mul_u32_u24_e32 v166, 22, v162
	s_delay_alu instid0(VALU_DEP_1) | instskip(NEXT) | instid1(VALU_DEP_1)
	v_add_nc_u64_e32 v[198:199], v[198:199], v[166:167]
	v_add_nc_u64_e32 v[200:201], v[198:199], v[112:113]
	s_clause 0x2
	global_load_b32 v200, v[200:201], off offset:6
	global_load_b32 v201, v[198:199], off offset:2
	global_load_u16 v198, v[198:199], off
	s_wait_loadcnt 0x1
	v_lshrrev_b32_e32 v202, v189, v201
	v_dual_ashrrev_i32 v200, v193, v200 :: v_dual_lshrrev_b32 v203, v194, v201
	s_wait_loadcnt 0x0
	v_mul_u32_u24_e32 v198, 0x10001, v198
	s_delay_alu instid0(VALU_DEP_3) | instskip(NEXT) | instid1(VALU_DEP_3)
	v_lshlrev_b32_e32 v202, 4, v202
	v_and_b32_e32 v200, 0xf0f0f0f, v200
	s_delay_alu instid0(VALU_DEP_2) | instskip(NEXT) | instid1(VALU_DEP_1)
	v_dual_lshlrev_b32 v203, 12, v203 :: v_dual_bitop2_b32 v202, 16, v202 bitop3:0x40
	v_and_b32_e32 v203, 0x1000, v203
	s_delay_alu instid0(VALU_DEP_1) | instskip(SKIP_1) | instid1(VALU_DEP_1)
	v_or3_b32 v202, v202, v200, v203
	v_dual_lshrrev_b32 v203, v195, v201 :: v_dual_lshrrev_b32 v201, v196, v201
	v_dual_lshlrev_b32 v201, 28, v201 :: v_dual_lshlrev_b32 v203, 20, v203
	s_delay_alu instid0(VALU_DEP_1) | instskip(NEXT) | instid1(VALU_DEP_2)
	v_and_b32_e32 v201, 0x10000000, v201
	v_and_b32_e32 v203, 0x100000, v203
	s_delay_alu instid0(VALU_DEP_1) | instskip(SKIP_1) | instid1(VALU_DEP_2)
	v_or3_b32 v200, v200, v203, v201
	v_lshlrev_b16 v201, 8, v202
	v_lshrrev_b32_e32 v200, 16, v200
	s_delay_alu instid0(VALU_DEP_2) | instskip(NEXT) | instid1(VALU_DEP_1)
	v_add_nc_u16 v201, 0xf000, v201
	v_lshrrev_b16 v201, 8, v201
	s_delay_alu instid0(VALU_DEP_1) | instskip(NEXT) | instid1(VALU_DEP_4)
	v_bitop3_b16 v201, v202, v201, 0x1f00 bitop3:0xec
	v_lshlrev_b16 v202, 8, v200
	v_and_b32_e32 v200, 0x1f00, v200
	s_delay_alu instid0(VALU_DEP_3) | instskip(NEXT) | instid1(VALU_DEP_3)
	v_add_nc_u16 v201, 0xf000, v201
	v_add_nc_u16 v202, 0xf000, v202
	s_delay_alu instid0(VALU_DEP_3) | instskip(NEXT) | instid1(VALU_DEP_3)
	v_add_nc_u16 v200, 0xf000, v200
	v_lshrrev_b32_e32 v199, 8, v201
	v_bfe_i32 v201, v201, 0, 8
	s_delay_alu instid0(VALU_DEP_3) | instskip(NEXT) | instid1(VALU_DEP_3)
	v_lshrrev_b32_e32 v200, 8, v200
	v_bfe_i32 v199, v199, 0, 8
	s_delay_alu instid0(VALU_DEP_3) | instskip(NEXT) | instid1(VALU_DEP_3)
	v_cvt_f16_i16_e64 v201, v201
	v_bfe_i32 v200, v200, 0, 8
	s_delay_alu instid0(VALU_DEP_3) | instskip(NEXT) | instid1(VALU_DEP_2)
	v_cvt_f16_i16_e64 v199, v199
	v_cvt_f16_i16_e64 v200, v200
	s_delay_alu instid0(VALU_DEP_2) | instskip(SKIP_1) | instid1(VALU_DEP_2)
	v_pack_b32_f16 v199, v201, v199
	v_ashrrev_i16 v201, 8, v202
	v_pk_mul_f16 v199, v199, v198
	s_delay_alu instid0(VALU_DEP_2) | instskip(NEXT) | instid1(VALU_DEP_2)
	v_cvt_f16_i16_e64 v201, v201
	v_pk_fma_f16 v204, v199, v28, v204
	s_delay_alu instid0(VALU_DEP_2) | instskip(NEXT) | instid1(VALU_DEP_1)
	v_pack_b32_f16 v200, v201, v200
	v_pk_mul_f16 v198, v200, v198
	s_delay_alu instid0(VALU_DEP_1) | instskip(SKIP_2) | instid1(VALU_DEP_2)
	v_pk_fma_f16 v28, v198, v28, v205
	v_add_nc_u64_e32 v[198:199], s[12:13], v[86:87]
	v_mul_u32_u24_e32 v205, 0x10001, v206
	v_add_nc_u64_e32 v[200:201], v[198:199], v[168:169]
	v_add_nc_u64_e32 v[198:199], v[198:199], v[166:167]
	s_delay_alu instid0(VALU_DEP_2)
	v_add_nc_u64_e32 v[202:203], v[200:201], v[88:89]
	s_clause 0x2
	global_load_b32 v202, v[202:203], off offset:6
	global_load_b32 v203, v[200:201], off offset:2
	global_load_u16 v200, v[200:201], off
	s_wait_loadcnt 0x1
	v_dual_ashrrev_i32 v202, v193, v202 :: v_dual_lshrrev_b32 v212, v194, v203
	v_lshrrev_b32_e32 v206, v189, v203
	s_wait_loadcnt 0x0
	v_mul_u32_u24_e32 v200, 0x10001, v200
	s_delay_alu instid0(VALU_DEP_3) | instskip(NEXT) | instid1(VALU_DEP_3)
	v_and_b32_e32 v202, 0xf0f0f0f, v202
	v_dual_lshlrev_b32 v212, 12, v212 :: v_dual_lshlrev_b32 v206, 4, v206
	s_delay_alu instid0(VALU_DEP_1) | instskip(NEXT) | instid1(VALU_DEP_2)
	v_and_b32_e32 v212, 0x1000, v212
	v_and_b32_e32 v206, 16, v206
	s_delay_alu instid0(VALU_DEP_1) | instskip(SKIP_1) | instid1(VALU_DEP_1)
	v_or3_b32 v206, v206, v202, v212
	v_dual_lshrrev_b32 v212, v195, v203 :: v_dual_lshrrev_b32 v203, v196, v203
	v_dual_lshlrev_b32 v212, 20, v212 :: v_dual_lshlrev_b32 v203, 28, v203
	s_delay_alu instid0(VALU_DEP_1) | instskip(NEXT) | instid1(VALU_DEP_2)
	v_and_b32_e32 v212, 0x100000, v212
	v_and_b32_e32 v203, 0x10000000, v203
	s_delay_alu instid0(VALU_DEP_1) | instskip(SKIP_1) | instid1(VALU_DEP_2)
	v_or3_b32 v202, v202, v212, v203
	v_lshlrev_b16 v203, 8, v206
	v_lshrrev_b32_e32 v202, 16, v202
	s_delay_alu instid0(VALU_DEP_2) | instskip(NEXT) | instid1(VALU_DEP_1)
	v_add_nc_u16 v203, 0xf000, v203
	v_lshrrev_b16 v203, 8, v203
	s_delay_alu instid0(VALU_DEP_1) | instskip(NEXT) | instid1(VALU_DEP_4)
	v_bitop3_b16 v203, v206, v203, 0x1f00 bitop3:0xec
	v_lshlrev_b16 v206, 8, v202
	v_and_b32_e32 v202, 0x1f00, v202
	s_delay_alu instid0(VALU_DEP_3) | instskip(NEXT) | instid1(VALU_DEP_3)
	v_add_nc_u16 v203, 0xf000, v203
	v_add_nc_u16 v206, 0xf000, v206
	s_delay_alu instid0(VALU_DEP_3) | instskip(NEXT) | instid1(VALU_DEP_3)
	v_add_nc_u16 v202, 0xf000, v202
	v_lshrrev_b32_e32 v201, 8, v203
	v_bfe_i32 v203, v203, 0, 8
	s_delay_alu instid0(VALU_DEP_3) | instskip(NEXT) | instid1(VALU_DEP_3)
	v_lshrrev_b32_e32 v202, 8, v202
	v_bfe_i32 v201, v201, 0, 8
	s_delay_alu instid0(VALU_DEP_3) | instskip(NEXT) | instid1(VALU_DEP_3)
	v_cvt_f16_i16_e64 v203, v203
	v_bfe_i32 v202, v202, 0, 8
	s_delay_alu instid0(VALU_DEP_3) | instskip(NEXT) | instid1(VALU_DEP_2)
	v_cvt_f16_i16_e64 v201, v201
	v_cvt_f16_i16_e64 v202, v202
	s_delay_alu instid0(VALU_DEP_2) | instskip(SKIP_1) | instid1(VALU_DEP_2)
	v_pack_b32_f16 v201, v203, v201
	v_ashrrev_i16 v203, 8, v206
	v_pk_mul_f16 v201, v201, v200
	s_delay_alu instid0(VALU_DEP_2) | instskip(NEXT) | instid1(VALU_DEP_1)
	v_cvt_f16_i16_e64 v203, v203
	v_pack_b32_f16 v202, v203, v202
	s_delay_alu instid0(VALU_DEP_1) | instskip(NEXT) | instid1(VALU_DEP_4)
	v_pk_mul_f16 v200, v202, v200
	v_pk_fma_f16 v202, v201, v205, v210
	s_delay_alu instid0(VALU_DEP_2)
	v_pk_fma_f16 v203, v200, v205, v211
	v_add_nc_u64_e32 v[200:201], v[198:199], v[112:113]
	s_clause 0x2
	global_load_b32 v200, v[200:201], off offset:6
	global_load_b32 v201, v[198:199], off offset:2
	global_load_u16 v198, v[198:199], off
	s_wait_loadcnt 0x2
	v_ashrrev_i32_e32 v200, v193, v200
	s_wait_loadcnt 0x1
	v_dual_lshrrev_b32 v206, v189, v201 :: v_dual_lshrrev_b32 v210, v194, v201
	s_wait_loadcnt 0x0
	v_mul_u32_u24_e32 v198, 0x10001, v198
	v_and_b32_e32 v200, 0xf0f0f0f, v200
	s_delay_alu instid0(VALU_DEP_3) | instskip(SKIP_1) | instid1(VALU_DEP_2)
	v_lshlrev_b32_e32 v206, 4, v206
	v_lshlrev_b32_e32 v210, 12, v210
	v_and_b32_e32 v206, 16, v206
	s_delay_alu instid0(VALU_DEP_2) | instskip(NEXT) | instid1(VALU_DEP_1)
	v_and_b32_e32 v210, 0x1000, v210
	v_or3_b32 v206, v206, v200, v210
	v_dual_lshrrev_b32 v210, v195, v201 :: v_dual_lshrrev_b32 v201, v196, v201
	s_delay_alu instid0(VALU_DEP_1) | instskip(NEXT) | instid1(VALU_DEP_1)
	v_dual_lshlrev_b32 v210, 20, v210 :: v_dual_lshlrev_b32 v201, 28, v201
	v_and_b32_e32 v210, 0x100000, v210
	s_delay_alu instid0(VALU_DEP_2) | instskip(NEXT) | instid1(VALU_DEP_1)
	v_and_b32_e32 v201, 0x10000000, v201
	v_or3_b32 v200, v200, v210, v201
	v_lshlrev_b16 v201, 8, v206
	s_delay_alu instid0(VALU_DEP_2) | instskip(NEXT) | instid1(VALU_DEP_2)
	v_lshrrev_b32_e32 v200, 16, v200
	v_add_nc_u16 v201, 0xf000, v201
	s_delay_alu instid0(VALU_DEP_1) | instskip(NEXT) | instid1(VALU_DEP_1)
	v_lshrrev_b16 v201, 8, v201
	v_bitop3_b16 v201, v206, v201, 0x1f00 bitop3:0xec
	s_delay_alu instid0(VALU_DEP_4) | instskip(SKIP_1) | instid1(VALU_DEP_3)
	v_lshlrev_b16 v206, 8, v200
	v_and_b32_e32 v200, 0x1f00, v200
	v_add_nc_u16 v201, 0xf000, v201
	s_delay_alu instid0(VALU_DEP_3) | instskip(NEXT) | instid1(VALU_DEP_3)
	v_add_nc_u16 v206, 0xf000, v206
	v_add_nc_u16 v200, 0xf000, v200
	s_delay_alu instid0(VALU_DEP_3) | instskip(SKIP_1) | instid1(VALU_DEP_3)
	v_lshrrev_b32_e32 v199, 8, v201
	v_bfe_i32 v201, v201, 0, 8
	v_lshrrev_b32_e32 v200, 8, v200
	s_delay_alu instid0(VALU_DEP_3) | instskip(NEXT) | instid1(VALU_DEP_3)
	v_bfe_i32 v199, v199, 0, 8
	v_cvt_f16_i16_e64 v201, v201
	s_delay_alu instid0(VALU_DEP_3) | instskip(NEXT) | instid1(VALU_DEP_3)
	v_bfe_i32 v200, v200, 0, 8
	v_cvt_f16_i16_e64 v199, v199
	s_delay_alu instid0(VALU_DEP_2) | instskip(NEXT) | instid1(VALU_DEP_2)
	v_cvt_f16_i16_e64 v200, v200
	v_pack_b32_f16 v199, v201, v199
	v_ashrrev_i16 v201, 8, v206
	s_delay_alu instid0(VALU_DEP_2) | instskip(NEXT) | instid1(VALU_DEP_2)
	v_pk_mul_f16 v199, v199, v198
	v_cvt_f16_i16_e64 v201, v201
	s_delay_alu instid0(VALU_DEP_2) | instskip(NEXT) | instid1(VALU_DEP_2)
	v_pk_fma_f16 v204, v199, v205, v204
	v_pack_b32_f16 v200, v201, v200
	s_delay_alu instid0(VALU_DEP_1) | instskip(NEXT) | instid1(VALU_DEP_1)
	v_pk_mul_f16 v198, v200, v198
	v_pk_fma_f16 v205, v198, v205, v28
	v_and_b32_e32 v28, 0xffff, v29
	s_delay_alu instid0(VALU_DEP_1) | instskip(SKIP_1) | instid1(VALU_DEP_1)
	v_mul_u32_u24_e32 v206, 0x10001, v28
	v_add_nc_u64_e32 v[28:29], s[12:13], v[92:93]
	v_add_nc_u64_e32 v[198:199], v[28:29], v[168:169]
	;; [unrolled: 1-line block ×3, first 2 shown]
	s_delay_alu instid0(VALU_DEP_2)
	v_add_nc_u64_e32 v[200:201], v[198:199], v[88:89]
	s_clause 0x2
	global_load_b32 v200, v[200:201], off offset:6
	global_load_b32 v201, v[198:199], off offset:2
	global_load_u16 v198, v[198:199], off
	s_wait_loadcnt 0x1
	v_dual_lshrrev_b32 v210, v189, v201 :: v_dual_lshrrev_b32 v211, v194, v201
	v_ashrrev_i32_e32 v200, v193, v200
	s_wait_loadcnt 0x0
	v_mul_u32_u24_e32 v198, 0x10001, v198
	s_delay_alu instid0(VALU_DEP_3) | instskip(NEXT) | instid1(VALU_DEP_3)
	v_dual_lshlrev_b32 v210, 4, v210 :: v_dual_lshlrev_b32 v211, 12, v211
	v_and_b32_e32 v200, 0xf0f0f0f, v200
	s_delay_alu instid0(VALU_DEP_2) | instskip(NEXT) | instid1(VALU_DEP_3)
	v_and_b32_e32 v210, 16, v210
	v_and_b32_e32 v211, 0x1000, v211
	s_delay_alu instid0(VALU_DEP_1) | instskip(SKIP_1) | instid1(VALU_DEP_1)
	v_or3_b32 v210, v210, v200, v211
	v_dual_lshrrev_b32 v211, v195, v201 :: v_dual_lshrrev_b32 v201, v196, v201
	v_dual_lshlrev_b32 v211, 20, v211 :: v_dual_lshlrev_b32 v201, 28, v201
	s_delay_alu instid0(VALU_DEP_1) | instskip(NEXT) | instid1(VALU_DEP_2)
	v_and_b32_e32 v211, 0x100000, v211
	v_and_b32_e32 v201, 0x10000000, v201
	s_delay_alu instid0(VALU_DEP_1) | instskip(SKIP_1) | instid1(VALU_DEP_1)
	v_or3_b32 v200, v200, v211, v201
	v_lshlrev_b16 v201, 8, v210
	v_add_nc_u16 v201, 0xf000, v201
	s_delay_alu instid0(VALU_DEP_1) | instskip(NEXT) | instid1(VALU_DEP_1)
	v_lshrrev_b16 v201, 8, v201
	v_bitop3_b16 v201, v210, v201, 0x1f00 bitop3:0xec
	s_delay_alu instid0(VALU_DEP_1) | instskip(NEXT) | instid1(VALU_DEP_1)
	v_add_nc_u16 v201, 0xf000, v201
	v_dual_lshrrev_b32 v200, 16, v200 :: v_dual_lshrrev_b32 v199, 8, v201
	s_delay_alu instid0(VALU_DEP_1) | instskip(SKIP_2) | instid1(VALU_DEP_4)
	v_lshlrev_b16 v210, 8, v200
	v_and_b32_e32 v200, 0x1f00, v200
	v_bfe_i32 v201, v201, 0, 8
	v_bfe_i32 v199, v199, 0, 8
	s_delay_alu instid0(VALU_DEP_4) | instskip(NEXT) | instid1(VALU_DEP_4)
	v_add_nc_u16 v210, 0xf000, v210
	v_add_nc_u16 v200, 0xf000, v200
	s_delay_alu instid0(VALU_DEP_4) | instskip(NEXT) | instid1(VALU_DEP_4)
	v_cvt_f16_i16_e64 v201, v201
	v_cvt_f16_i16_e64 v199, v199
	s_delay_alu instid0(VALU_DEP_3) | instskip(NEXT) | instid1(VALU_DEP_2)
	v_lshrrev_b32_e32 v200, 8, v200
	v_pack_b32_f16 v199, v201, v199
	v_ashrrev_i16 v201, 8, v210
	s_delay_alu instid0(VALU_DEP_3) | instskip(NEXT) | instid1(VALU_DEP_3)
	v_bfe_i32 v200, v200, 0, 8
	v_pk_mul_f16 v199, v199, v198
	s_delay_alu instid0(VALU_DEP_3) | instskip(NEXT) | instid1(VALU_DEP_3)
	v_cvt_f16_i16_e64 v201, v201
	v_cvt_f16_i16_e64 v200, v200
	s_delay_alu instid0(VALU_DEP_3) | instskip(NEXT) | instid1(VALU_DEP_2)
	v_pk_fma_f16 v202, v199, v206, v202
	v_pack_b32_f16 v200, v201, v200
	s_delay_alu instid0(VALU_DEP_1) | instskip(NEXT) | instid1(VALU_DEP_1)
	v_pk_mul_f16 v198, v200, v198
	v_pk_fma_f16 v203, v198, v206, v203
	v_add_nc_u64_e32 v[198:199], v[28:29], v[112:113]
	s_clause 0x2
	global_load_b32 v198, v[198:199], off offset:6
	global_load_b32 v199, v[28:29], off offset:2
	global_load_u16 v28, v[28:29], off
	s_wait_loadcnt 0x2
	v_ashrrev_i32_e32 v198, v193, v198
	s_wait_loadcnt 0x1
	v_dual_lshrrev_b32 v200, v189, v199 :: v_dual_lshrrev_b32 v201, v194, v199
	s_wait_loadcnt 0x0
	v_mul_u32_u24_e32 v28, 0x10001, v28
	v_and_b32_e32 v198, 0xf0f0f0f, v198
	s_delay_alu instid0(VALU_DEP_3) | instskip(NEXT) | instid1(VALU_DEP_1)
	v_dual_lshlrev_b32 v200, 4, v200 :: v_dual_lshlrev_b32 v201, 12, v201
	v_and_b32_e32 v200, 16, v200
	s_delay_alu instid0(VALU_DEP_2) | instskip(NEXT) | instid1(VALU_DEP_1)
	v_and_b32_e32 v201, 0x1000, v201
	v_or3_b32 v200, v200, v198, v201
	v_dual_lshrrev_b32 v201, v195, v199 :: v_dual_lshrrev_b32 v199, v196, v199
	s_delay_alu instid0(VALU_DEP_1) | instskip(NEXT) | instid1(VALU_DEP_1)
	v_dual_lshlrev_b32 v201, 20, v201 :: v_dual_lshlrev_b32 v199, 28, v199
	v_and_b32_e32 v201, 0x100000, v201
	s_delay_alu instid0(VALU_DEP_2) | instskip(NEXT) | instid1(VALU_DEP_1)
	v_and_b32_e32 v199, 0x10000000, v199
	v_or3_b32 v198, v198, v201, v199
	v_lshlrev_b16 v199, 8, v200
	s_delay_alu instid0(VALU_DEP_2) | instskip(NEXT) | instid1(VALU_DEP_2)
	v_lshrrev_b32_e32 v198, 16, v198
	v_add_nc_u16 v199, 0xf000, v199
	s_delay_alu instid0(VALU_DEP_1) | instskip(NEXT) | instid1(VALU_DEP_1)
	v_lshrrev_b16 v199, 8, v199
	v_bitop3_b16 v199, v200, v199, 0x1f00 bitop3:0xec
	s_delay_alu instid0(VALU_DEP_4) | instskip(SKIP_1) | instid1(VALU_DEP_3)
	v_lshlrev_b16 v200, 8, v198
	v_and_b32_e32 v198, 0x1f00, v198
	v_add_nc_u16 v199, 0xf000, v199
	s_delay_alu instid0(VALU_DEP_3) | instskip(NEXT) | instid1(VALU_DEP_3)
	v_add_nc_u16 v200, 0xf000, v200
	v_add_nc_u16 v198, 0xf000, v198
	s_delay_alu instid0(VALU_DEP_3) | instskip(SKIP_1) | instid1(VALU_DEP_3)
	v_lshrrev_b32_e32 v29, 8, v199
	v_bfe_i32 v199, v199, 0, 8
	v_lshrrev_b32_e32 v198, 8, v198
	s_delay_alu instid0(VALU_DEP_3) | instskip(NEXT) | instid1(VALU_DEP_3)
	v_bfe_i32 v29, v29, 0, 8
	v_cvt_f16_i16_e64 v199, v199
	s_delay_alu instid0(VALU_DEP_3) | instskip(NEXT) | instid1(VALU_DEP_3)
	v_bfe_i32 v198, v198, 0, 8
	v_cvt_f16_i16_e32 v29, v29
	s_delay_alu instid0(VALU_DEP_2) | instskip(NEXT) | instid1(VALU_DEP_2)
	v_cvt_f16_i16_e64 v198, v198
	v_pack_b32_f16 v29, v199, v29
	v_ashrrev_i16 v199, 8, v200
	s_delay_alu instid0(VALU_DEP_2) | instskip(NEXT) | instid1(VALU_DEP_2)
	v_pk_mul_f16 v29, v29, v28
	v_cvt_f16_i16_e64 v199, v199
	s_delay_alu instid0(VALU_DEP_2) | instskip(NEXT) | instid1(VALU_DEP_2)
	v_pk_fma_f16 v204, v29, v206, v204
	v_pack_b32_f16 v198, v199, v198
	s_delay_alu instid0(VALU_DEP_1) | instskip(NEXT) | instid1(VALU_DEP_1)
	v_pk_mul_f16 v28, v198, v28
	v_pk_fma_f16 v205, v28, v206, v205
	v_add_nc_u64_e32 v[28:29], s[12:13], v[98:99]
	v_mul_u32_u24_e32 v206, 0x10001, v207
	s_delay_alu instid0(VALU_DEP_2) | instskip(SKIP_1) | instid1(VALU_DEP_2)
	v_add_nc_u64_e32 v[198:199], v[28:29], v[168:169]
	v_add_nc_u64_e32 v[28:29], v[28:29], v[166:167]
	;; [unrolled: 1-line block ×3, first 2 shown]
	s_clause 0x2
	global_load_b32 v200, v[200:201], off offset:6
	global_load_b32 v201, v[198:199], off offset:2
	global_load_u16 v198, v[198:199], off
	s_wait_loadcnt 0x1
	v_dual_lshrrev_b32 v207, v189, v201 :: v_dual_lshrrev_b32 v210, v194, v201
	v_ashrrev_i32_e32 v200, v193, v200
	s_wait_loadcnt 0x0
	v_mul_u32_u24_e32 v198, 0x10001, v198
	s_delay_alu instid0(VALU_DEP_3) | instskip(NEXT) | instid1(VALU_DEP_3)
	v_dual_lshlrev_b32 v207, 4, v207 :: v_dual_lshlrev_b32 v210, 12, v210
	v_and_b32_e32 v200, 0xf0f0f0f, v200
	s_delay_alu instid0(VALU_DEP_2) | instskip(NEXT) | instid1(VALU_DEP_3)
	v_and_b32_e32 v207, 16, v207
	v_and_b32_e32 v210, 0x1000, v210
	s_delay_alu instid0(VALU_DEP_1) | instskip(SKIP_1) | instid1(VALU_DEP_1)
	v_or3_b32 v207, v207, v200, v210
	v_dual_lshrrev_b32 v210, v195, v201 :: v_dual_lshrrev_b32 v201, v196, v201
	v_dual_lshlrev_b32 v210, 20, v210 :: v_dual_lshlrev_b32 v201, 28, v201
	s_delay_alu instid0(VALU_DEP_1) | instskip(NEXT) | instid1(VALU_DEP_2)
	v_and_b32_e32 v210, 0x100000, v210
	v_and_b32_e32 v201, 0x10000000, v201
	s_delay_alu instid0(VALU_DEP_1) | instskip(SKIP_1) | instid1(VALU_DEP_1)
	v_or3_b32 v200, v200, v210, v201
	v_lshlrev_b16 v201, 8, v207
	v_add_nc_u16 v201, 0xf000, v201
	s_delay_alu instid0(VALU_DEP_1) | instskip(NEXT) | instid1(VALU_DEP_1)
	v_lshrrev_b16 v201, 8, v201
	v_bitop3_b16 v201, v207, v201, 0x1f00 bitop3:0xec
	s_delay_alu instid0(VALU_DEP_1) | instskip(NEXT) | instid1(VALU_DEP_1)
	v_add_nc_u16 v201, 0xf000, v201
	v_dual_lshrrev_b32 v200, 16, v200 :: v_dual_lshrrev_b32 v199, 8, v201
	s_delay_alu instid0(VALU_DEP_1) | instskip(SKIP_2) | instid1(VALU_DEP_4)
	v_lshlrev_b16 v207, 8, v200
	v_and_b32_e32 v200, 0x1f00, v200
	v_bfe_i32 v201, v201, 0, 8
	v_bfe_i32 v199, v199, 0, 8
	s_delay_alu instid0(VALU_DEP_4) | instskip(NEXT) | instid1(VALU_DEP_4)
	v_add_nc_u16 v207, 0xf000, v207
	v_add_nc_u16 v200, 0xf000, v200
	s_delay_alu instid0(VALU_DEP_4) | instskip(NEXT) | instid1(VALU_DEP_4)
	v_cvt_f16_i16_e64 v201, v201
	v_cvt_f16_i16_e64 v199, v199
	s_delay_alu instid0(VALU_DEP_3) | instskip(NEXT) | instid1(VALU_DEP_2)
	v_lshrrev_b32_e32 v200, 8, v200
	v_pack_b32_f16 v199, v201, v199
	v_ashrrev_i16 v201, 8, v207
	s_delay_alu instid0(VALU_DEP_3) | instskip(NEXT) | instid1(VALU_DEP_3)
	v_bfe_i32 v200, v200, 0, 8
	v_pk_mul_f16 v199, v199, v198
	s_delay_alu instid0(VALU_DEP_3) | instskip(NEXT) | instid1(VALU_DEP_3)
	v_cvt_f16_i16_e64 v201, v201
	v_cvt_f16_i16_e64 v200, v200
	s_delay_alu instid0(VALU_DEP_3) | instskip(NEXT) | instid1(VALU_DEP_2)
	v_pk_fma_f16 v202, v199, v206, v202
	v_pack_b32_f16 v200, v201, v200
	s_delay_alu instid0(VALU_DEP_1) | instskip(NEXT) | instid1(VALU_DEP_1)
	v_pk_mul_f16 v198, v200, v198
	v_pk_fma_f16 v203, v198, v206, v203
	v_add_nc_u64_e32 v[198:199], v[28:29], v[112:113]
	s_clause 0x2
	global_load_b32 v198, v[198:199], off offset:6
	global_load_b32 v199, v[28:29], off offset:2
	global_load_u16 v28, v[28:29], off
	s_wait_loadcnt 0x2
	v_ashrrev_i32_e32 v198, v193, v198
	s_wait_loadcnt 0x1
	v_dual_lshrrev_b32 v200, v189, v199 :: v_dual_lshrrev_b32 v201, v194, v199
	s_wait_loadcnt 0x0
	v_mul_u32_u24_e32 v28, 0x10001, v28
	v_and_b32_e32 v198, 0xf0f0f0f, v198
	s_delay_alu instid0(VALU_DEP_3) | instskip(NEXT) | instid1(VALU_DEP_1)
	v_dual_lshlrev_b32 v200, 4, v200 :: v_dual_lshlrev_b32 v201, 12, v201
	v_and_b32_e32 v200, 16, v200
	s_delay_alu instid0(VALU_DEP_2) | instskip(NEXT) | instid1(VALU_DEP_1)
	v_and_b32_e32 v201, 0x1000, v201
	v_or3_b32 v200, v200, v198, v201
	v_dual_lshrrev_b32 v201, v195, v199 :: v_dual_lshrrev_b32 v199, v196, v199
	s_delay_alu instid0(VALU_DEP_1) | instskip(NEXT) | instid1(VALU_DEP_1)
	v_dual_lshlrev_b32 v201, 20, v201 :: v_dual_lshlrev_b32 v199, 28, v199
	v_and_b32_e32 v201, 0x100000, v201
	s_delay_alu instid0(VALU_DEP_2) | instskip(NEXT) | instid1(VALU_DEP_1)
	v_and_b32_e32 v199, 0x10000000, v199
	v_or3_b32 v198, v198, v201, v199
	v_lshlrev_b16 v199, 8, v200
	s_delay_alu instid0(VALU_DEP_2) | instskip(NEXT) | instid1(VALU_DEP_2)
	v_lshrrev_b32_e32 v198, 16, v198
	v_add_nc_u16 v199, 0xf000, v199
	s_delay_alu instid0(VALU_DEP_1) | instskip(NEXT) | instid1(VALU_DEP_1)
	v_lshrrev_b16 v199, 8, v199
	v_bitop3_b16 v199, v200, v199, 0x1f00 bitop3:0xec
	s_delay_alu instid0(VALU_DEP_4) | instskip(SKIP_1) | instid1(VALU_DEP_3)
	v_lshlrev_b16 v200, 8, v198
	v_and_b32_e32 v198, 0x1f00, v198
	v_add_nc_u16 v199, 0xf000, v199
	s_delay_alu instid0(VALU_DEP_3) | instskip(NEXT) | instid1(VALU_DEP_3)
	v_add_nc_u16 v200, 0xf000, v200
	v_add_nc_u16 v198, 0xf000, v198
	s_delay_alu instid0(VALU_DEP_3) | instskip(SKIP_1) | instid1(VALU_DEP_3)
	v_lshrrev_b32_e32 v29, 8, v199
	v_bfe_i32 v199, v199, 0, 8
	v_lshrrev_b32_e32 v198, 8, v198
	s_delay_alu instid0(VALU_DEP_3) | instskip(NEXT) | instid1(VALU_DEP_3)
	v_bfe_i32 v29, v29, 0, 8
	v_cvt_f16_i16_e64 v199, v199
	s_delay_alu instid0(VALU_DEP_3) | instskip(NEXT) | instid1(VALU_DEP_3)
	v_bfe_i32 v198, v198, 0, 8
	v_cvt_f16_i16_e32 v29, v29
	s_delay_alu instid0(VALU_DEP_2) | instskip(NEXT) | instid1(VALU_DEP_2)
	v_cvt_f16_i16_e64 v198, v198
	v_pack_b32_f16 v29, v199, v29
	v_ashrrev_i16 v199, 8, v200
	s_delay_alu instid0(VALU_DEP_2) | instskip(NEXT) | instid1(VALU_DEP_2)
	v_pk_mul_f16 v29, v29, v28
	v_cvt_f16_i16_e64 v199, v199
	s_delay_alu instid0(VALU_DEP_2) | instskip(NEXT) | instid1(VALU_DEP_2)
	v_pk_fma_f16 v204, v29, v206, v204
	v_pack_b32_f16 v198, v199, v198
	s_delay_alu instid0(VALU_DEP_1) | instskip(NEXT) | instid1(VALU_DEP_1)
	v_pk_mul_f16 v28, v198, v28
	v_pk_fma_f16 v205, v28, v206, v205
	v_and_b32_e32 v28, 0xffff, v30
	s_delay_alu instid0(VALU_DEP_1) | instskip(SKIP_1) | instid1(VALU_DEP_1)
	v_mul_u32_u24_e32 v30, 0x10001, v28
	v_add_nc_u64_e32 v[28:29], s[12:13], v[100:101]
	v_add_nc_u64_e32 v[198:199], v[28:29], v[168:169]
	;; [unrolled: 1-line block ×3, first 2 shown]
	s_delay_alu instid0(VALU_DEP_2)
	v_add_nc_u64_e32 v[200:201], v[198:199], v[88:89]
	s_clause 0x2
	global_load_b32 v200, v[200:201], off offset:6
	global_load_b32 v201, v[198:199], off offset:2
	global_load_u16 v198, v[198:199], off
	s_wait_loadcnt 0x1
	v_dual_lshrrev_b32 v206, v189, v201 :: v_dual_lshrrev_b32 v207, v194, v201
	v_ashrrev_i32_e32 v200, v193, v200
	s_wait_loadcnt 0x0
	v_mul_u32_u24_e32 v198, 0x10001, v198
	s_delay_alu instid0(VALU_DEP_3) | instskip(NEXT) | instid1(VALU_DEP_3)
	v_dual_lshlrev_b32 v206, 4, v206 :: v_dual_lshlrev_b32 v207, 12, v207
	v_and_b32_e32 v200, 0xf0f0f0f, v200
	s_delay_alu instid0(VALU_DEP_2) | instskip(NEXT) | instid1(VALU_DEP_3)
	v_and_b32_e32 v206, 16, v206
	v_and_b32_e32 v207, 0x1000, v207
	s_delay_alu instid0(VALU_DEP_1) | instskip(SKIP_1) | instid1(VALU_DEP_1)
	v_or3_b32 v206, v206, v200, v207
	v_dual_lshrrev_b32 v207, v195, v201 :: v_dual_lshrrev_b32 v201, v196, v201
	v_dual_lshlrev_b32 v207, 20, v207 :: v_dual_lshlrev_b32 v201, 28, v201
	s_delay_alu instid0(VALU_DEP_1) | instskip(NEXT) | instid1(VALU_DEP_2)
	v_and_b32_e32 v207, 0x100000, v207
	v_and_b32_e32 v201, 0x10000000, v201
	s_delay_alu instid0(VALU_DEP_1) | instskip(SKIP_1) | instid1(VALU_DEP_1)
	v_or3_b32 v200, v200, v207, v201
	v_lshlrev_b16 v201, 8, v206
	v_add_nc_u16 v201, 0xf000, v201
	s_delay_alu instid0(VALU_DEP_1) | instskip(NEXT) | instid1(VALU_DEP_1)
	v_lshrrev_b16 v201, 8, v201
	v_bitop3_b16 v201, v206, v201, 0x1f00 bitop3:0xec
	s_delay_alu instid0(VALU_DEP_1) | instskip(NEXT) | instid1(VALU_DEP_1)
	v_add_nc_u16 v201, 0xf000, v201
	v_dual_lshrrev_b32 v200, 16, v200 :: v_dual_lshrrev_b32 v199, 8, v201
	s_delay_alu instid0(VALU_DEP_1) | instskip(SKIP_2) | instid1(VALU_DEP_4)
	v_lshlrev_b16 v206, 8, v200
	v_and_b32_e32 v200, 0x1f00, v200
	v_bfe_i32 v201, v201, 0, 8
	v_bfe_i32 v199, v199, 0, 8
	s_delay_alu instid0(VALU_DEP_4) | instskip(NEXT) | instid1(VALU_DEP_4)
	v_add_nc_u16 v206, 0xf000, v206
	v_add_nc_u16 v200, 0xf000, v200
	s_delay_alu instid0(VALU_DEP_4) | instskip(NEXT) | instid1(VALU_DEP_4)
	v_cvt_f16_i16_e64 v201, v201
	v_cvt_f16_i16_e64 v199, v199
	s_delay_alu instid0(VALU_DEP_3) | instskip(NEXT) | instid1(VALU_DEP_2)
	v_lshrrev_b32_e32 v200, 8, v200
	v_pack_b32_f16 v199, v201, v199
	v_ashrrev_i16 v201, 8, v206
	s_delay_alu instid0(VALU_DEP_3) | instskip(NEXT) | instid1(VALU_DEP_3)
	v_bfe_i32 v200, v200, 0, 8
	v_pk_mul_f16 v199, v199, v198
	s_delay_alu instid0(VALU_DEP_3) | instskip(NEXT) | instid1(VALU_DEP_3)
	v_cvt_f16_i16_e64 v201, v201
	v_cvt_f16_i16_e64 v200, v200
	s_delay_alu instid0(VALU_DEP_3) | instskip(NEXT) | instid1(VALU_DEP_2)
	v_pk_fma_f16 v202, v199, v30, v202
	v_pack_b32_f16 v200, v201, v200
	s_delay_alu instid0(VALU_DEP_1) | instskip(NEXT) | instid1(VALU_DEP_1)
	v_pk_mul_f16 v198, v200, v198
	v_pk_fma_f16 v203, v198, v30, v203
	v_add_nc_u64_e32 v[198:199], v[28:29], v[112:113]
	s_clause 0x2
	global_load_b32 v198, v[198:199], off offset:6
	global_load_b32 v199, v[28:29], off offset:2
	global_load_u16 v28, v[28:29], off
	s_wait_loadcnt 0x2
	v_ashrrev_i32_e32 v198, v193, v198
	s_wait_loadcnt 0x1
	v_dual_lshrrev_b32 v200, v189, v199 :: v_dual_lshrrev_b32 v201, v194, v199
	s_wait_loadcnt 0x0
	v_mul_u32_u24_e32 v28, 0x10001, v28
	v_and_b32_e32 v198, 0xf0f0f0f, v198
	s_delay_alu instid0(VALU_DEP_3) | instskip(NEXT) | instid1(VALU_DEP_1)
	v_dual_lshlrev_b32 v200, 4, v200 :: v_dual_lshlrev_b32 v201, 12, v201
	v_and_b32_e32 v200, 16, v200
	s_delay_alu instid0(VALU_DEP_2) | instskip(NEXT) | instid1(VALU_DEP_1)
	v_and_b32_e32 v201, 0x1000, v201
	v_or3_b32 v200, v200, v198, v201
	v_dual_lshrrev_b32 v201, v195, v199 :: v_dual_lshrrev_b32 v199, v196, v199
	s_delay_alu instid0(VALU_DEP_1) | instskip(NEXT) | instid1(VALU_DEP_1)
	v_dual_lshlrev_b32 v201, 20, v201 :: v_dual_lshlrev_b32 v199, 28, v199
	v_and_b32_e32 v201, 0x100000, v201
	s_delay_alu instid0(VALU_DEP_2) | instskip(NEXT) | instid1(VALU_DEP_1)
	v_and_b32_e32 v199, 0x10000000, v199
	v_or3_b32 v198, v198, v201, v199
	v_lshlrev_b16 v199, 8, v200
	s_delay_alu instid0(VALU_DEP_2) | instskip(NEXT) | instid1(VALU_DEP_2)
	v_lshrrev_b32_e32 v198, 16, v198
	v_add_nc_u16 v199, 0xf000, v199
	s_delay_alu instid0(VALU_DEP_1) | instskip(NEXT) | instid1(VALU_DEP_1)
	v_lshrrev_b16 v199, 8, v199
	v_bitop3_b16 v199, v200, v199, 0x1f00 bitop3:0xec
	s_delay_alu instid0(VALU_DEP_4) | instskip(SKIP_1) | instid1(VALU_DEP_3)
	v_lshlrev_b16 v200, 8, v198
	v_and_b32_e32 v198, 0x1f00, v198
	v_add_nc_u16 v199, 0xf000, v199
	s_delay_alu instid0(VALU_DEP_3) | instskip(NEXT) | instid1(VALU_DEP_3)
	v_add_nc_u16 v200, 0xf000, v200
	v_add_nc_u16 v198, 0xf000, v198
	s_delay_alu instid0(VALU_DEP_3) | instskip(SKIP_1) | instid1(VALU_DEP_3)
	v_lshrrev_b32_e32 v29, 8, v199
	v_bfe_i32 v199, v199, 0, 8
	v_lshrrev_b32_e32 v198, 8, v198
	s_delay_alu instid0(VALU_DEP_3) | instskip(NEXT) | instid1(VALU_DEP_3)
	v_bfe_i32 v29, v29, 0, 8
	v_cvt_f16_i16_e64 v199, v199
	s_delay_alu instid0(VALU_DEP_3) | instskip(NEXT) | instid1(VALU_DEP_3)
	v_bfe_i32 v198, v198, 0, 8
	v_cvt_f16_i16_e32 v29, v29
	s_delay_alu instid0(VALU_DEP_2) | instskip(NEXT) | instid1(VALU_DEP_2)
	v_cvt_f16_i16_e64 v198, v198
	v_pack_b32_f16 v29, v199, v29
	v_ashrrev_i16 v199, 8, v200
	s_delay_alu instid0(VALU_DEP_2) | instskip(NEXT) | instid1(VALU_DEP_2)
	v_pk_mul_f16 v29, v29, v28
	v_cvt_f16_i16_e64 v199, v199
	s_delay_alu instid0(VALU_DEP_2) | instskip(NEXT) | instid1(VALU_DEP_2)
	v_pk_fma_f16 v204, v29, v30, v204
	v_pack_b32_f16 v198, v199, v198
	s_delay_alu instid0(VALU_DEP_1) | instskip(NEXT) | instid1(VALU_DEP_1)
	v_pk_mul_f16 v28, v198, v28
	v_pk_fma_f16 v30, v28, v30, v205
	v_add_nc_u64_e32 v[28:29], s[12:13], v[102:103]
	v_mul_u32_u24_e32 v205, 0x10001, v208
	s_delay_alu instid0(VALU_DEP_2) | instskip(SKIP_1) | instid1(VALU_DEP_2)
	v_add_nc_u64_e32 v[198:199], v[28:29], v[168:169]
	v_add_nc_u64_e32 v[28:29], v[28:29], v[166:167]
	;; [unrolled: 1-line block ×3, first 2 shown]
	s_clause 0x2
	global_load_b32 v200, v[200:201], off offset:6
	global_load_b32 v201, v[198:199], off offset:2
	global_load_u16 v198, v[198:199], off
	s_wait_loadcnt 0x1
	v_dual_lshrrev_b32 v206, v189, v201 :: v_dual_lshrrev_b32 v207, v194, v201
	v_ashrrev_i32_e32 v200, v193, v200
	s_wait_loadcnt 0x0
	v_mul_u32_u24_e32 v198, 0x10001, v198
	s_delay_alu instid0(VALU_DEP_3) | instskip(NEXT) | instid1(VALU_DEP_3)
	v_dual_lshlrev_b32 v206, 4, v206 :: v_dual_lshlrev_b32 v207, 12, v207
	v_and_b32_e32 v200, 0xf0f0f0f, v200
	s_delay_alu instid0(VALU_DEP_2) | instskip(NEXT) | instid1(VALU_DEP_3)
	v_and_b32_e32 v206, 16, v206
	v_and_b32_e32 v207, 0x1000, v207
	s_delay_alu instid0(VALU_DEP_1) | instskip(SKIP_1) | instid1(VALU_DEP_1)
	v_or3_b32 v206, v206, v200, v207
	v_dual_lshrrev_b32 v207, v195, v201 :: v_dual_lshrrev_b32 v201, v196, v201
	v_dual_lshlrev_b32 v207, 20, v207 :: v_dual_lshlrev_b32 v201, 28, v201
	s_delay_alu instid0(VALU_DEP_1) | instskip(NEXT) | instid1(VALU_DEP_2)
	v_and_b32_e32 v207, 0x100000, v207
	v_and_b32_e32 v201, 0x10000000, v201
	s_delay_alu instid0(VALU_DEP_1) | instskip(SKIP_3) | instid1(VALU_DEP_2)
	v_or3_b32 v200, v200, v207, v201
	v_lshlrev_b16 v201, 8, v206
	s_wait_dscnt 0x2
	v_lshrrev_b32_e32 v207, 16, v26
	v_add_nc_u16 v201, 0xf000, v201
	s_delay_alu instid0(VALU_DEP_1) | instskip(NEXT) | instid1(VALU_DEP_1)
	v_lshrrev_b16 v201, 8, v201
	v_bitop3_b16 v201, v206, v201, 0x1f00 bitop3:0xec
	s_delay_alu instid0(VALU_DEP_1) | instskip(NEXT) | instid1(VALU_DEP_1)
	v_add_nc_u16 v201, 0xf000, v201
	v_dual_lshrrev_b32 v200, 16, v200 :: v_dual_lshrrev_b32 v199, 8, v201
	s_delay_alu instid0(VALU_DEP_1) | instskip(SKIP_2) | instid1(VALU_DEP_4)
	v_lshlrev_b16 v206, 8, v200
	v_and_b32_e32 v200, 0x1f00, v200
	v_bfe_i32 v201, v201, 0, 8
	v_bfe_i32 v199, v199, 0, 8
	s_delay_alu instid0(VALU_DEP_4) | instskip(NEXT) | instid1(VALU_DEP_4)
	v_add_nc_u16 v206, 0xf000, v206
	v_add_nc_u16 v200, 0xf000, v200
	s_delay_alu instid0(VALU_DEP_4) | instskip(NEXT) | instid1(VALU_DEP_4)
	v_cvt_f16_i16_e64 v201, v201
	v_cvt_f16_i16_e64 v199, v199
	s_delay_alu instid0(VALU_DEP_3) | instskip(NEXT) | instid1(VALU_DEP_2)
	v_lshrrev_b32_e32 v200, 8, v200
	v_pack_b32_f16 v199, v201, v199
	v_ashrrev_i16 v201, 8, v206
	s_delay_alu instid0(VALU_DEP_3) | instskip(NEXT) | instid1(VALU_DEP_3)
	v_bfe_i32 v200, v200, 0, 8
	v_pk_mul_f16 v199, v199, v198
	s_delay_alu instid0(VALU_DEP_3) | instskip(NEXT) | instid1(VALU_DEP_3)
	v_cvt_f16_i16_e64 v201, v201
	v_cvt_f16_i16_e64 v200, v200
	s_delay_alu instid0(VALU_DEP_1) | instskip(NEXT) | instid1(VALU_DEP_1)
	v_pack_b32_f16 v200, v201, v200
	v_pk_mul_f16 v198, v200, v198
	v_pk_fma_f16 v200, v199, v205, v202
	s_delay_alu instid0(VALU_DEP_2)
	v_pk_fma_f16 v201, v198, v205, v203
	v_add_nc_u64_e32 v[198:199], v[28:29], v[112:113]
	s_clause 0x2
	global_load_b32 v198, v[198:199], off offset:6
	global_load_b32 v199, v[28:29], off offset:2
	global_load_u16 v28, v[28:29], off
	s_wait_loadcnt 0x2
	v_ashrrev_i32_e32 v198, v193, v198
	s_wait_loadcnt 0x1
	v_dual_lshrrev_b32 v202, v189, v199 :: v_dual_lshrrev_b32 v203, v194, v199
	s_wait_loadcnt 0x0
	v_mul_u32_u24_e32 v28, 0x10001, v28
	v_and_b32_e32 v198, 0xf0f0f0f, v198
	s_delay_alu instid0(VALU_DEP_3) | instskip(NEXT) | instid1(VALU_DEP_1)
	v_dual_lshlrev_b32 v202, 4, v202 :: v_dual_lshlrev_b32 v203, 12, v203
	v_and_b32_e32 v202, 16, v202
	s_delay_alu instid0(VALU_DEP_2) | instskip(NEXT) | instid1(VALU_DEP_1)
	v_and_b32_e32 v203, 0x1000, v203
	v_or3_b32 v202, v202, v198, v203
	v_dual_lshrrev_b32 v203, v195, v199 :: v_dual_lshrrev_b32 v199, v196, v199
	s_delay_alu instid0(VALU_DEP_1) | instskip(NEXT) | instid1(VALU_DEP_2)
	v_lshlrev_b32_e32 v203, 20, v203
	v_lshlrev_b32_e32 v199, 28, v199
	s_delay_alu instid0(VALU_DEP_2) | instskip(NEXT) | instid1(VALU_DEP_2)
	v_and_b32_e32 v203, 0x100000, v203
	v_and_b32_e32 v199, 0x10000000, v199
	s_delay_alu instid0(VALU_DEP_1) | instskip(SKIP_1) | instid1(VALU_DEP_2)
	v_or3_b32 v198, v198, v203, v199
	v_lshlrev_b16 v199, 8, v202
	v_lshrrev_b32_e32 v198, 16, v198
	s_delay_alu instid0(VALU_DEP_2) | instskip(NEXT) | instid1(VALU_DEP_1)
	v_add_nc_u16 v199, 0xf000, v199
	v_lshrrev_b16 v199, 8, v199
	s_delay_alu instid0(VALU_DEP_1) | instskip(NEXT) | instid1(VALU_DEP_4)
	v_bitop3_b16 v199, v202, v199, 0x1f00 bitop3:0xec
	v_lshlrev_b16 v202, 8, v198
	v_and_b32_e32 v198, 0x1f00, v198
	s_delay_alu instid0(VALU_DEP_3) | instskip(NEXT) | instid1(VALU_DEP_3)
	v_add_nc_u16 v199, 0xf000, v199
	v_add_nc_u16 v202, 0xf000, v202
	s_delay_alu instid0(VALU_DEP_3) | instskip(NEXT) | instid1(VALU_DEP_3)
	v_add_nc_u16 v198, 0xf000, v198
	v_lshrrev_b32_e32 v29, 8, v199
	v_bfe_i32 v199, v199, 0, 8
	s_delay_alu instid0(VALU_DEP_3) | instskip(NEXT) | instid1(VALU_DEP_3)
	v_lshrrev_b32_e32 v198, 8, v198
	v_bfe_i32 v29, v29, 0, 8
	s_delay_alu instid0(VALU_DEP_3) | instskip(NEXT) | instid1(VALU_DEP_3)
	v_cvt_f16_i16_e64 v199, v199
	v_bfe_i32 v198, v198, 0, 8
	s_delay_alu instid0(VALU_DEP_3) | instskip(NEXT) | instid1(VALU_DEP_2)
	v_cvt_f16_i16_e32 v29, v29
	v_cvt_f16_i16_e64 v198, v198
	s_delay_alu instid0(VALU_DEP_2) | instskip(SKIP_1) | instid1(VALU_DEP_2)
	v_pack_b32_f16 v29, v199, v29
	v_ashrrev_i16 v199, 8, v202
	v_pk_mul_f16 v29, v29, v28
	s_delay_alu instid0(VALU_DEP_2) | instskip(NEXT) | instid1(VALU_DEP_2)
	v_cvt_f16_i16_e64 v199, v199
	v_pk_fma_f16 v202, v29, v205, v204
	s_delay_alu instid0(VALU_DEP_2) | instskip(NEXT) | instid1(VALU_DEP_1)
	v_pack_b32_f16 v198, v199, v198
	v_pk_mul_f16 v28, v198, v28
	s_delay_alu instid0(VALU_DEP_1) | instskip(SKIP_1) | instid1(VALU_DEP_1)
	v_pk_fma_f16 v203, v28, v205, v30
	v_and_b32_e32 v28, 0xffff, v31
	v_mul_u32_u24_e32 v204, 0x10001, v28
	v_add_nc_u64_e32 v[28:29], s[12:13], v[104:105]
	s_delay_alu instid0(VALU_DEP_1) | instskip(SKIP_1) | instid1(VALU_DEP_2)
	v_add_nc_u64_e32 v[30:31], v[28:29], v[168:169]
	v_add_nc_u64_e32 v[28:29], v[28:29], v[166:167]
	;; [unrolled: 1-line block ×3, first 2 shown]
	s_clause 0x2
	global_load_b32 v198, v[198:199], off offset:6
	global_load_b32 v199, v[30:31], off offset:2
	global_load_u16 v30, v[30:31], off
	s_wait_loadcnt 0x2
	v_ashrrev_i32_e32 v198, v193, v198
	s_wait_loadcnt 0x1
	v_dual_lshrrev_b32 v205, v189, v199 :: v_dual_lshrrev_b32 v206, v194, v199
	s_wait_loadcnt 0x0
	v_mul_u32_u24_e32 v30, 0x10001, v30
	v_and_b32_e32 v198, 0xf0f0f0f, v198
	s_delay_alu instid0(VALU_DEP_3) | instskip(NEXT) | instid1(VALU_DEP_1)
	v_dual_lshlrev_b32 v205, 4, v205 :: v_dual_lshlrev_b32 v206, 12, v206
	v_and_b32_e32 v205, 16, v205
	s_delay_alu instid0(VALU_DEP_2) | instskip(NEXT) | instid1(VALU_DEP_1)
	v_and_b32_e32 v206, 0x1000, v206
	v_or3_b32 v205, v205, v198, v206
	v_dual_lshrrev_b32 v206, v195, v199 :: v_dual_lshrrev_b32 v199, v196, v199
	s_delay_alu instid0(VALU_DEP_1) | instskip(NEXT) | instid1(VALU_DEP_1)
	v_dual_lshlrev_b32 v206, 20, v206 :: v_dual_lshlrev_b32 v199, 28, v199
	v_and_b32_e32 v206, 0x100000, v206
	s_delay_alu instid0(VALU_DEP_2) | instskip(NEXT) | instid1(VALU_DEP_1)
	v_and_b32_e32 v199, 0x10000000, v199
	v_or3_b32 v198, v198, v206, v199
	v_lshlrev_b16 v199, 8, v205
	s_delay_alu instid0(VALU_DEP_1) | instskip(NEXT) | instid1(VALU_DEP_1)
	v_add_nc_u16 v199, 0xf000, v199
	v_lshrrev_b16 v199, 8, v199
	s_delay_alu instid0(VALU_DEP_1) | instskip(NEXT) | instid1(VALU_DEP_1)
	v_bitop3_b16 v199, v205, v199, 0x1f00 bitop3:0xec
	v_add_nc_u16 v199, 0xf000, v199
	s_delay_alu instid0(VALU_DEP_1) | instskip(NEXT) | instid1(VALU_DEP_1)
	v_dual_lshrrev_b32 v198, 16, v198 :: v_dual_lshrrev_b32 v31, 8, v199
	v_lshlrev_b16 v205, 8, v198
	v_and_b32_e32 v198, 0x1f00, v198
	v_bfe_i32 v199, v199, 0, 8
	s_delay_alu instid0(VALU_DEP_4) | instskip(NEXT) | instid1(VALU_DEP_4)
	v_bfe_i32 v31, v31, 0, 8
	v_add_nc_u16 v205, 0xf000, v205
	s_delay_alu instid0(VALU_DEP_4) | instskip(NEXT) | instid1(VALU_DEP_4)
	v_add_nc_u16 v198, 0xf000, v198
	v_cvt_f16_i16_e64 v199, v199
	s_delay_alu instid0(VALU_DEP_4) | instskip(NEXT) | instid1(VALU_DEP_3)
	v_cvt_f16_i16_e32 v31, v31
	v_lshrrev_b32_e32 v198, 8, v198
	s_delay_alu instid0(VALU_DEP_2) | instskip(SKIP_1) | instid1(VALU_DEP_3)
	v_pack_b32_f16 v31, v199, v31
	v_ashrrev_i16 v199, 8, v205
	v_bfe_i32 v198, v198, 0, 8
	s_delay_alu instid0(VALU_DEP_3) | instskip(NEXT) | instid1(VALU_DEP_3)
	v_pk_mul_f16 v31, v31, v30
	v_cvt_f16_i16_e64 v199, v199
	s_delay_alu instid0(VALU_DEP_3) | instskip(NEXT) | instid1(VALU_DEP_3)
	v_cvt_f16_i16_e64 v198, v198
	v_pk_fma_f16 v200, v31, v204, v200
	s_delay_alu instid0(VALU_DEP_2) | instskip(NEXT) | instid1(VALU_DEP_1)
	v_pack_b32_f16 v198, v199, v198
	v_pk_mul_f16 v30, v198, v30
	s_delay_alu instid0(VALU_DEP_1)
	v_pk_fma_f16 v201, v30, v204, v201
	v_add_nc_u64_e32 v[30:31], v[28:29], v[112:113]
	s_clause 0x2
	global_load_b32 v30, v[30:31], off offset:6
	global_load_b32 v31, v[28:29], off offset:2
	global_load_u16 v28, v[28:29], off
	s_wait_loadcnt 0x1
	v_dual_lshrrev_b32 v198, v189, v31 :: v_dual_lshrrev_b32 v199, v194, v31
	v_ashrrev_i32_e32 v30, v193, v30
	s_wait_loadcnt 0x0
	v_mul_u32_u24_e32 v28, 0x10001, v28
	s_delay_alu instid0(VALU_DEP_3) | instskip(NEXT) | instid1(VALU_DEP_3)
	v_dual_lshlrev_b32 v198, 4, v198 :: v_dual_lshlrev_b32 v199, 12, v199
	v_and_b32_e32 v30, 0xf0f0f0f, v30
	s_delay_alu instid0(VALU_DEP_2) | instskip(NEXT) | instid1(VALU_DEP_3)
	v_and_b32_e32 v198, 16, v198
	v_and_b32_e32 v199, 0x1000, v199
	s_delay_alu instid0(VALU_DEP_1) | instskip(SKIP_1) | instid1(VALU_DEP_1)
	v_or3_b32 v198, v198, v30, v199
	v_dual_lshrrev_b32 v199, v195, v31 :: v_dual_lshrrev_b32 v31, v196, v31
	v_lshlrev_b32_e32 v199, 20, v199
	s_delay_alu instid0(VALU_DEP_2) | instskip(NEXT) | instid1(VALU_DEP_2)
	v_lshlrev_b32_e32 v31, 28, v31
	v_and_b32_e32 v199, 0x100000, v199
	s_delay_alu instid0(VALU_DEP_2) | instskip(NEXT) | instid1(VALU_DEP_1)
	v_and_b32_e32 v31, 0x10000000, v31
	v_or3_b32 v30, v30, v199, v31
	v_lshlrev_b16 v31, 8, v198
	s_delay_alu instid0(VALU_DEP_2) | instskip(NEXT) | instid1(VALU_DEP_2)
	v_lshrrev_b32_e32 v30, 16, v30
	v_add_nc_u16 v31, 0xf000, v31
	s_delay_alu instid0(VALU_DEP_1) | instskip(NEXT) | instid1(VALU_DEP_1)
	v_lshrrev_b16 v31, 8, v31
	v_bitop3_b16 v31, v198, v31, 0x1f00 bitop3:0xec
	s_delay_alu instid0(VALU_DEP_4) | instskip(SKIP_1) | instid1(VALU_DEP_3)
	v_lshlrev_b16 v198, 8, v30
	v_and_b32_e32 v30, 0x1f00, v30
	v_add_nc_u16 v31, 0xf000, v31
	s_delay_alu instid0(VALU_DEP_3) | instskip(NEXT) | instid1(VALU_DEP_3)
	v_add_nc_u16 v198, 0xf000, v198
	v_add_nc_u16 v30, 0xf000, v30
	s_delay_alu instid0(VALU_DEP_3) | instskip(SKIP_1) | instid1(VALU_DEP_3)
	v_lshrrev_b32_e32 v29, 8, v31
	v_bfe_i32 v31, v31, 0, 8
	v_lshrrev_b32_e32 v30, 8, v30
	s_delay_alu instid0(VALU_DEP_3) | instskip(NEXT) | instid1(VALU_DEP_3)
	v_bfe_i32 v29, v29, 0, 8
	v_cvt_f16_i16_e32 v31, v31
	s_delay_alu instid0(VALU_DEP_3) | instskip(NEXT) | instid1(VALU_DEP_3)
	v_bfe_i32 v30, v30, 0, 8
	v_cvt_f16_i16_e32 v29, v29
	s_delay_alu instid0(VALU_DEP_2) | instskip(NEXT) | instid1(VALU_DEP_2)
	v_cvt_f16_i16_e32 v30, v30
	v_pack_b32_f16 v29, v31, v29
	v_ashrrev_i16 v31, 8, v198
	s_delay_alu instid0(VALU_DEP_2) | instskip(NEXT) | instid1(VALU_DEP_2)
	v_pk_mul_f16 v29, v29, v28
	v_cvt_f16_i16_e32 v31, v31
	s_delay_alu instid0(VALU_DEP_2) | instskip(NEXT) | instid1(VALU_DEP_2)
	v_pk_fma_f16 v202, v29, v204, v202
	v_pack_b32_f16 v30, v31, v30
	s_delay_alu instid0(VALU_DEP_1) | instskip(NEXT) | instid1(VALU_DEP_1)
	v_pk_mul_f16 v28, v30, v28
	v_pk_fma_f16 v203, v28, v204, v203
	v_add_nc_u64_e32 v[28:29], s[12:13], v[106:107]
	v_mul_u32_u24_e32 v204, 0x10001, v209
	s_delay_alu instid0(VALU_DEP_2) | instskip(SKIP_1) | instid1(VALU_DEP_2)
	v_add_nc_u64_e32 v[30:31], v[28:29], v[168:169]
	v_add_nc_u64_e32 v[28:29], v[28:29], v[166:167]
	v_add_nc_u64_e32 v[198:199], v[30:31], v[88:89]
	s_clause 0x2
	global_load_b32 v198, v[198:199], off offset:6
	global_load_b32 v199, v[30:31], off offset:2
	global_load_u16 v30, v[30:31], off
	s_wait_loadcnt 0x1
	v_dual_lshrrev_b32 v205, v189, v199 :: v_dual_lshrrev_b32 v206, v194, v199
	v_ashrrev_i32_e32 v198, v193, v198
	s_wait_loadcnt 0x0
	v_mul_u32_u24_e32 v30, 0x10001, v30
	s_delay_alu instid0(VALU_DEP_3) | instskip(NEXT) | instid1(VALU_DEP_3)
	v_dual_lshlrev_b32 v205, 4, v205 :: v_dual_lshlrev_b32 v206, 12, v206
	v_and_b32_e32 v198, 0xf0f0f0f, v198
	s_delay_alu instid0(VALU_DEP_2) | instskip(NEXT) | instid1(VALU_DEP_3)
	v_and_b32_e32 v205, 16, v205
	v_and_b32_e32 v206, 0x1000, v206
	s_delay_alu instid0(VALU_DEP_1) | instskip(SKIP_1) | instid1(VALU_DEP_1)
	v_or3_b32 v205, v205, v198, v206
	v_dual_lshrrev_b32 v206, v195, v199 :: v_dual_lshrrev_b32 v199, v196, v199
	v_dual_lshlrev_b32 v206, 20, v206 :: v_dual_lshlrev_b32 v199, 28, v199
	s_delay_alu instid0(VALU_DEP_1) | instskip(NEXT) | instid1(VALU_DEP_2)
	v_and_b32_e32 v206, 0x100000, v206
	v_and_b32_e32 v199, 0x10000000, v199
	s_delay_alu instid0(VALU_DEP_1) | instskip(SKIP_1) | instid1(VALU_DEP_1)
	v_or3_b32 v198, v198, v206, v199
	v_lshlrev_b16 v199, 8, v205
	v_add_nc_u16 v199, 0xf000, v199
	s_delay_alu instid0(VALU_DEP_1) | instskip(NEXT) | instid1(VALU_DEP_1)
	v_lshrrev_b16 v199, 8, v199
	v_bitop3_b16 v199, v205, v199, 0x1f00 bitop3:0xec
	s_delay_alu instid0(VALU_DEP_1) | instskip(NEXT) | instid1(VALU_DEP_1)
	v_add_nc_u16 v199, 0xf000, v199
	v_dual_lshrrev_b32 v198, 16, v198 :: v_dual_lshrrev_b32 v31, 8, v199
	s_delay_alu instid0(VALU_DEP_1) | instskip(SKIP_2) | instid1(VALU_DEP_4)
	v_lshlrev_b16 v205, 8, v198
	v_and_b32_e32 v198, 0x1f00, v198
	v_bfe_i32 v199, v199, 0, 8
	v_bfe_i32 v31, v31, 0, 8
	s_delay_alu instid0(VALU_DEP_4) | instskip(NEXT) | instid1(VALU_DEP_4)
	v_add_nc_u16 v205, 0xf000, v205
	v_add_nc_u16 v198, 0xf000, v198
	s_delay_alu instid0(VALU_DEP_4) | instskip(NEXT) | instid1(VALU_DEP_4)
	v_cvt_f16_i16_e64 v199, v199
	v_cvt_f16_i16_e32 v31, v31
	s_delay_alu instid0(VALU_DEP_3) | instskip(NEXT) | instid1(VALU_DEP_2)
	v_lshrrev_b32_e32 v198, 8, v198
	v_pack_b32_f16 v31, v199, v31
	v_ashrrev_i16 v199, 8, v205
	s_delay_alu instid0(VALU_DEP_3) | instskip(NEXT) | instid1(VALU_DEP_3)
	v_bfe_i32 v198, v198, 0, 8
	v_pk_mul_f16 v31, v31, v30
	s_delay_alu instid0(VALU_DEP_3) | instskip(NEXT) | instid1(VALU_DEP_3)
	v_cvt_f16_i16_e64 v199, v199
	v_cvt_f16_i16_e64 v198, v198
	s_delay_alu instid0(VALU_DEP_3) | instskip(NEXT) | instid1(VALU_DEP_2)
	v_pk_fma_f16 v205, v31, v204, v200
	v_pack_b32_f16 v198, v199, v198
	s_delay_alu instid0(VALU_DEP_1) | instskip(NEXT) | instid1(VALU_DEP_1)
	v_pk_mul_f16 v30, v198, v30
	v_pk_fma_f16 v206, v30, v204, v201
	v_add_nc_u64_e32 v[30:31], v[28:29], v[112:113]
	s_clause 0x2
	global_load_b32 v30, v[30:31], off offset:6
	global_load_b32 v31, v[28:29], off offset:2
	global_load_u16 v28, v[28:29], off
	s_wait_loadcnt 0x1
	v_dual_lshrrev_b32 v198, v189, v31 :: v_dual_lshrrev_b32 v199, v194, v31
	v_ashrrev_i32_e32 v30, v193, v30
	s_wait_loadcnt 0x0
	v_mul_u32_u24_e32 v28, 0x10001, v28
	s_delay_alu instid0(VALU_DEP_3) | instskip(NEXT) | instid1(VALU_DEP_3)
	v_dual_lshlrev_b32 v198, 4, v198 :: v_dual_lshlrev_b32 v199, 12, v199
	v_and_b32_e32 v30, 0xf0f0f0f, v30
	s_delay_alu instid0(VALU_DEP_2) | instskip(NEXT) | instid1(VALU_DEP_3)
	v_and_b32_e32 v198, 16, v198
	v_and_b32_e32 v199, 0x1000, v199
	s_delay_alu instid0(VALU_DEP_1) | instskip(SKIP_1) | instid1(VALU_DEP_1)
	v_or3_b32 v198, v198, v30, v199
	v_dual_lshrrev_b32 v199, v195, v31 :: v_dual_lshrrev_b32 v31, v196, v31
	v_lshlrev_b32_e32 v199, 20, v199
	s_delay_alu instid0(VALU_DEP_2) | instskip(NEXT) | instid1(VALU_DEP_2)
	v_lshlrev_b32_e32 v31, 28, v31
	v_and_b32_e32 v199, 0x100000, v199
	s_delay_alu instid0(VALU_DEP_2) | instskip(NEXT) | instid1(VALU_DEP_1)
	v_and_b32_e32 v31, 0x10000000, v31
	v_or3_b32 v30, v30, v199, v31
	v_lshlrev_b16 v31, 8, v198
	s_delay_alu instid0(VALU_DEP_2) | instskip(NEXT) | instid1(VALU_DEP_2)
	v_lshrrev_b32_e32 v30, 16, v30
	v_add_nc_u16 v31, 0xf000, v31
	s_delay_alu instid0(VALU_DEP_1) | instskip(NEXT) | instid1(VALU_DEP_1)
	v_lshrrev_b16 v31, 8, v31
	v_bitop3_b16 v31, v198, v31, 0x1f00 bitop3:0xec
	s_delay_alu instid0(VALU_DEP_4) | instskip(SKIP_1) | instid1(VALU_DEP_3)
	v_lshlrev_b16 v198, 8, v30
	v_and_b32_e32 v30, 0x1f00, v30
	v_add_nc_u16 v31, 0xf000, v31
	s_delay_alu instid0(VALU_DEP_3) | instskip(NEXT) | instid1(VALU_DEP_3)
	v_add_nc_u16 v198, 0xf000, v198
	v_add_nc_u16 v30, 0xf000, v30
	s_delay_alu instid0(VALU_DEP_3) | instskip(SKIP_1) | instid1(VALU_DEP_3)
	v_lshrrev_b32_e32 v29, 8, v31
	v_bfe_i32 v31, v31, 0, 8
	v_lshrrev_b32_e32 v30, 8, v30
	s_delay_alu instid0(VALU_DEP_3) | instskip(NEXT) | instid1(VALU_DEP_3)
	v_bfe_i32 v29, v29, 0, 8
	v_cvt_f16_i16_e32 v31, v31
	s_delay_alu instid0(VALU_DEP_3) | instskip(NEXT) | instid1(VALU_DEP_3)
	v_bfe_i32 v30, v30, 0, 8
	v_cvt_f16_i16_e32 v29, v29
	s_delay_alu instid0(VALU_DEP_2) | instskip(NEXT) | instid1(VALU_DEP_2)
	v_cvt_f16_i16_e32 v30, v30
	v_pack_b32_f16 v29, v31, v29
	v_ashrrev_i16 v31, 8, v198
	s_delay_alu instid0(VALU_DEP_2) | instskip(NEXT) | instid1(VALU_DEP_2)
	v_pk_mul_f16 v29, v29, v28
	v_cvt_f16_i16_e32 v31, v31
	s_delay_alu instid0(VALU_DEP_2) | instskip(NEXT) | instid1(VALU_DEP_2)
	v_pk_fma_f16 v29, v29, v204, v202
	v_pack_b32_f16 v30, v31, v30
	s_delay_alu instid0(VALU_DEP_1) | instskip(SKIP_1) | instid1(VALU_DEP_2)
	v_pk_mul_f16 v28, v30, v28
	v_add_nc_u64_e32 v[30:31], s[12:13], v[108:109]
	v_pk_fma_f16 v202, v28, v204, v203
	v_dual_lshrrev_b32 v203, 16, v24 :: v_dual_lshrrev_b32 v204, 16, v25
	s_delay_alu instid0(VALU_DEP_3) | instskip(SKIP_3) | instid1(VALU_DEP_3)
	v_add_nc_u64_e32 v[198:199], v[30:31], v[168:169]
	v_and_b32_e32 v24, 0xffff, v24
	v_add_nc_u64_e32 v[30:31], v[30:31], v[166:167]
	v_lshrrev_b32_e32 v28, 16, v27
	v_mul_u32_u24_e32 v24, 0x10001, v24
	v_add_nc_u64_e32 v[200:201], v[198:199], v[88:89]
	s_clause 0x2
	global_load_b32 v200, v[200:201], off offset:6
	global_load_b32 v201, v[198:199], off offset:2
	global_load_u16 v198, v[198:199], off
	s_wait_loadcnt 0x1
	v_dual_ashrrev_i32 v200, v193, v200 :: v_dual_lshrrev_b32 v209, v194, v201
	v_lshrrev_b32_e32 v208, v189, v201
	s_wait_loadcnt 0x0
	v_mul_u32_u24_e32 v198, 0x10001, v198
	s_delay_alu instid0(VALU_DEP_3) | instskip(NEXT) | instid1(VALU_DEP_3)
	v_and_b32_e32 v200, 0xf0f0f0f, v200
	v_dual_lshlrev_b32 v209, 12, v209 :: v_dual_lshlrev_b32 v208, 4, v208
	s_delay_alu instid0(VALU_DEP_1) | instskip(NEXT) | instid1(VALU_DEP_2)
	v_and_b32_e32 v209, 0x1000, v209
	v_and_b32_e32 v208, 16, v208
	s_delay_alu instid0(VALU_DEP_1) | instskip(SKIP_1) | instid1(VALU_DEP_1)
	v_or3_b32 v208, v208, v200, v209
	v_dual_lshrrev_b32 v209, v195, v201 :: v_dual_lshrrev_b32 v201, v196, v201
	v_lshlrev_b32_e32 v209, 20, v209
	s_delay_alu instid0(VALU_DEP_2) | instskip(NEXT) | instid1(VALU_DEP_2)
	v_lshlrev_b32_e32 v201, 28, v201
	v_and_b32_e32 v209, 0x100000, v209
	s_delay_alu instid0(VALU_DEP_2) | instskip(NEXT) | instid1(VALU_DEP_1)
	v_and_b32_e32 v201, 0x10000000, v201
	v_or3_b32 v200, v200, v209, v201
	v_lshlrev_b16 v201, 8, v208
	s_delay_alu instid0(VALU_DEP_2) | instskip(NEXT) | instid1(VALU_DEP_2)
	v_lshrrev_b32_e32 v200, 16, v200
	v_add_nc_u16 v201, 0xf000, v201
	s_delay_alu instid0(VALU_DEP_1) | instskip(NEXT) | instid1(VALU_DEP_1)
	v_lshrrev_b16 v201, 8, v201
	v_bitop3_b16 v201, v208, v201, 0x1f00 bitop3:0xec
	s_delay_alu instid0(VALU_DEP_4) | instskip(SKIP_1) | instid1(VALU_DEP_3)
	v_lshlrev_b16 v208, 8, v200
	v_and_b32_e32 v200, 0x1f00, v200
	v_add_nc_u16 v201, 0xf000, v201
	s_delay_alu instid0(VALU_DEP_3) | instskip(NEXT) | instid1(VALU_DEP_3)
	v_add_nc_u16 v208, 0xf000, v208
	v_add_nc_u16 v200, 0xf000, v200
	s_delay_alu instid0(VALU_DEP_3) | instskip(SKIP_1) | instid1(VALU_DEP_3)
	v_lshrrev_b32_e32 v199, 8, v201
	v_bfe_i32 v201, v201, 0, 8
	v_lshrrev_b32_e32 v200, 8, v200
	s_delay_alu instid0(VALU_DEP_3) | instskip(NEXT) | instid1(VALU_DEP_3)
	v_bfe_i32 v199, v199, 0, 8
	v_cvt_f16_i16_e64 v201, v201
	s_delay_alu instid0(VALU_DEP_3) | instskip(NEXT) | instid1(VALU_DEP_3)
	v_bfe_i32 v200, v200, 0, 8
	v_cvt_f16_i16_e64 v199, v199
	s_delay_alu instid0(VALU_DEP_2) | instskip(NEXT) | instid1(VALU_DEP_2)
	v_cvt_f16_i16_e64 v200, v200
	v_pack_b32_f16 v199, v201, v199
	v_ashrrev_i16 v201, 8, v208
	s_delay_alu instid0(VALU_DEP_2) | instskip(NEXT) | instid1(VALU_DEP_2)
	v_pk_mul_f16 v199, v199, v198
	v_cvt_f16_i16_e64 v201, v201
	s_delay_alu instid0(VALU_DEP_2) | instskip(NEXT) | instid1(VALU_DEP_2)
	v_pk_fma_f16 v205, v199, v24, v205
	v_pack_b32_f16 v200, v201, v200
	s_delay_alu instid0(VALU_DEP_1) | instskip(NEXT) | instid1(VALU_DEP_1)
	v_pk_mul_f16 v198, v200, v198
	v_pk_fma_f16 v206, v198, v24, v206
	v_add_nc_u64_e32 v[198:199], v[30:31], v[112:113]
	s_clause 0x2
	global_load_b32 v198, v[198:199], off offset:6
	global_load_b32 v199, v[30:31], off offset:2
	global_load_u16 v30, v[30:31], off
	s_wait_loadcnt 0x2
	v_ashrrev_i32_e32 v198, v193, v198
	s_wait_loadcnt 0x1
	v_dual_lshrrev_b32 v200, v189, v199 :: v_dual_lshrrev_b32 v201, v194, v199
	s_wait_loadcnt 0x0
	v_mul_u32_u24_e32 v30, 0x10001, v30
	v_and_b32_e32 v198, 0xf0f0f0f, v198
	s_delay_alu instid0(VALU_DEP_3) | instskip(NEXT) | instid1(VALU_DEP_1)
	v_dual_lshlrev_b32 v200, 4, v200 :: v_dual_lshlrev_b32 v201, 12, v201
	v_and_b32_e32 v200, 16, v200
	s_delay_alu instid0(VALU_DEP_2) | instskip(NEXT) | instid1(VALU_DEP_1)
	v_and_b32_e32 v201, 0x1000, v201
	v_or3_b32 v200, v200, v198, v201
	v_dual_lshrrev_b32 v201, v195, v199 :: v_dual_lshrrev_b32 v199, v196, v199
	s_delay_alu instid0(VALU_DEP_1) | instskip(NEXT) | instid1(VALU_DEP_1)
	v_dual_lshlrev_b32 v201, 20, v201 :: v_dual_lshlrev_b32 v199, 28, v199
	v_and_b32_e32 v201, 0x100000, v201
	s_delay_alu instid0(VALU_DEP_2) | instskip(NEXT) | instid1(VALU_DEP_1)
	v_and_b32_e32 v199, 0x10000000, v199
	v_or3_b32 v198, v198, v201, v199
	v_lshlrev_b16 v199, 8, v200
	s_delay_alu instid0(VALU_DEP_2) | instskip(NEXT) | instid1(VALU_DEP_2)
	v_lshrrev_b32_e32 v198, 16, v198
	v_add_nc_u16 v199, 0xf000, v199
	s_delay_alu instid0(VALU_DEP_1) | instskip(NEXT) | instid1(VALU_DEP_1)
	v_lshrrev_b16 v199, 8, v199
	v_bitop3_b16 v199, v200, v199, 0x1f00 bitop3:0xec
	s_delay_alu instid0(VALU_DEP_4) | instskip(SKIP_1) | instid1(VALU_DEP_3)
	v_lshlrev_b16 v200, 8, v198
	v_and_b32_e32 v198, 0x1f00, v198
	v_add_nc_u16 v199, 0xf000, v199
	s_delay_alu instid0(VALU_DEP_3) | instskip(NEXT) | instid1(VALU_DEP_3)
	v_add_nc_u16 v200, 0xf000, v200
	v_add_nc_u16 v198, 0xf000, v198
	s_delay_alu instid0(VALU_DEP_3) | instskip(SKIP_1) | instid1(VALU_DEP_3)
	v_lshrrev_b32_e32 v31, 8, v199
	v_bfe_i32 v199, v199, 0, 8
	v_lshrrev_b32_e32 v198, 8, v198
	s_delay_alu instid0(VALU_DEP_3) | instskip(NEXT) | instid1(VALU_DEP_3)
	v_bfe_i32 v31, v31, 0, 8
	v_cvt_f16_i16_e64 v199, v199
	s_delay_alu instid0(VALU_DEP_3) | instskip(NEXT) | instid1(VALU_DEP_3)
	v_bfe_i32 v198, v198, 0, 8
	v_cvt_f16_i16_e32 v31, v31
	s_delay_alu instid0(VALU_DEP_2) | instskip(NEXT) | instid1(VALU_DEP_2)
	v_cvt_f16_i16_e64 v198, v198
	v_pack_b32_f16 v31, v199, v31
	v_ashrrev_i16 v199, 8, v200
	s_delay_alu instid0(VALU_DEP_2) | instskip(NEXT) | instid1(VALU_DEP_2)
	v_pk_mul_f16 v31, v31, v30
	v_cvt_f16_i16_e64 v199, v199
	s_delay_alu instid0(VALU_DEP_2) | instskip(NEXT) | instid1(VALU_DEP_2)
	v_pk_fma_f16 v29, v31, v24, v29
	v_pack_b32_f16 v198, v199, v198
	s_delay_alu instid0(VALU_DEP_1) | instskip(NEXT) | instid1(VALU_DEP_1)
	v_pk_mul_f16 v30, v198, v30
	v_pk_fma_f16 v24, v30, v24, v202
	v_add_nc_u64_e32 v[30:31], s[12:13], v[110:111]
	v_mul_u32_u24_e32 v202, 0x10001, v203
	s_delay_alu instid0(VALU_DEP_2) | instskip(SKIP_1) | instid1(VALU_DEP_2)
	v_add_nc_u64_e32 v[198:199], v[30:31], v[168:169]
	v_add_nc_u64_e32 v[30:31], v[30:31], v[166:167]
	v_add_nc_u64_e32 v[200:201], v[198:199], v[88:89]
	s_clause 0x2
	global_load_b32 v200, v[200:201], off offset:6
	global_load_b32 v201, v[198:199], off offset:2
	global_load_u16 v198, v[198:199], off
	s_wait_loadcnt 0x1
	v_dual_lshrrev_b32 v203, v189, v201 :: v_dual_lshrrev_b32 v208, v194, v201
	v_ashrrev_i32_e32 v200, v193, v200
	s_wait_loadcnt 0x0
	v_mul_u32_u24_e32 v198, 0x10001, v198
	s_delay_alu instid0(VALU_DEP_3) | instskip(NEXT) | instid1(VALU_DEP_3)
	v_dual_lshlrev_b32 v203, 4, v203 :: v_dual_lshlrev_b32 v208, 12, v208
	v_and_b32_e32 v200, 0xf0f0f0f, v200
	s_delay_alu instid0(VALU_DEP_2) | instskip(NEXT) | instid1(VALU_DEP_3)
	v_and_b32_e32 v203, 16, v203
	v_and_b32_e32 v208, 0x1000, v208
	s_delay_alu instid0(VALU_DEP_1) | instskip(SKIP_1) | instid1(VALU_DEP_1)
	v_or3_b32 v203, v203, v200, v208
	v_dual_lshrrev_b32 v208, v195, v201 :: v_dual_lshrrev_b32 v201, v196, v201
	v_dual_lshlrev_b32 v208, 20, v208 :: v_dual_lshlrev_b32 v201, 28, v201
	s_delay_alu instid0(VALU_DEP_1) | instskip(NEXT) | instid1(VALU_DEP_2)
	v_and_b32_e32 v208, 0x100000, v208
	v_and_b32_e32 v201, 0x10000000, v201
	s_delay_alu instid0(VALU_DEP_1) | instskip(SKIP_1) | instid1(VALU_DEP_1)
	v_or3_b32 v200, v200, v208, v201
	v_lshlrev_b16 v201, 8, v203
	v_add_nc_u16 v201, 0xf000, v201
	s_delay_alu instid0(VALU_DEP_1) | instskip(NEXT) | instid1(VALU_DEP_1)
	v_lshrrev_b16 v201, 8, v201
	v_bitop3_b16 v201, v203, v201, 0x1f00 bitop3:0xec
	s_delay_alu instid0(VALU_DEP_1) | instskip(NEXT) | instid1(VALU_DEP_1)
	v_add_nc_u16 v201, 0xf000, v201
	v_dual_lshrrev_b32 v200, 16, v200 :: v_dual_lshrrev_b32 v199, 8, v201
	s_delay_alu instid0(VALU_DEP_1) | instskip(SKIP_2) | instid1(VALU_DEP_4)
	v_lshlrev_b16 v203, 8, v200
	v_and_b32_e32 v200, 0x1f00, v200
	v_bfe_i32 v201, v201, 0, 8
	v_bfe_i32 v199, v199, 0, 8
	s_delay_alu instid0(VALU_DEP_4) | instskip(NEXT) | instid1(VALU_DEP_4)
	v_add_nc_u16 v203, 0xf000, v203
	v_add_nc_u16 v200, 0xf000, v200
	s_delay_alu instid0(VALU_DEP_4) | instskip(NEXT) | instid1(VALU_DEP_4)
	v_cvt_f16_i16_e64 v201, v201
	v_cvt_f16_i16_e64 v199, v199
	s_delay_alu instid0(VALU_DEP_3) | instskip(NEXT) | instid1(VALU_DEP_2)
	v_lshrrev_b32_e32 v200, 8, v200
	v_pack_b32_f16 v199, v201, v199
	v_ashrrev_i16 v201, 8, v203
	s_delay_alu instid0(VALU_DEP_3) | instskip(NEXT) | instid1(VALU_DEP_3)
	v_bfe_i32 v200, v200, 0, 8
	v_pk_mul_f16 v199, v199, v198
	s_delay_alu instid0(VALU_DEP_3) | instskip(NEXT) | instid1(VALU_DEP_3)
	v_cvt_f16_i16_e64 v201, v201
	v_cvt_f16_i16_e64 v200, v200
	s_delay_alu instid0(VALU_DEP_1) | instskip(NEXT) | instid1(VALU_DEP_1)
	v_pack_b32_f16 v200, v201, v200
	v_pk_mul_f16 v198, v200, v198
	v_pk_fma_f16 v200, v199, v202, v205
	s_delay_alu instid0(VALU_DEP_2)
	v_pk_fma_f16 v201, v198, v202, v206
	v_add_nc_u64_e32 v[198:199], v[30:31], v[112:113]
	s_clause 0x2
	global_load_b32 v198, v[198:199], off offset:6
	global_load_b32 v199, v[30:31], off offset:2
	global_load_u16 v30, v[30:31], off
	s_wait_loadcnt 0x2
	v_ashrrev_i32_e32 v198, v193, v198
	s_wait_loadcnt 0x1
	v_dual_lshrrev_b32 v203, v189, v199 :: v_dual_lshrrev_b32 v205, v194, v199
	s_wait_loadcnt 0x0
	v_mul_u32_u24_e32 v30, 0x10001, v30
	v_and_b32_e32 v198, 0xf0f0f0f, v198
	s_delay_alu instid0(VALU_DEP_3) | instskip(NEXT) | instid1(VALU_DEP_1)
	v_dual_lshlrev_b32 v203, 4, v203 :: v_dual_lshlrev_b32 v205, 12, v205
	v_and_b32_e32 v203, 16, v203
	s_delay_alu instid0(VALU_DEP_2) | instskip(NEXT) | instid1(VALU_DEP_1)
	v_and_b32_e32 v205, 0x1000, v205
	v_or3_b32 v203, v203, v198, v205
	v_dual_lshrrev_b32 v205, v195, v199 :: v_dual_lshrrev_b32 v199, v196, v199
	s_delay_alu instid0(VALU_DEP_1) | instskip(NEXT) | instid1(VALU_DEP_1)
	v_dual_lshlrev_b32 v205, 20, v205 :: v_dual_lshlrev_b32 v199, 28, v199
	v_and_b32_e32 v205, 0x100000, v205
	s_delay_alu instid0(VALU_DEP_2) | instskip(NEXT) | instid1(VALU_DEP_1)
	v_and_b32_e32 v199, 0x10000000, v199
	v_or3_b32 v198, v198, v205, v199
	v_lshlrev_b16 v199, 8, v203
	s_delay_alu instid0(VALU_DEP_2) | instskip(NEXT) | instid1(VALU_DEP_2)
	v_lshrrev_b32_e32 v198, 16, v198
	v_add_nc_u16 v199, 0xf000, v199
	s_delay_alu instid0(VALU_DEP_1) | instskip(NEXT) | instid1(VALU_DEP_1)
	v_lshrrev_b16 v199, 8, v199
	v_bitop3_b16 v199, v203, v199, 0x1f00 bitop3:0xec
	s_delay_alu instid0(VALU_DEP_4) | instskip(SKIP_1) | instid1(VALU_DEP_3)
	v_lshlrev_b16 v203, 8, v198
	v_and_b32_e32 v198, 0x1f00, v198
	v_add_nc_u16 v199, 0xf000, v199
	s_delay_alu instid0(VALU_DEP_3) | instskip(NEXT) | instid1(VALU_DEP_3)
	v_add_nc_u16 v203, 0xf000, v203
	v_add_nc_u16 v198, 0xf000, v198
	s_delay_alu instid0(VALU_DEP_3) | instskip(SKIP_1) | instid1(VALU_DEP_3)
	v_lshrrev_b32_e32 v31, 8, v199
	v_bfe_i32 v199, v199, 0, 8
	v_lshrrev_b32_e32 v198, 8, v198
	s_delay_alu instid0(VALU_DEP_3) | instskip(NEXT) | instid1(VALU_DEP_3)
	v_bfe_i32 v31, v31, 0, 8
	v_cvt_f16_i16_e64 v199, v199
	s_delay_alu instid0(VALU_DEP_3) | instskip(NEXT) | instid1(VALU_DEP_3)
	v_bfe_i32 v198, v198, 0, 8
	v_cvt_f16_i16_e32 v31, v31
	s_delay_alu instid0(VALU_DEP_2) | instskip(NEXT) | instid1(VALU_DEP_2)
	v_cvt_f16_i16_e64 v198, v198
	v_pack_b32_f16 v31, v199, v31
	v_ashrrev_i16 v199, 8, v203
	s_delay_alu instid0(VALU_DEP_2) | instskip(NEXT) | instid1(VALU_DEP_2)
	v_pk_mul_f16 v31, v31, v30
	v_cvt_f16_i16_e64 v199, v199
	s_delay_alu instid0(VALU_DEP_2) | instskip(NEXT) | instid1(VALU_DEP_2)
	v_pk_fma_f16 v29, v31, v202, v29
	v_pack_b32_f16 v198, v199, v198
	s_delay_alu instid0(VALU_DEP_1) | instskip(NEXT) | instid1(VALU_DEP_1)
	v_pk_mul_f16 v30, v198, v30
	v_pk_fma_f16 v202, v30, v202, v24
	v_and_b32_e32 v24, 0xffff, v25
	s_delay_alu instid0(VALU_DEP_1) | instskip(SKIP_1) | instid1(VALU_DEP_1)
	v_mul_u32_u24_e32 v203, 0x10001, v24
	v_add_nc_u64_e32 v[24:25], s[12:13], v[114:115]
	v_add_nc_u64_e32 v[30:31], v[24:25], v[168:169]
	;; [unrolled: 1-line block ×3, first 2 shown]
	s_delay_alu instid0(VALU_DEP_2)
	v_add_nc_u64_e32 v[198:199], v[30:31], v[88:89]
	s_clause 0x2
	global_load_b32 v198, v[198:199], off offset:6
	global_load_b32 v199, v[30:31], off offset:2
	global_load_u16 v30, v[30:31], off
	s_wait_loadcnt 0x1
	v_dual_lshrrev_b32 v205, v189, v199 :: v_dual_lshrrev_b32 v206, v194, v199
	v_ashrrev_i32_e32 v198, v193, v198
	s_wait_loadcnt 0x0
	v_mul_u32_u24_e32 v30, 0x10001, v30
	s_delay_alu instid0(VALU_DEP_3) | instskip(NEXT) | instid1(VALU_DEP_3)
	v_dual_lshlrev_b32 v205, 4, v205 :: v_dual_lshlrev_b32 v206, 12, v206
	v_and_b32_e32 v198, 0xf0f0f0f, v198
	s_delay_alu instid0(VALU_DEP_2) | instskip(NEXT) | instid1(VALU_DEP_3)
	v_and_b32_e32 v205, 16, v205
	v_and_b32_e32 v206, 0x1000, v206
	s_delay_alu instid0(VALU_DEP_1) | instskip(SKIP_1) | instid1(VALU_DEP_1)
	v_or3_b32 v205, v205, v198, v206
	v_dual_lshrrev_b32 v206, v195, v199 :: v_dual_lshrrev_b32 v199, v196, v199
	v_dual_lshlrev_b32 v206, 20, v206 :: v_dual_lshlrev_b32 v199, 28, v199
	s_delay_alu instid0(VALU_DEP_1) | instskip(NEXT) | instid1(VALU_DEP_2)
	v_and_b32_e32 v206, 0x100000, v206
	v_and_b32_e32 v199, 0x10000000, v199
	s_delay_alu instid0(VALU_DEP_1) | instskip(SKIP_1) | instid1(VALU_DEP_1)
	v_or3_b32 v198, v198, v206, v199
	v_lshlrev_b16 v199, 8, v205
	v_add_nc_u16 v199, 0xf000, v199
	s_delay_alu instid0(VALU_DEP_1) | instskip(NEXT) | instid1(VALU_DEP_1)
	v_lshrrev_b16 v199, 8, v199
	v_bitop3_b16 v199, v205, v199, 0x1f00 bitop3:0xec
	s_delay_alu instid0(VALU_DEP_1) | instskip(NEXT) | instid1(VALU_DEP_1)
	v_add_nc_u16 v199, 0xf000, v199
	v_dual_lshrrev_b32 v198, 16, v198 :: v_dual_lshrrev_b32 v31, 8, v199
	s_delay_alu instid0(VALU_DEP_1) | instskip(SKIP_2) | instid1(VALU_DEP_4)
	v_lshlrev_b16 v205, 8, v198
	v_and_b32_e32 v198, 0x1f00, v198
	v_bfe_i32 v199, v199, 0, 8
	v_bfe_i32 v31, v31, 0, 8
	s_delay_alu instid0(VALU_DEP_4) | instskip(NEXT) | instid1(VALU_DEP_4)
	v_add_nc_u16 v205, 0xf000, v205
	v_add_nc_u16 v198, 0xf000, v198
	s_delay_alu instid0(VALU_DEP_4) | instskip(NEXT) | instid1(VALU_DEP_4)
	v_cvt_f16_i16_e64 v199, v199
	v_cvt_f16_i16_e32 v31, v31
	s_delay_alu instid0(VALU_DEP_3) | instskip(NEXT) | instid1(VALU_DEP_2)
	v_lshrrev_b32_e32 v198, 8, v198
	v_pack_b32_f16 v31, v199, v31
	v_ashrrev_i16 v199, 8, v205
	s_delay_alu instid0(VALU_DEP_3) | instskip(NEXT) | instid1(VALU_DEP_3)
	v_bfe_i32 v198, v198, 0, 8
	v_pk_mul_f16 v31, v31, v30
	s_delay_alu instid0(VALU_DEP_3) | instskip(NEXT) | instid1(VALU_DEP_3)
	v_cvt_f16_i16_e64 v199, v199
	v_cvt_f16_i16_e64 v198, v198
	s_delay_alu instid0(VALU_DEP_3) | instskip(NEXT) | instid1(VALU_DEP_2)
	v_pk_fma_f16 v200, v31, v203, v200
	v_pack_b32_f16 v198, v199, v198
	s_delay_alu instid0(VALU_DEP_1) | instskip(NEXT) | instid1(VALU_DEP_1)
	v_pk_mul_f16 v30, v198, v30
	v_pk_fma_f16 v201, v30, v203, v201
	v_add_nc_u64_e32 v[30:31], v[24:25], v[112:113]
	s_clause 0x2
	global_load_b32 v30, v[30:31], off offset:6
	global_load_b32 v31, v[24:25], off offset:2
	global_load_u16 v24, v[24:25], off
	s_wait_loadcnt 0x1
	v_dual_lshrrev_b32 v198, v189, v31 :: v_dual_lshrrev_b32 v199, v194, v31
	v_ashrrev_i32_e32 v30, v193, v30
	s_wait_loadcnt 0x0
	v_mul_u32_u24_e32 v24, 0x10001, v24
	s_delay_alu instid0(VALU_DEP_3) | instskip(NEXT) | instid1(VALU_DEP_3)
	v_dual_lshlrev_b32 v198, 4, v198 :: v_dual_lshlrev_b32 v199, 12, v199
	v_and_b32_e32 v30, 0xf0f0f0f, v30
	s_delay_alu instid0(VALU_DEP_2) | instskip(NEXT) | instid1(VALU_DEP_3)
	v_and_b32_e32 v198, 16, v198
	v_and_b32_e32 v199, 0x1000, v199
	s_delay_alu instid0(VALU_DEP_1) | instskip(SKIP_1) | instid1(VALU_DEP_1)
	v_or3_b32 v198, v198, v30, v199
	v_dual_lshrrev_b32 v199, v195, v31 :: v_dual_lshrrev_b32 v31, v196, v31
	v_lshlrev_b32_e32 v199, 20, v199
	s_delay_alu instid0(VALU_DEP_2) | instskip(NEXT) | instid1(VALU_DEP_2)
	v_lshlrev_b32_e32 v31, 28, v31
	v_and_b32_e32 v199, 0x100000, v199
	s_delay_alu instid0(VALU_DEP_2) | instskip(NEXT) | instid1(VALU_DEP_1)
	v_and_b32_e32 v31, 0x10000000, v31
	v_or3_b32 v30, v30, v199, v31
	v_lshlrev_b16 v31, 8, v198
	s_delay_alu instid0(VALU_DEP_2) | instskip(NEXT) | instid1(VALU_DEP_2)
	v_lshrrev_b32_e32 v30, 16, v30
	v_add_nc_u16 v31, 0xf000, v31
	s_delay_alu instid0(VALU_DEP_1) | instskip(NEXT) | instid1(VALU_DEP_1)
	v_lshrrev_b16 v31, 8, v31
	v_bitop3_b16 v31, v198, v31, 0x1f00 bitop3:0xec
	s_delay_alu instid0(VALU_DEP_4) | instskip(SKIP_1) | instid1(VALU_DEP_3)
	v_lshlrev_b16 v198, 8, v30
	v_and_b32_e32 v30, 0x1f00, v30
	v_add_nc_u16 v31, 0xf000, v31
	s_delay_alu instid0(VALU_DEP_3) | instskip(NEXT) | instid1(VALU_DEP_3)
	v_add_nc_u16 v198, 0xf000, v198
	v_add_nc_u16 v30, 0xf000, v30
	s_delay_alu instid0(VALU_DEP_3) | instskip(SKIP_1) | instid1(VALU_DEP_3)
	v_lshrrev_b32_e32 v25, 8, v31
	v_bfe_i32 v31, v31, 0, 8
	v_lshrrev_b32_e32 v30, 8, v30
	s_delay_alu instid0(VALU_DEP_3) | instskip(NEXT) | instid1(VALU_DEP_3)
	v_bfe_i32 v25, v25, 0, 8
	v_cvt_f16_i16_e32 v31, v31
	s_delay_alu instid0(VALU_DEP_3) | instskip(NEXT) | instid1(VALU_DEP_3)
	v_bfe_i32 v30, v30, 0, 8
	v_cvt_f16_i16_e32 v25, v25
	s_delay_alu instid0(VALU_DEP_2) | instskip(NEXT) | instid1(VALU_DEP_2)
	v_cvt_f16_i16_e32 v30, v30
	v_pack_b32_f16 v25, v31, v25
	v_ashrrev_i16 v31, 8, v198
	s_delay_alu instid0(VALU_DEP_2) | instskip(NEXT) | instid1(VALU_DEP_2)
	v_pk_mul_f16 v25, v25, v24
	v_cvt_f16_i16_e32 v31, v31
	s_delay_alu instid0(VALU_DEP_2) | instskip(NEXT) | instid1(VALU_DEP_2)
	v_pk_fma_f16 v29, v25, v203, v29
	v_pack_b32_f16 v30, v31, v30
	s_delay_alu instid0(VALU_DEP_1) | instskip(NEXT) | instid1(VALU_DEP_1)
	v_pk_mul_f16 v24, v30, v24
	v_pk_fma_f16 v202, v24, v203, v202
	v_add_nc_u64_e32 v[24:25], s[12:13], v[116:117]
	v_mul_u32_u24_e32 v203, 0x10001, v204
	s_delay_alu instid0(VALU_DEP_2) | instskip(SKIP_1) | instid1(VALU_DEP_2)
	v_add_nc_u64_e32 v[30:31], v[24:25], v[168:169]
	v_add_nc_u64_e32 v[24:25], v[24:25], v[166:167]
	;; [unrolled: 1-line block ×3, first 2 shown]
	s_clause 0x2
	global_load_b32 v198, v[198:199], off offset:6
	global_load_b32 v199, v[30:31], off offset:2
	global_load_u16 v30, v[30:31], off
	s_wait_loadcnt 0x1
	v_dual_lshrrev_b32 v204, v189, v199 :: v_dual_lshrrev_b32 v205, v194, v199
	v_ashrrev_i32_e32 v198, v193, v198
	s_wait_loadcnt 0x0
	v_mul_u32_u24_e32 v30, 0x10001, v30
	s_delay_alu instid0(VALU_DEP_3) | instskip(NEXT) | instid1(VALU_DEP_3)
	v_dual_lshlrev_b32 v204, 4, v204 :: v_dual_lshlrev_b32 v205, 12, v205
	v_and_b32_e32 v198, 0xf0f0f0f, v198
	s_delay_alu instid0(VALU_DEP_2) | instskip(NEXT) | instid1(VALU_DEP_3)
	v_and_b32_e32 v204, 16, v204
	v_and_b32_e32 v205, 0x1000, v205
	s_delay_alu instid0(VALU_DEP_1) | instskip(SKIP_1) | instid1(VALU_DEP_1)
	v_or3_b32 v204, v204, v198, v205
	v_dual_lshrrev_b32 v205, v195, v199 :: v_dual_lshrrev_b32 v199, v196, v199
	v_dual_lshlrev_b32 v205, 20, v205 :: v_dual_lshlrev_b32 v199, 28, v199
	s_delay_alu instid0(VALU_DEP_1) | instskip(NEXT) | instid1(VALU_DEP_2)
	v_and_b32_e32 v205, 0x100000, v205
	v_and_b32_e32 v199, 0x10000000, v199
	s_delay_alu instid0(VALU_DEP_1) | instskip(SKIP_1) | instid1(VALU_DEP_1)
	v_or3_b32 v198, v198, v205, v199
	v_lshlrev_b16 v199, 8, v204
	v_add_nc_u16 v199, 0xf000, v199
	s_delay_alu instid0(VALU_DEP_1) | instskip(NEXT) | instid1(VALU_DEP_1)
	v_lshrrev_b16 v199, 8, v199
	v_bitop3_b16 v199, v204, v199, 0x1f00 bitop3:0xec
	s_delay_alu instid0(VALU_DEP_1) | instskip(NEXT) | instid1(VALU_DEP_1)
	v_add_nc_u16 v199, 0xf000, v199
	v_dual_lshrrev_b32 v198, 16, v198 :: v_dual_lshrrev_b32 v31, 8, v199
	s_delay_alu instid0(VALU_DEP_1) | instskip(SKIP_2) | instid1(VALU_DEP_4)
	v_lshlrev_b16 v204, 8, v198
	v_and_b32_e32 v198, 0x1f00, v198
	v_bfe_i32 v199, v199, 0, 8
	v_bfe_i32 v31, v31, 0, 8
	s_delay_alu instid0(VALU_DEP_4) | instskip(NEXT) | instid1(VALU_DEP_4)
	v_add_nc_u16 v204, 0xf000, v204
	v_add_nc_u16 v198, 0xf000, v198
	s_delay_alu instid0(VALU_DEP_4) | instskip(NEXT) | instid1(VALU_DEP_4)
	v_cvt_f16_i16_e64 v199, v199
	v_cvt_f16_i16_e32 v31, v31
	s_delay_alu instid0(VALU_DEP_3) | instskip(NEXT) | instid1(VALU_DEP_2)
	v_lshrrev_b32_e32 v198, 8, v198
	v_pack_b32_f16 v31, v199, v31
	v_ashrrev_i16 v199, 8, v204
	s_delay_alu instid0(VALU_DEP_3) | instskip(NEXT) | instid1(VALU_DEP_3)
	v_bfe_i32 v198, v198, 0, 8
	v_pk_mul_f16 v31, v31, v30
	s_delay_alu instid0(VALU_DEP_3) | instskip(NEXT) | instid1(VALU_DEP_3)
	v_cvt_f16_i16_e64 v199, v199
	v_cvt_f16_i16_e64 v198, v198
	s_delay_alu instid0(VALU_DEP_3) | instskip(NEXT) | instid1(VALU_DEP_2)
	v_pk_fma_f16 v200, v31, v203, v200
	v_pack_b32_f16 v198, v199, v198
	s_delay_alu instid0(VALU_DEP_1) | instskip(NEXT) | instid1(VALU_DEP_1)
	v_pk_mul_f16 v30, v198, v30
	v_pk_fma_f16 v201, v30, v203, v201
	v_add_nc_u64_e32 v[30:31], v[24:25], v[112:113]
	s_clause 0x2
	global_load_b32 v30, v[30:31], off offset:6
	global_load_b32 v31, v[24:25], off offset:2
	global_load_u16 v24, v[24:25], off
	s_wait_loadcnt 0x1
	v_dual_lshrrev_b32 v198, v189, v31 :: v_dual_lshrrev_b32 v199, v194, v31
	v_ashrrev_i32_e32 v30, v193, v30
	s_wait_loadcnt 0x0
	v_mul_u32_u24_e32 v24, 0x10001, v24
	s_delay_alu instid0(VALU_DEP_3) | instskip(NEXT) | instid1(VALU_DEP_3)
	v_dual_lshlrev_b32 v198, 4, v198 :: v_dual_lshlrev_b32 v199, 12, v199
	v_and_b32_e32 v30, 0xf0f0f0f, v30
	s_delay_alu instid0(VALU_DEP_2) | instskip(NEXT) | instid1(VALU_DEP_3)
	v_and_b32_e32 v198, 16, v198
	v_and_b32_e32 v199, 0x1000, v199
	s_delay_alu instid0(VALU_DEP_1) | instskip(SKIP_1) | instid1(VALU_DEP_1)
	v_or3_b32 v198, v198, v30, v199
	v_dual_lshrrev_b32 v199, v195, v31 :: v_dual_lshrrev_b32 v31, v196, v31
	v_lshlrev_b32_e32 v199, 20, v199
	s_delay_alu instid0(VALU_DEP_2) | instskip(NEXT) | instid1(VALU_DEP_2)
	v_lshlrev_b32_e32 v31, 28, v31
	v_and_b32_e32 v199, 0x100000, v199
	s_delay_alu instid0(VALU_DEP_2) | instskip(NEXT) | instid1(VALU_DEP_1)
	v_and_b32_e32 v31, 0x10000000, v31
	v_or3_b32 v30, v30, v199, v31
	v_lshlrev_b16 v31, 8, v198
	s_delay_alu instid0(VALU_DEP_2) | instskip(NEXT) | instid1(VALU_DEP_2)
	v_lshrrev_b32_e32 v30, 16, v30
	v_add_nc_u16 v31, 0xf000, v31
	s_delay_alu instid0(VALU_DEP_1) | instskip(NEXT) | instid1(VALU_DEP_1)
	v_lshrrev_b16 v31, 8, v31
	v_bitop3_b16 v31, v198, v31, 0x1f00 bitop3:0xec
	s_delay_alu instid0(VALU_DEP_4) | instskip(SKIP_1) | instid1(VALU_DEP_3)
	v_lshlrev_b16 v198, 8, v30
	v_and_b32_e32 v30, 0x1f00, v30
	v_add_nc_u16 v31, 0xf000, v31
	s_delay_alu instid0(VALU_DEP_3) | instskip(NEXT) | instid1(VALU_DEP_3)
	v_add_nc_u16 v198, 0xf000, v198
	v_add_nc_u16 v30, 0xf000, v30
	s_delay_alu instid0(VALU_DEP_3) | instskip(SKIP_1) | instid1(VALU_DEP_3)
	v_lshrrev_b32_e32 v25, 8, v31
	v_bfe_i32 v31, v31, 0, 8
	v_lshrrev_b32_e32 v30, 8, v30
	s_delay_alu instid0(VALU_DEP_3) | instskip(NEXT) | instid1(VALU_DEP_3)
	v_bfe_i32 v25, v25, 0, 8
	v_cvt_f16_i16_e32 v31, v31
	s_delay_alu instid0(VALU_DEP_3) | instskip(NEXT) | instid1(VALU_DEP_3)
	v_bfe_i32 v30, v30, 0, 8
	v_cvt_f16_i16_e32 v25, v25
	s_delay_alu instid0(VALU_DEP_2) | instskip(NEXT) | instid1(VALU_DEP_2)
	v_cvt_f16_i16_e32 v30, v30
	v_pack_b32_f16 v25, v31, v25
	v_ashrrev_i16 v31, 8, v198
	s_delay_alu instid0(VALU_DEP_2) | instskip(NEXT) | instid1(VALU_DEP_2)
	v_pk_mul_f16 v25, v25, v24
	v_cvt_f16_i16_e32 v31, v31
	s_delay_alu instid0(VALU_DEP_2) | instskip(NEXT) | instid1(VALU_DEP_2)
	v_pk_fma_f16 v29, v25, v203, v29
	v_pack_b32_f16 v30, v31, v30
	s_delay_alu instid0(VALU_DEP_1) | instskip(NEXT) | instid1(VALU_DEP_1)
	v_pk_mul_f16 v24, v30, v24
	v_pk_fma_f16 v202, v24, v203, v202
	v_and_b32_e32 v24, 0xffff, v26
	s_delay_alu instid0(VALU_DEP_1) | instskip(SKIP_1) | instid1(VALU_DEP_1)
	v_mul_u32_u24_e32 v26, 0x10001, v24
	v_add_nc_u64_e32 v[24:25], s[12:13], v[118:119]
	v_add_nc_u64_e32 v[30:31], v[24:25], v[168:169]
	;; [unrolled: 1-line block ×3, first 2 shown]
	s_delay_alu instid0(VALU_DEP_2)
	v_add_nc_u64_e32 v[198:199], v[30:31], v[88:89]
	s_clause 0x2
	global_load_b32 v198, v[198:199], off offset:6
	global_load_b32 v199, v[30:31], off offset:2
	global_load_u16 v30, v[30:31], off
	s_wait_loadcnt 0x1
	v_dual_lshrrev_b32 v203, v189, v199 :: v_dual_lshrrev_b32 v204, v194, v199
	v_ashrrev_i32_e32 v198, v193, v198
	s_wait_loadcnt 0x0
	v_mul_u32_u24_e32 v30, 0x10001, v30
	s_delay_alu instid0(VALU_DEP_3) | instskip(NEXT) | instid1(VALU_DEP_3)
	v_dual_lshlrev_b32 v203, 4, v203 :: v_dual_lshlrev_b32 v204, 12, v204
	v_and_b32_e32 v198, 0xf0f0f0f, v198
	s_delay_alu instid0(VALU_DEP_2) | instskip(NEXT) | instid1(VALU_DEP_3)
	v_and_b32_e32 v203, 16, v203
	v_and_b32_e32 v204, 0x1000, v204
	s_delay_alu instid0(VALU_DEP_1) | instskip(SKIP_1) | instid1(VALU_DEP_1)
	v_or3_b32 v203, v203, v198, v204
	v_dual_lshrrev_b32 v204, v195, v199 :: v_dual_lshrrev_b32 v199, v196, v199
	v_dual_lshlrev_b32 v204, 20, v204 :: v_dual_lshlrev_b32 v199, 28, v199
	s_delay_alu instid0(VALU_DEP_1) | instskip(NEXT) | instid1(VALU_DEP_2)
	v_and_b32_e32 v204, 0x100000, v204
	v_and_b32_e32 v199, 0x10000000, v199
	s_delay_alu instid0(VALU_DEP_1) | instskip(SKIP_1) | instid1(VALU_DEP_1)
	v_or3_b32 v198, v198, v204, v199
	v_lshlrev_b16 v199, 8, v203
	v_add_nc_u16 v199, 0xf000, v199
	s_delay_alu instid0(VALU_DEP_1) | instskip(NEXT) | instid1(VALU_DEP_1)
	v_lshrrev_b16 v199, 8, v199
	v_bitop3_b16 v199, v203, v199, 0x1f00 bitop3:0xec
	s_delay_alu instid0(VALU_DEP_1) | instskip(NEXT) | instid1(VALU_DEP_1)
	v_add_nc_u16 v199, 0xf000, v199
	v_dual_lshrrev_b32 v198, 16, v198 :: v_dual_lshrrev_b32 v31, 8, v199
	s_delay_alu instid0(VALU_DEP_1) | instskip(SKIP_2) | instid1(VALU_DEP_4)
	v_lshlrev_b16 v203, 8, v198
	v_and_b32_e32 v198, 0x1f00, v198
	v_bfe_i32 v199, v199, 0, 8
	v_bfe_i32 v31, v31, 0, 8
	s_delay_alu instid0(VALU_DEP_4) | instskip(NEXT) | instid1(VALU_DEP_4)
	v_add_nc_u16 v203, 0xf000, v203
	v_add_nc_u16 v198, 0xf000, v198
	s_delay_alu instid0(VALU_DEP_4) | instskip(NEXT) | instid1(VALU_DEP_4)
	v_cvt_f16_i16_e64 v199, v199
	v_cvt_f16_i16_e32 v31, v31
	s_delay_alu instid0(VALU_DEP_3) | instskip(NEXT) | instid1(VALU_DEP_2)
	v_lshrrev_b32_e32 v198, 8, v198
	v_pack_b32_f16 v31, v199, v31
	v_ashrrev_i16 v199, 8, v203
	s_delay_alu instid0(VALU_DEP_3) | instskip(NEXT) | instid1(VALU_DEP_3)
	v_bfe_i32 v198, v198, 0, 8
	v_pk_mul_f16 v31, v31, v30
	s_delay_alu instid0(VALU_DEP_3) | instskip(NEXT) | instid1(VALU_DEP_3)
	v_cvt_f16_i16_e64 v199, v199
	v_cvt_f16_i16_e64 v198, v198
	s_delay_alu instid0(VALU_DEP_3) | instskip(NEXT) | instid1(VALU_DEP_2)
	v_pk_fma_f16 v200, v31, v26, v200
	v_pack_b32_f16 v198, v199, v198
	s_delay_alu instid0(VALU_DEP_1) | instskip(NEXT) | instid1(VALU_DEP_1)
	v_pk_mul_f16 v30, v198, v30
	v_pk_fma_f16 v201, v30, v26, v201
	v_add_nc_u64_e32 v[30:31], v[24:25], v[112:113]
	s_clause 0x2
	global_load_b32 v30, v[30:31], off offset:6
	global_load_b32 v31, v[24:25], off offset:2
	global_load_u16 v24, v[24:25], off
	s_wait_loadcnt 0x1
	v_dual_lshrrev_b32 v198, v189, v31 :: v_dual_lshrrev_b32 v199, v194, v31
	v_ashrrev_i32_e32 v30, v193, v30
	s_wait_loadcnt 0x0
	v_mul_u32_u24_e32 v24, 0x10001, v24
	s_delay_alu instid0(VALU_DEP_3) | instskip(NEXT) | instid1(VALU_DEP_3)
	v_dual_lshlrev_b32 v198, 4, v198 :: v_dual_lshlrev_b32 v199, 12, v199
	v_and_b32_e32 v30, 0xf0f0f0f, v30
	s_delay_alu instid0(VALU_DEP_2) | instskip(NEXT) | instid1(VALU_DEP_3)
	v_and_b32_e32 v198, 16, v198
	v_and_b32_e32 v199, 0x1000, v199
	s_delay_alu instid0(VALU_DEP_1) | instskip(SKIP_1) | instid1(VALU_DEP_1)
	v_or3_b32 v198, v198, v30, v199
	v_dual_lshrrev_b32 v199, v195, v31 :: v_dual_lshrrev_b32 v31, v196, v31
	v_lshlrev_b32_e32 v199, 20, v199
	s_delay_alu instid0(VALU_DEP_2) | instskip(NEXT) | instid1(VALU_DEP_2)
	v_lshlrev_b32_e32 v31, 28, v31
	v_and_b32_e32 v199, 0x100000, v199
	s_delay_alu instid0(VALU_DEP_2) | instskip(NEXT) | instid1(VALU_DEP_1)
	v_and_b32_e32 v31, 0x10000000, v31
	v_or3_b32 v30, v30, v199, v31
	v_lshlrev_b16 v31, 8, v198
	s_delay_alu instid0(VALU_DEP_2) | instskip(NEXT) | instid1(VALU_DEP_2)
	v_lshrrev_b32_e32 v30, 16, v30
	v_add_nc_u16 v31, 0xf000, v31
	s_delay_alu instid0(VALU_DEP_1) | instskip(NEXT) | instid1(VALU_DEP_1)
	v_lshrrev_b16 v31, 8, v31
	v_bitop3_b16 v31, v198, v31, 0x1f00 bitop3:0xec
	s_delay_alu instid0(VALU_DEP_4) | instskip(SKIP_1) | instid1(VALU_DEP_3)
	v_lshlrev_b16 v198, 8, v30
	v_and_b32_e32 v30, 0x1f00, v30
	v_add_nc_u16 v31, 0xf000, v31
	s_delay_alu instid0(VALU_DEP_3) | instskip(NEXT) | instid1(VALU_DEP_3)
	v_add_nc_u16 v198, 0xf000, v198
	v_add_nc_u16 v30, 0xf000, v30
	s_delay_alu instid0(VALU_DEP_3) | instskip(SKIP_1) | instid1(VALU_DEP_3)
	v_lshrrev_b32_e32 v25, 8, v31
	v_bfe_i32 v31, v31, 0, 8
	v_lshrrev_b32_e32 v30, 8, v30
	s_delay_alu instid0(VALU_DEP_3) | instskip(NEXT) | instid1(VALU_DEP_3)
	v_bfe_i32 v25, v25, 0, 8
	v_cvt_f16_i16_e32 v31, v31
	s_delay_alu instid0(VALU_DEP_3) | instskip(NEXT) | instid1(VALU_DEP_3)
	v_bfe_i32 v30, v30, 0, 8
	v_cvt_f16_i16_e32 v25, v25
	s_delay_alu instid0(VALU_DEP_2) | instskip(NEXT) | instid1(VALU_DEP_2)
	v_cvt_f16_i16_e32 v30, v30
	v_pack_b32_f16 v25, v31, v25
	v_ashrrev_i16 v31, 8, v198
	s_delay_alu instid0(VALU_DEP_2) | instskip(NEXT) | instid1(VALU_DEP_2)
	v_pk_mul_f16 v25, v25, v24
	v_cvt_f16_i16_e32 v31, v31
	s_delay_alu instid0(VALU_DEP_2) | instskip(NEXT) | instid1(VALU_DEP_2)
	v_pk_fma_f16 v29, v25, v26, v29
	v_pack_b32_f16 v30, v31, v30
	s_delay_alu instid0(VALU_DEP_1) | instskip(NEXT) | instid1(VALU_DEP_1)
	v_pk_mul_f16 v24, v30, v24
	v_pk_fma_f16 v26, v24, v26, v202
	v_add_nc_u64_e32 v[24:25], s[12:13], v[120:121]
	v_mul_u32_u24_e32 v202, 0x10001, v207
	s_delay_alu instid0(VALU_DEP_2) | instskip(SKIP_1) | instid1(VALU_DEP_2)
	v_add_nc_u64_e32 v[30:31], v[24:25], v[168:169]
	v_add_nc_u64_e32 v[24:25], v[24:25], v[166:167]
	v_add_nc_u64_e32 v[198:199], v[30:31], v[88:89]
	s_clause 0x2
	global_load_b32 v198, v[198:199], off offset:6
	global_load_b32 v199, v[30:31], off offset:2
	global_load_u16 v30, v[30:31], off
	s_wait_loadcnt 0x1
	v_dual_lshrrev_b32 v203, v189, v199 :: v_dual_lshrrev_b32 v204, v194, v199
	v_ashrrev_i32_e32 v198, v193, v198
	s_wait_loadcnt 0x0
	v_mul_u32_u24_e32 v30, 0x10001, v30
	s_delay_alu instid0(VALU_DEP_3) | instskip(NEXT) | instid1(VALU_DEP_3)
	v_dual_lshlrev_b32 v203, 4, v203 :: v_dual_lshlrev_b32 v204, 12, v204
	v_and_b32_e32 v198, 0xf0f0f0f, v198
	s_delay_alu instid0(VALU_DEP_2) | instskip(NEXT) | instid1(VALU_DEP_3)
	v_and_b32_e32 v203, 16, v203
	v_and_b32_e32 v204, 0x1000, v204
	s_delay_alu instid0(VALU_DEP_1) | instskip(SKIP_1) | instid1(VALU_DEP_1)
	v_or3_b32 v203, v203, v198, v204
	v_dual_lshrrev_b32 v204, v195, v199 :: v_dual_lshrrev_b32 v199, v196, v199
	v_dual_lshlrev_b32 v204, 20, v204 :: v_dual_lshlrev_b32 v199, 28, v199
	s_delay_alu instid0(VALU_DEP_1) | instskip(NEXT) | instid1(VALU_DEP_2)
	v_and_b32_e32 v204, 0x100000, v204
	v_and_b32_e32 v199, 0x10000000, v199
	s_delay_alu instid0(VALU_DEP_1) | instskip(SKIP_1) | instid1(VALU_DEP_1)
	v_or3_b32 v198, v198, v204, v199
	v_lshlrev_b16 v199, 8, v203
	v_add_nc_u16 v199, 0xf000, v199
	s_delay_alu instid0(VALU_DEP_1) | instskip(NEXT) | instid1(VALU_DEP_1)
	v_lshrrev_b16 v199, 8, v199
	v_bitop3_b16 v199, v203, v199, 0x1f00 bitop3:0xec
	s_delay_alu instid0(VALU_DEP_1) | instskip(NEXT) | instid1(VALU_DEP_1)
	v_add_nc_u16 v199, 0xf000, v199
	v_dual_lshrrev_b32 v198, 16, v198 :: v_dual_lshrrev_b32 v31, 8, v199
	s_delay_alu instid0(VALU_DEP_1) | instskip(SKIP_2) | instid1(VALU_DEP_4)
	v_lshlrev_b16 v203, 8, v198
	v_and_b32_e32 v198, 0x1f00, v198
	v_bfe_i32 v199, v199, 0, 8
	v_bfe_i32 v31, v31, 0, 8
	s_delay_alu instid0(VALU_DEP_4) | instskip(NEXT) | instid1(VALU_DEP_4)
	v_add_nc_u16 v203, 0xf000, v203
	v_add_nc_u16 v198, 0xf000, v198
	s_delay_alu instid0(VALU_DEP_4) | instskip(NEXT) | instid1(VALU_DEP_4)
	v_cvt_f16_i16_e64 v199, v199
	v_cvt_f16_i16_e32 v31, v31
	s_delay_alu instid0(VALU_DEP_3) | instskip(NEXT) | instid1(VALU_DEP_2)
	v_lshrrev_b32_e32 v198, 8, v198
	v_pack_b32_f16 v31, v199, v31
	v_ashrrev_i16 v199, 8, v203
	s_delay_alu instid0(VALU_DEP_3) | instskip(NEXT) | instid1(VALU_DEP_3)
	v_bfe_i32 v198, v198, 0, 8
	v_pk_mul_f16 v31, v31, v30
	s_delay_alu instid0(VALU_DEP_3) | instskip(NEXT) | instid1(VALU_DEP_3)
	v_cvt_f16_i16_e64 v199, v199
	v_cvt_f16_i16_e64 v198, v198
	s_delay_alu instid0(VALU_DEP_1) | instskip(NEXT) | instid1(VALU_DEP_1)
	v_pack_b32_f16 v198, v199, v198
	v_pk_mul_f16 v30, v198, v30
	v_pk_fma_f16 v198, v31, v202, v200
	s_delay_alu instid0(VALU_DEP_2)
	v_pk_fma_f16 v199, v30, v202, v201
	v_add_nc_u64_e32 v[30:31], v[24:25], v[112:113]
	s_clause 0x2
	global_load_b32 v30, v[30:31], off offset:6
	global_load_b32 v31, v[24:25], off offset:2
	global_load_u16 v24, v[24:25], off
	s_wait_loadcnt 0x1
	v_lshrrev_b32_e32 v200, v189, v31
	v_dual_ashrrev_i32 v30, v193, v30 :: v_dual_lshrrev_b32 v201, v194, v31
	s_wait_loadcnt 0x0
	v_mul_u32_u24_e32 v24, 0x10001, v24
	s_delay_alu instid0(VALU_DEP_3) | instskip(NEXT) | instid1(VALU_DEP_3)
	v_lshlrev_b32_e32 v200, 4, v200
	v_and_b32_e32 v30, 0xf0f0f0f, v30
	s_delay_alu instid0(VALU_DEP_2) | instskip(NEXT) | instid1(VALU_DEP_1)
	v_dual_lshlrev_b32 v201, 12, v201 :: v_dual_bitop2_b32 v200, 16, v200 bitop3:0x40
	v_and_b32_e32 v201, 0x1000, v201
	s_delay_alu instid0(VALU_DEP_1) | instskip(SKIP_1) | instid1(VALU_DEP_1)
	v_or3_b32 v200, v200, v30, v201
	v_dual_lshrrev_b32 v201, v195, v31 :: v_dual_lshrrev_b32 v31, v196, v31
	v_dual_lshlrev_b32 v31, 28, v31 :: v_dual_lshlrev_b32 v201, 20, v201
	s_delay_alu instid0(VALU_DEP_1) | instskip(NEXT) | instid1(VALU_DEP_2)
	v_and_b32_e32 v31, 0x10000000, v31
	v_and_b32_e32 v201, 0x100000, v201
	s_delay_alu instid0(VALU_DEP_1) | instskip(SKIP_1) | instid1(VALU_DEP_2)
	v_or3_b32 v30, v30, v201, v31
	v_lshlrev_b16 v31, 8, v200
	v_lshrrev_b32_e32 v30, 16, v30
	s_delay_alu instid0(VALU_DEP_2) | instskip(NEXT) | instid1(VALU_DEP_1)
	v_add_nc_u16 v31, 0xf000, v31
	v_lshrrev_b16 v31, 8, v31
	s_delay_alu instid0(VALU_DEP_1) | instskip(NEXT) | instid1(VALU_DEP_4)
	v_bitop3_b16 v31, v200, v31, 0x1f00 bitop3:0xec
	v_lshlrev_b16 v200, 8, v30
	v_and_b32_e32 v30, 0x1f00, v30
	s_delay_alu instid0(VALU_DEP_3) | instskip(NEXT) | instid1(VALU_DEP_3)
	v_add_nc_u16 v31, 0xf000, v31
	v_add_nc_u16 v200, 0xf000, v200
	s_delay_alu instid0(VALU_DEP_3) | instskip(NEXT) | instid1(VALU_DEP_3)
	v_add_nc_u16 v30, 0xf000, v30
	v_lshrrev_b32_e32 v25, 8, v31
	v_bfe_i32 v31, v31, 0, 8
	s_delay_alu instid0(VALU_DEP_3) | instskip(NEXT) | instid1(VALU_DEP_3)
	v_lshrrev_b32_e32 v30, 8, v30
	v_bfe_i32 v25, v25, 0, 8
	s_delay_alu instid0(VALU_DEP_3) | instskip(NEXT) | instid1(VALU_DEP_3)
	v_cvt_f16_i16_e32 v31, v31
	v_bfe_i32 v30, v30, 0, 8
	s_delay_alu instid0(VALU_DEP_3) | instskip(NEXT) | instid1(VALU_DEP_2)
	v_cvt_f16_i16_e32 v25, v25
	v_cvt_f16_i16_e32 v30, v30
	s_delay_alu instid0(VALU_DEP_2) | instskip(SKIP_1) | instid1(VALU_DEP_2)
	v_pack_b32_f16 v25, v31, v25
	v_ashrrev_i16 v31, 8, v200
	v_pk_mul_f16 v25, v25, v24
	s_delay_alu instid0(VALU_DEP_2) | instskip(NEXT) | instid1(VALU_DEP_2)
	v_cvt_f16_i16_e32 v31, v31
	v_pk_fma_f16 v29, v25, v202, v29
	s_delay_alu instid0(VALU_DEP_2) | instskip(NEXT) | instid1(VALU_DEP_1)
	v_pack_b32_f16 v30, v31, v30
	v_pk_mul_f16 v24, v30, v24
	s_delay_alu instid0(VALU_DEP_1) | instskip(SKIP_1) | instid1(VALU_DEP_1)
	v_pk_fma_f16 v200, v24, v202, v26
	v_and_b32_e32 v24, 0xffff, v27
	v_mul_u32_u24_e32 v201, 0x10001, v24
	v_add_nc_u64_e32 v[24:25], s[12:13], v[122:123]
	s_delay_alu instid0(VALU_DEP_1) | instskip(SKIP_1) | instid1(VALU_DEP_2)
	v_add_nc_u64_e32 v[26:27], v[24:25], v[168:169]
	v_add_nc_u64_e32 v[24:25], v[24:25], v[166:167]
	v_add_nc_u64_e32 v[30:31], v[26:27], v[88:89]
	s_clause 0x2
	global_load_b32 v30, v[30:31], off offset:6
	global_load_b32 v31, v[26:27], off offset:2
	global_load_u16 v26, v[26:27], off
	s_wait_loadcnt 0x1
	v_dual_ashrrev_i32 v30, v193, v30 :: v_dual_lshrrev_b32 v203, v194, v31
	v_lshrrev_b32_e32 v202, v189, v31
	s_wait_loadcnt 0x0
	v_mul_u32_u24_e32 v26, 0x10001, v26
	s_delay_alu instid0(VALU_DEP_3) | instskip(NEXT) | instid1(VALU_DEP_3)
	v_and_b32_e32 v30, 0xf0f0f0f, v30
	v_dual_lshlrev_b32 v203, 12, v203 :: v_dual_lshlrev_b32 v202, 4, v202
	s_delay_alu instid0(VALU_DEP_1) | instskip(NEXT) | instid1(VALU_DEP_2)
	v_and_b32_e32 v203, 0x1000, v203
	v_and_b32_e32 v202, 16, v202
	s_delay_alu instid0(VALU_DEP_1) | instskip(SKIP_1) | instid1(VALU_DEP_1)
	v_or3_b32 v202, v202, v30, v203
	v_dual_lshrrev_b32 v203, v195, v31 :: v_dual_lshrrev_b32 v31, v196, v31
	v_lshlrev_b32_e32 v203, 20, v203
	s_delay_alu instid0(VALU_DEP_2) | instskip(NEXT) | instid1(VALU_DEP_2)
	v_lshlrev_b32_e32 v31, 28, v31
	v_and_b32_e32 v203, 0x100000, v203
	s_delay_alu instid0(VALU_DEP_2) | instskip(NEXT) | instid1(VALU_DEP_1)
	v_and_b32_e32 v31, 0x10000000, v31
	v_or3_b32 v30, v30, v203, v31
	v_lshlrev_b16 v31, 8, v202
	s_wait_dscnt 0x1
	v_lshrrev_b32_e32 v203, 16, v22
	s_delay_alu instid0(VALU_DEP_3) | instskip(NEXT) | instid1(VALU_DEP_3)
	v_lshrrev_b32_e32 v30, 16, v30
	v_add_nc_u16 v31, 0xf000, v31
	s_delay_alu instid0(VALU_DEP_1) | instskip(NEXT) | instid1(VALU_DEP_1)
	v_lshrrev_b16 v31, 8, v31
	v_bitop3_b16 v31, v202, v31, 0x1f00 bitop3:0xec
	s_delay_alu instid0(VALU_DEP_4) | instskip(SKIP_1) | instid1(VALU_DEP_3)
	v_lshlrev_b16 v202, 8, v30
	v_and_b32_e32 v30, 0x1f00, v30
	v_add_nc_u16 v31, 0xf000, v31
	s_delay_alu instid0(VALU_DEP_3) | instskip(NEXT) | instid1(VALU_DEP_3)
	v_add_nc_u16 v202, 0xf000, v202
	v_add_nc_u16 v30, 0xf000, v30
	s_delay_alu instid0(VALU_DEP_3) | instskip(SKIP_1) | instid1(VALU_DEP_3)
	v_lshrrev_b32_e32 v27, 8, v31
	v_bfe_i32 v31, v31, 0, 8
	v_lshrrev_b32_e32 v30, 8, v30
	s_delay_alu instid0(VALU_DEP_3) | instskip(NEXT) | instid1(VALU_DEP_3)
	v_bfe_i32 v27, v27, 0, 8
	v_cvt_f16_i16_e32 v31, v31
	s_delay_alu instid0(VALU_DEP_3) | instskip(NEXT) | instid1(VALU_DEP_3)
	v_bfe_i32 v30, v30, 0, 8
	v_cvt_f16_i16_e32 v27, v27
	s_delay_alu instid0(VALU_DEP_2) | instskip(NEXT) | instid1(VALU_DEP_2)
	v_cvt_f16_i16_e32 v30, v30
	v_pack_b32_f16 v27, v31, v27
	v_ashrrev_i16 v31, 8, v202
	s_delay_alu instid0(VALU_DEP_2) | instskip(NEXT) | instid1(VALU_DEP_2)
	v_pk_mul_f16 v27, v27, v26
	v_cvt_f16_i16_e32 v31, v31
	s_delay_alu instid0(VALU_DEP_1) | instskip(NEXT) | instid1(VALU_DEP_1)
	v_pack_b32_f16 v30, v31, v30
	v_pk_mul_f16 v26, v30, v26
	s_delay_alu instid0(VALU_DEP_4) | instskip(NEXT) | instid1(VALU_DEP_2)
	v_pk_fma_f16 v30, v27, v201, v198
	v_pk_fma_f16 v31, v26, v201, v199
	v_add_nc_u64_e32 v[26:27], v[24:25], v[112:113]
	s_clause 0x2
	global_load_b32 v26, v[26:27], off offset:6
	global_load_b32 v27, v[24:25], off offset:2
	global_load_u16 v24, v[24:25], off
	s_wait_loadcnt 0x2
	v_ashrrev_i32_e32 v26, v193, v26
	s_wait_loadcnt 0x1
	v_dual_lshrrev_b32 v198, v189, v27 :: v_dual_lshrrev_b32 v199, v194, v27
	s_wait_loadcnt 0x0
	v_mul_u32_u24_e32 v24, 0x10001, v24
	v_and_b32_e32 v26, 0xf0f0f0f, v26
	s_delay_alu instid0(VALU_DEP_3) | instskip(NEXT) | instid1(VALU_DEP_1)
	v_dual_lshlrev_b32 v198, 4, v198 :: v_dual_lshlrev_b32 v199, 12, v199
	v_and_b32_e32 v198, 16, v198
	s_delay_alu instid0(VALU_DEP_2) | instskip(NEXT) | instid1(VALU_DEP_1)
	v_and_b32_e32 v199, 0x1000, v199
	v_or3_b32 v198, v198, v26, v199
	v_dual_lshrrev_b32 v199, v195, v27 :: v_dual_lshrrev_b32 v27, v196, v27
	s_delay_alu instid0(VALU_DEP_1) | instskip(NEXT) | instid1(VALU_DEP_2)
	v_lshlrev_b32_e32 v199, 20, v199
	v_lshlrev_b32_e32 v27, 28, v27
	s_delay_alu instid0(VALU_DEP_2) | instskip(NEXT) | instid1(VALU_DEP_2)
	v_and_b32_e32 v199, 0x100000, v199
	v_and_b32_e32 v27, 0x10000000, v27
	s_delay_alu instid0(VALU_DEP_1) | instskip(SKIP_1) | instid1(VALU_DEP_2)
	v_or3_b32 v26, v26, v199, v27
	v_lshlrev_b16 v27, 8, v198
	v_lshrrev_b32_e32 v26, 16, v26
	s_delay_alu instid0(VALU_DEP_2) | instskip(NEXT) | instid1(VALU_DEP_1)
	v_add_nc_u16 v27, 0xf000, v27
	v_lshrrev_b16 v27, 8, v27
	s_delay_alu instid0(VALU_DEP_1) | instskip(NEXT) | instid1(VALU_DEP_4)
	v_bitop3_b16 v27, v198, v27, 0x1f00 bitop3:0xec
	v_lshlrev_b16 v198, 8, v26
	v_and_b32_e32 v26, 0x1f00, v26
	s_delay_alu instid0(VALU_DEP_3) | instskip(NEXT) | instid1(VALU_DEP_3)
	v_add_nc_u16 v27, 0xf000, v27
	v_add_nc_u16 v198, 0xf000, v198
	s_delay_alu instid0(VALU_DEP_3) | instskip(NEXT) | instid1(VALU_DEP_3)
	v_add_nc_u16 v26, 0xf000, v26
	v_lshrrev_b32_e32 v25, 8, v27
	v_bfe_i32 v27, v27, 0, 8
	s_delay_alu instid0(VALU_DEP_3) | instskip(NEXT) | instid1(VALU_DEP_3)
	v_lshrrev_b32_e32 v26, 8, v26
	v_bfe_i32 v25, v25, 0, 8
	s_delay_alu instid0(VALU_DEP_3) | instskip(NEXT) | instid1(VALU_DEP_3)
	v_cvt_f16_i16_e32 v27, v27
	v_bfe_i32 v26, v26, 0, 8
	s_delay_alu instid0(VALU_DEP_3) | instskip(NEXT) | instid1(VALU_DEP_2)
	v_cvt_f16_i16_e32 v25, v25
	v_cvt_f16_i16_e32 v26, v26
	s_delay_alu instid0(VALU_DEP_2) | instskip(SKIP_1) | instid1(VALU_DEP_2)
	v_pack_b32_f16 v25, v27, v25
	v_ashrrev_i16 v27, 8, v198
	v_pk_mul_f16 v25, v25, v24
	s_delay_alu instid0(VALU_DEP_2) | instskip(NEXT) | instid1(VALU_DEP_2)
	v_cvt_f16_i16_e32 v27, v27
	v_pk_fma_f16 v198, v25, v201, v29
	s_delay_alu instid0(VALU_DEP_2) | instskip(NEXT) | instid1(VALU_DEP_1)
	v_pack_b32_f16 v26, v27, v26
	v_pk_mul_f16 v24, v26, v24
	s_delay_alu instid0(VALU_DEP_1) | instskip(SKIP_2) | instid1(VALU_DEP_2)
	v_pk_fma_f16 v199, v24, v201, v200
	v_add_nc_u64_e32 v[24:25], s[12:13], v[124:125]
	v_mul_u32_u24_e32 v200, 0x10001, v28
	v_add_nc_u64_e32 v[26:27], v[24:25], v[168:169]
	v_add_nc_u64_e32 v[24:25], v[24:25], v[166:167]
	s_delay_alu instid0(VALU_DEP_2)
	v_add_nc_u64_e32 v[28:29], v[26:27], v[88:89]
	s_clause 0x2
	global_load_b32 v28, v[28:29], off offset:6
	global_load_b32 v29, v[26:27], off offset:2
	global_load_u16 v26, v[26:27], off
	s_wait_loadcnt 0x2
	v_ashrrev_i32_e32 v28, v193, v28
	s_wait_loadcnt 0x1
	v_dual_lshrrev_b32 v201, v189, v29 :: v_dual_lshrrev_b32 v202, v194, v29
	s_wait_loadcnt 0x0
	v_mul_u32_u24_e32 v26, 0x10001, v26
	v_and_b32_e32 v28, 0xf0f0f0f, v28
	s_delay_alu instid0(VALU_DEP_3) | instskip(NEXT) | instid1(VALU_DEP_1)
	v_dual_lshlrev_b32 v201, 4, v201 :: v_dual_lshlrev_b32 v202, 12, v202
	v_and_b32_e32 v201, 16, v201
	s_delay_alu instid0(VALU_DEP_2) | instskip(NEXT) | instid1(VALU_DEP_1)
	v_and_b32_e32 v202, 0x1000, v202
	v_or3_b32 v201, v201, v28, v202
	v_dual_lshrrev_b32 v202, v195, v29 :: v_dual_lshrrev_b32 v29, v196, v29
	s_delay_alu instid0(VALU_DEP_1) | instskip(NEXT) | instid1(VALU_DEP_1)
	v_dual_lshlrev_b32 v29, 28, v29 :: v_dual_lshlrev_b32 v202, 20, v202
	v_and_b32_e32 v29, 0x10000000, v29
	s_delay_alu instid0(VALU_DEP_2) | instskip(NEXT) | instid1(VALU_DEP_1)
	v_and_b32_e32 v202, 0x100000, v202
	v_or3_b32 v28, v28, v202, v29
	v_lshlrev_b16 v29, 8, v201
	s_delay_alu instid0(VALU_DEP_1) | instskip(NEXT) | instid1(VALU_DEP_1)
	v_add_nc_u16 v29, 0xf000, v29
	v_lshrrev_b16 v29, 8, v29
	s_delay_alu instid0(VALU_DEP_1) | instskip(NEXT) | instid1(VALU_DEP_1)
	v_bitop3_b16 v29, v201, v29, 0x1f00 bitop3:0xec
	v_add_nc_u16 v29, 0xf000, v29
	s_delay_alu instid0(VALU_DEP_1) | instskip(NEXT) | instid1(VALU_DEP_1)
	v_dual_lshrrev_b32 v28, 16, v28 :: v_dual_lshrrev_b32 v27, 8, v29
	v_lshlrev_b16 v201, 8, v28
	v_and_b32_e32 v28, 0x1f00, v28
	v_bfe_i32 v29, v29, 0, 8
	s_delay_alu instid0(VALU_DEP_4) | instskip(NEXT) | instid1(VALU_DEP_4)
	v_bfe_i32 v27, v27, 0, 8
	v_add_nc_u16 v201, 0xf000, v201
	s_delay_alu instid0(VALU_DEP_4) | instskip(NEXT) | instid1(VALU_DEP_4)
	v_add_nc_u16 v28, 0xf000, v28
	v_cvt_f16_i16_e32 v29, v29
	s_delay_alu instid0(VALU_DEP_4) | instskip(NEXT) | instid1(VALU_DEP_3)
	v_cvt_f16_i16_e32 v27, v27
	v_lshrrev_b32_e32 v28, 8, v28
	s_delay_alu instid0(VALU_DEP_2) | instskip(SKIP_1) | instid1(VALU_DEP_3)
	v_pack_b32_f16 v27, v29, v27
	v_ashrrev_i16 v29, 8, v201
	v_bfe_i32 v28, v28, 0, 8
	s_delay_alu instid0(VALU_DEP_3) | instskip(NEXT) | instid1(VALU_DEP_3)
	v_pk_mul_f16 v27, v27, v26
	v_cvt_f16_i16_e32 v29, v29
	s_delay_alu instid0(VALU_DEP_3) | instskip(NEXT) | instid1(VALU_DEP_3)
	v_cvt_f16_i16_e32 v28, v28
	v_pk_fma_f16 v201, v27, v200, v30
	s_delay_alu instid0(VALU_DEP_2) | instskip(NEXT) | instid1(VALU_DEP_1)
	v_pack_b32_f16 v28, v29, v28
	v_pk_mul_f16 v26, v28, v26
	s_delay_alu instid0(VALU_DEP_1)
	v_pk_fma_f16 v202, v26, v200, v31
	v_add_nc_u64_e32 v[26:27], v[24:25], v[112:113]
	s_clause 0x2
	global_load_b32 v26, v[26:27], off offset:6
	global_load_b32 v27, v[24:25], off offset:2
	global_load_u16 v24, v[24:25], off
	s_wait_loadcnt 0x2
	v_ashrrev_i32_e32 v26, v193, v26
	s_wait_loadcnt 0x1
	v_dual_lshrrev_b32 v28, v189, v27 :: v_dual_lshrrev_b32 v29, v194, v27
	s_wait_loadcnt 0x0
	v_mul_u32_u24_e32 v24, 0x10001, v24
	v_and_b32_e32 v26, 0xf0f0f0f, v26
	s_delay_alu instid0(VALU_DEP_3) | instskip(NEXT) | instid1(VALU_DEP_1)
	v_dual_lshlrev_b32 v28, 4, v28 :: v_dual_lshlrev_b32 v29, 12, v29
	v_and_b32_e32 v28, 16, v28
	s_delay_alu instid0(VALU_DEP_2) | instskip(NEXT) | instid1(VALU_DEP_1)
	v_and_b32_e32 v29, 0x1000, v29
	v_or3_b32 v28, v28, v26, v29
	v_dual_lshrrev_b32 v29, v195, v27 :: v_dual_lshrrev_b32 v27, v196, v27
	s_delay_alu instid0(VALU_DEP_1) | instskip(NEXT) | instid1(VALU_DEP_1)
	v_dual_lshlrev_b32 v29, 20, v29 :: v_dual_lshlrev_b32 v27, 28, v27
	v_and_b32_e32 v29, 0x100000, v29
	s_delay_alu instid0(VALU_DEP_2) | instskip(NEXT) | instid1(VALU_DEP_1)
	v_and_b32_e32 v27, 0x10000000, v27
	v_or3_b32 v26, v26, v29, v27
	v_lshlrev_b16 v27, 8, v28
	s_delay_alu instid0(VALU_DEP_2) | instskip(NEXT) | instid1(VALU_DEP_2)
	v_lshrrev_b32_e32 v26, 16, v26
	v_add_nc_u16 v27, 0xf000, v27
	s_delay_alu instid0(VALU_DEP_1) | instskip(NEXT) | instid1(VALU_DEP_1)
	v_lshrrev_b16 v27, 8, v27
	v_bitop3_b16 v27, v28, v27, 0x1f00 bitop3:0xec
	s_delay_alu instid0(VALU_DEP_4) | instskip(SKIP_1) | instid1(VALU_DEP_3)
	v_lshlrev_b16 v28, 8, v26
	v_and_b32_e32 v26, 0x1f00, v26
	v_add_nc_u16 v27, 0xf000, v27
	s_delay_alu instid0(VALU_DEP_3) | instskip(NEXT) | instid1(VALU_DEP_3)
	v_add_nc_u16 v28, 0xf000, v28
	v_add_nc_u16 v26, 0xf000, v26
	s_delay_alu instid0(VALU_DEP_3) | instskip(SKIP_1) | instid1(VALU_DEP_3)
	v_lshrrev_b32_e32 v25, 8, v27
	v_bfe_i32 v27, v27, 0, 8
	v_lshrrev_b32_e32 v26, 8, v26
	s_delay_alu instid0(VALU_DEP_3) | instskip(NEXT) | instid1(VALU_DEP_3)
	v_bfe_i32 v25, v25, 0, 8
	v_cvt_f16_i16_e32 v27, v27
	s_delay_alu instid0(VALU_DEP_3) | instskip(NEXT) | instid1(VALU_DEP_3)
	v_bfe_i32 v26, v26, 0, 8
	v_cvt_f16_i16_e32 v25, v25
	s_delay_alu instid0(VALU_DEP_2) | instskip(NEXT) | instid1(VALU_DEP_2)
	v_cvt_f16_i16_e32 v26, v26
	v_pack_b32_f16 v25, v27, v25
	v_ashrrev_i16 v27, 8, v28
	s_delay_alu instid0(VALU_DEP_2) | instskip(NEXT) | instid1(VALU_DEP_2)
	v_pk_mul_f16 v25, v25, v24
	v_cvt_f16_i16_e32 v27, v27
	s_delay_alu instid0(VALU_DEP_2) | instskip(NEXT) | instid1(VALU_DEP_2)
	v_pk_fma_f16 v25, v25, v200, v198
	v_pack_b32_f16 v26, v27, v26
	s_delay_alu instid0(VALU_DEP_1) | instskip(SKIP_1) | instid1(VALU_DEP_2)
	v_pk_mul_f16 v24, v26, v24
	v_add_nc_u64_e32 v[26:27], s[12:13], v[126:127]
	v_pk_fma_f16 v198, v24, v200, v199
	v_dual_lshrrev_b32 v199, 16, v20 :: v_dual_lshrrev_b32 v200, 16, v21
	s_delay_alu instid0(VALU_DEP_3) | instskip(SKIP_3) | instid1(VALU_DEP_3)
	v_add_nc_u64_e32 v[28:29], v[26:27], v[168:169]
	v_and_b32_e32 v20, 0xffff, v20
	v_add_nc_u64_e32 v[26:27], v[26:27], v[166:167]
	v_lshrrev_b32_e32 v24, 16, v23
	v_mul_u32_u24_e32 v20, 0x10001, v20
	v_add_nc_u64_e32 v[30:31], v[28:29], v[88:89]
	s_clause 0x2
	global_load_b32 v30, v[30:31], off offset:6
	global_load_b32 v31, v[28:29], off offset:2
	global_load_u16 v28, v[28:29], off
	s_wait_loadcnt 0x1
	v_dual_lshrrev_b32 v204, v189, v31 :: v_dual_lshrrev_b32 v205, v194, v31
	v_ashrrev_i32_e32 v30, v193, v30
	s_wait_loadcnt 0x0
	v_mul_u32_u24_e32 v28, 0x10001, v28
	s_delay_alu instid0(VALU_DEP_3) | instskip(NEXT) | instid1(VALU_DEP_3)
	v_dual_lshlrev_b32 v204, 4, v204 :: v_dual_lshlrev_b32 v205, 12, v205
	v_and_b32_e32 v30, 0xf0f0f0f, v30
	s_delay_alu instid0(VALU_DEP_2) | instskip(NEXT) | instid1(VALU_DEP_3)
	v_and_b32_e32 v204, 16, v204
	v_and_b32_e32 v205, 0x1000, v205
	s_delay_alu instid0(VALU_DEP_1) | instskip(SKIP_1) | instid1(VALU_DEP_1)
	v_or3_b32 v204, v204, v30, v205
	v_dual_lshrrev_b32 v205, v195, v31 :: v_dual_lshrrev_b32 v31, v196, v31
	v_dual_lshlrev_b32 v205, 20, v205 :: v_dual_lshlrev_b32 v31, 28, v31
	s_delay_alu instid0(VALU_DEP_1) | instskip(NEXT) | instid1(VALU_DEP_2)
	v_and_b32_e32 v205, 0x100000, v205
	v_and_b32_e32 v31, 0x10000000, v31
	s_delay_alu instid0(VALU_DEP_1) | instskip(SKIP_1) | instid1(VALU_DEP_1)
	v_or3_b32 v30, v30, v205, v31
	v_lshlrev_b16 v31, 8, v204
	v_add_nc_u16 v31, 0xf000, v31
	s_delay_alu instid0(VALU_DEP_1) | instskip(NEXT) | instid1(VALU_DEP_1)
	v_lshrrev_b16 v31, 8, v31
	v_bitop3_b16 v31, v204, v31, 0x1f00 bitop3:0xec
	s_delay_alu instid0(VALU_DEP_1) | instskip(NEXT) | instid1(VALU_DEP_1)
	v_add_nc_u16 v31, 0xf000, v31
	v_dual_lshrrev_b32 v30, 16, v30 :: v_dual_lshrrev_b32 v29, 8, v31
	s_delay_alu instid0(VALU_DEP_1) | instskip(SKIP_2) | instid1(VALU_DEP_4)
	v_lshlrev_b16 v204, 8, v30
	v_and_b32_e32 v30, 0x1f00, v30
	v_bfe_i32 v31, v31, 0, 8
	v_bfe_i32 v29, v29, 0, 8
	s_delay_alu instid0(VALU_DEP_4) | instskip(NEXT) | instid1(VALU_DEP_4)
	v_add_nc_u16 v204, 0xf000, v204
	v_add_nc_u16 v30, 0xf000, v30
	s_delay_alu instid0(VALU_DEP_4) | instskip(NEXT) | instid1(VALU_DEP_4)
	v_cvt_f16_i16_e32 v31, v31
	v_cvt_f16_i16_e32 v29, v29
	s_delay_alu instid0(VALU_DEP_3) | instskip(NEXT) | instid1(VALU_DEP_2)
	v_lshrrev_b32_e32 v30, 8, v30
	v_pack_b32_f16 v29, v31, v29
	v_ashrrev_i16 v31, 8, v204
	s_delay_alu instid0(VALU_DEP_3) | instskip(NEXT) | instid1(VALU_DEP_3)
	v_bfe_i32 v30, v30, 0, 8
	v_pk_mul_f16 v29, v29, v28
	s_delay_alu instid0(VALU_DEP_3) | instskip(NEXT) | instid1(VALU_DEP_3)
	v_cvt_f16_i16_e32 v31, v31
	v_cvt_f16_i16_e32 v30, v30
	s_delay_alu instid0(VALU_DEP_3) | instskip(NEXT) | instid1(VALU_DEP_2)
	v_pk_fma_f16 v201, v29, v20, v201
	v_pack_b32_f16 v30, v31, v30
	s_delay_alu instid0(VALU_DEP_1) | instskip(NEXT) | instid1(VALU_DEP_1)
	v_pk_mul_f16 v28, v30, v28
	v_pk_fma_f16 v202, v28, v20, v202
	v_add_nc_u64_e32 v[28:29], v[26:27], v[112:113]
	s_clause 0x2
	global_load_b32 v28, v[28:29], off offset:6
	global_load_b32 v29, v[26:27], off offset:2
	global_load_u16 v26, v[26:27], off
	s_wait_loadcnt 0x2
	v_ashrrev_i32_e32 v28, v193, v28
	s_wait_loadcnt 0x1
	v_dual_lshrrev_b32 v30, v189, v29 :: v_dual_lshrrev_b32 v31, v194, v29
	s_wait_loadcnt 0x0
	v_mul_u32_u24_e32 v26, 0x10001, v26
	v_and_b32_e32 v28, 0xf0f0f0f, v28
	s_delay_alu instid0(VALU_DEP_3) | instskip(NEXT) | instid1(VALU_DEP_1)
	v_dual_lshlrev_b32 v30, 4, v30 :: v_dual_lshlrev_b32 v31, 12, v31
	v_and_b32_e32 v30, 16, v30
	s_delay_alu instid0(VALU_DEP_2) | instskip(NEXT) | instid1(VALU_DEP_1)
	v_and_b32_e32 v31, 0x1000, v31
	v_or3_b32 v30, v30, v28, v31
	v_dual_lshrrev_b32 v31, v195, v29 :: v_dual_lshrrev_b32 v29, v196, v29
	s_delay_alu instid0(VALU_DEP_1) | instskip(NEXT) | instid1(VALU_DEP_1)
	v_dual_lshlrev_b32 v31, 20, v31 :: v_dual_lshlrev_b32 v29, 28, v29
	v_and_b32_e32 v31, 0x100000, v31
	s_delay_alu instid0(VALU_DEP_2) | instskip(NEXT) | instid1(VALU_DEP_1)
	v_and_b32_e32 v29, 0x10000000, v29
	v_or3_b32 v28, v28, v31, v29
	v_lshlrev_b16 v29, 8, v30
	s_delay_alu instid0(VALU_DEP_2) | instskip(NEXT) | instid1(VALU_DEP_2)
	v_lshrrev_b32_e32 v28, 16, v28
	v_add_nc_u16 v29, 0xf000, v29
	s_delay_alu instid0(VALU_DEP_1) | instskip(NEXT) | instid1(VALU_DEP_1)
	v_lshrrev_b16 v29, 8, v29
	v_bitop3_b16 v29, v30, v29, 0x1f00 bitop3:0xec
	s_delay_alu instid0(VALU_DEP_4) | instskip(SKIP_1) | instid1(VALU_DEP_3)
	v_lshlrev_b16 v30, 8, v28
	v_and_b32_e32 v28, 0x1f00, v28
	v_add_nc_u16 v29, 0xf000, v29
	s_delay_alu instid0(VALU_DEP_3) | instskip(NEXT) | instid1(VALU_DEP_3)
	v_add_nc_u16 v30, 0xf000, v30
	v_add_nc_u16 v28, 0xf000, v28
	s_delay_alu instid0(VALU_DEP_3) | instskip(SKIP_1) | instid1(VALU_DEP_3)
	v_lshrrev_b32_e32 v27, 8, v29
	v_bfe_i32 v29, v29, 0, 8
	v_lshrrev_b32_e32 v28, 8, v28
	s_delay_alu instid0(VALU_DEP_3) | instskip(NEXT) | instid1(VALU_DEP_3)
	v_bfe_i32 v27, v27, 0, 8
	v_cvt_f16_i16_e32 v29, v29
	s_delay_alu instid0(VALU_DEP_3) | instskip(NEXT) | instid1(VALU_DEP_3)
	v_bfe_i32 v28, v28, 0, 8
	v_cvt_f16_i16_e32 v27, v27
	s_delay_alu instid0(VALU_DEP_2) | instskip(NEXT) | instid1(VALU_DEP_2)
	v_cvt_f16_i16_e32 v28, v28
	v_pack_b32_f16 v27, v29, v27
	v_ashrrev_i16 v29, 8, v30
	s_delay_alu instid0(VALU_DEP_2) | instskip(NEXT) | instid1(VALU_DEP_2)
	v_pk_mul_f16 v27, v27, v26
	v_cvt_f16_i16_e32 v29, v29
	s_delay_alu instid0(VALU_DEP_2) | instskip(NEXT) | instid1(VALU_DEP_2)
	v_pk_fma_f16 v25, v27, v20, v25
	v_pack_b32_f16 v28, v29, v28
	s_delay_alu instid0(VALU_DEP_1) | instskip(NEXT) | instid1(VALU_DEP_1)
	v_pk_mul_f16 v26, v28, v26
	v_pk_fma_f16 v20, v26, v20, v198
	v_add_nc_u64_e32 v[26:27], s[12:13], v[130:131]
	v_mul_u32_u24_e32 v198, 0x10001, v199
	s_delay_alu instid0(VALU_DEP_2) | instskip(SKIP_1) | instid1(VALU_DEP_2)
	v_add_nc_u64_e32 v[28:29], v[26:27], v[168:169]
	v_add_nc_u64_e32 v[26:27], v[26:27], v[166:167]
	;; [unrolled: 1-line block ×3, first 2 shown]
	s_clause 0x2
	global_load_b32 v30, v[30:31], off offset:6
	global_load_b32 v31, v[28:29], off offset:2
	global_load_u16 v28, v[28:29], off
	s_wait_loadcnt 0x1
	v_dual_lshrrev_b32 v199, v189, v31 :: v_dual_lshrrev_b32 v204, v194, v31
	v_ashrrev_i32_e32 v30, v193, v30
	s_wait_loadcnt 0x0
	v_mul_u32_u24_e32 v28, 0x10001, v28
	s_delay_alu instid0(VALU_DEP_3) | instskip(NEXT) | instid1(VALU_DEP_3)
	v_dual_lshlrev_b32 v199, 4, v199 :: v_dual_lshlrev_b32 v204, 12, v204
	v_and_b32_e32 v30, 0xf0f0f0f, v30
	s_delay_alu instid0(VALU_DEP_2) | instskip(NEXT) | instid1(VALU_DEP_3)
	v_and_b32_e32 v199, 16, v199
	v_and_b32_e32 v204, 0x1000, v204
	s_delay_alu instid0(VALU_DEP_1) | instskip(SKIP_1) | instid1(VALU_DEP_1)
	v_or3_b32 v199, v199, v30, v204
	v_dual_lshrrev_b32 v204, v195, v31 :: v_dual_lshrrev_b32 v31, v196, v31
	v_dual_lshlrev_b32 v204, 20, v204 :: v_dual_lshlrev_b32 v31, 28, v31
	s_delay_alu instid0(VALU_DEP_1) | instskip(NEXT) | instid1(VALU_DEP_2)
	v_and_b32_e32 v204, 0x100000, v204
	v_and_b32_e32 v31, 0x10000000, v31
	s_delay_alu instid0(VALU_DEP_1) | instskip(SKIP_1) | instid1(VALU_DEP_1)
	v_or3_b32 v30, v30, v204, v31
	v_lshlrev_b16 v31, 8, v199
	v_add_nc_u16 v31, 0xf000, v31
	s_delay_alu instid0(VALU_DEP_1) | instskip(NEXT) | instid1(VALU_DEP_1)
	v_lshrrev_b16 v31, 8, v31
	v_bitop3_b16 v31, v199, v31, 0x1f00 bitop3:0xec
	s_delay_alu instid0(VALU_DEP_1) | instskip(NEXT) | instid1(VALU_DEP_1)
	v_add_nc_u16 v31, 0xf000, v31
	v_dual_lshrrev_b32 v30, 16, v30 :: v_dual_lshrrev_b32 v29, 8, v31
	s_delay_alu instid0(VALU_DEP_1) | instskip(SKIP_2) | instid1(VALU_DEP_4)
	v_lshlrev_b16 v199, 8, v30
	v_and_b32_e32 v30, 0x1f00, v30
	v_bfe_i32 v31, v31, 0, 8
	v_bfe_i32 v29, v29, 0, 8
	s_delay_alu instid0(VALU_DEP_4) | instskip(NEXT) | instid1(VALU_DEP_4)
	v_add_nc_u16 v199, 0xf000, v199
	v_add_nc_u16 v30, 0xf000, v30
	s_delay_alu instid0(VALU_DEP_4) | instskip(NEXT) | instid1(VALU_DEP_4)
	v_cvt_f16_i16_e32 v31, v31
	v_cvt_f16_i16_e32 v29, v29
	s_delay_alu instid0(VALU_DEP_3) | instskip(NEXT) | instid1(VALU_DEP_2)
	v_lshrrev_b32_e32 v30, 8, v30
	v_pack_b32_f16 v29, v31, v29
	v_ashrrev_i16 v31, 8, v199
	s_delay_alu instid0(VALU_DEP_3) | instskip(NEXT) | instid1(VALU_DEP_3)
	v_bfe_i32 v30, v30, 0, 8
	v_pk_mul_f16 v29, v29, v28
	s_delay_alu instid0(VALU_DEP_3) | instskip(NEXT) | instid1(VALU_DEP_3)
	v_cvt_f16_i16_e32 v31, v31
	v_cvt_f16_i16_e32 v30, v30
	s_delay_alu instid0(VALU_DEP_1) | instskip(NEXT) | instid1(VALU_DEP_1)
	v_pack_b32_f16 v30, v31, v30
	v_pk_mul_f16 v28, v30, v28
	v_pk_fma_f16 v30, v29, v198, v201
	s_delay_alu instid0(VALU_DEP_2)
	v_pk_fma_f16 v31, v28, v198, v202
	v_add_nc_u64_e32 v[28:29], v[26:27], v[112:113]
	s_clause 0x2
	global_load_b32 v28, v[28:29], off offset:6
	global_load_b32 v29, v[26:27], off offset:2
	global_load_u16 v26, v[26:27], off
	s_wait_loadcnt 0x2
	v_ashrrev_i32_e32 v28, v193, v28
	s_wait_loadcnt 0x1
	v_dual_lshrrev_b32 v199, v189, v29 :: v_dual_lshrrev_b32 v201, v194, v29
	s_wait_loadcnt 0x0
	v_mul_u32_u24_e32 v26, 0x10001, v26
	v_and_b32_e32 v28, 0xf0f0f0f, v28
	s_delay_alu instid0(VALU_DEP_3) | instskip(NEXT) | instid1(VALU_DEP_1)
	v_dual_lshlrev_b32 v199, 4, v199 :: v_dual_lshlrev_b32 v201, 12, v201
	v_and_b32_e32 v199, 16, v199
	s_delay_alu instid0(VALU_DEP_2) | instskip(NEXT) | instid1(VALU_DEP_1)
	v_and_b32_e32 v201, 0x1000, v201
	v_or3_b32 v199, v199, v28, v201
	v_dual_lshrrev_b32 v201, v195, v29 :: v_dual_lshrrev_b32 v29, v196, v29
	s_delay_alu instid0(VALU_DEP_1) | instskip(NEXT) | instid1(VALU_DEP_2)
	v_lshlrev_b32_e32 v201, 20, v201
	v_lshlrev_b32_e32 v29, 28, v29
	s_delay_alu instid0(VALU_DEP_2) | instskip(NEXT) | instid1(VALU_DEP_2)
	v_and_b32_e32 v201, 0x100000, v201
	v_and_b32_e32 v29, 0x10000000, v29
	s_delay_alu instid0(VALU_DEP_1) | instskip(SKIP_1) | instid1(VALU_DEP_2)
	v_or3_b32 v28, v28, v201, v29
	v_lshlrev_b16 v29, 8, v199
	v_lshrrev_b32_e32 v28, 16, v28
	s_delay_alu instid0(VALU_DEP_2) | instskip(NEXT) | instid1(VALU_DEP_1)
	v_add_nc_u16 v29, 0xf000, v29
	v_lshrrev_b16 v29, 8, v29
	s_delay_alu instid0(VALU_DEP_1) | instskip(NEXT) | instid1(VALU_DEP_4)
	v_bitop3_b16 v29, v199, v29, 0x1f00 bitop3:0xec
	v_lshlrev_b16 v199, 8, v28
	v_and_b32_e32 v28, 0x1f00, v28
	s_delay_alu instid0(VALU_DEP_3) | instskip(NEXT) | instid1(VALU_DEP_3)
	v_add_nc_u16 v29, 0xf000, v29
	v_add_nc_u16 v199, 0xf000, v199
	s_delay_alu instid0(VALU_DEP_3) | instskip(NEXT) | instid1(VALU_DEP_3)
	v_add_nc_u16 v28, 0xf000, v28
	v_lshrrev_b32_e32 v27, 8, v29
	v_bfe_i32 v29, v29, 0, 8
	s_delay_alu instid0(VALU_DEP_3) | instskip(NEXT) | instid1(VALU_DEP_3)
	v_lshrrev_b32_e32 v28, 8, v28
	v_bfe_i32 v27, v27, 0, 8
	s_delay_alu instid0(VALU_DEP_3) | instskip(NEXT) | instid1(VALU_DEP_3)
	v_cvt_f16_i16_e32 v29, v29
	v_bfe_i32 v28, v28, 0, 8
	s_delay_alu instid0(VALU_DEP_3) | instskip(NEXT) | instid1(VALU_DEP_2)
	v_cvt_f16_i16_e32 v27, v27
	v_cvt_f16_i16_e32 v28, v28
	s_delay_alu instid0(VALU_DEP_2) | instskip(SKIP_1) | instid1(VALU_DEP_2)
	v_pack_b32_f16 v27, v29, v27
	v_ashrrev_i16 v29, 8, v199
	v_pk_mul_f16 v27, v27, v26
	s_delay_alu instid0(VALU_DEP_2) | instskip(NEXT) | instid1(VALU_DEP_2)
	v_cvt_f16_i16_e32 v29, v29
	v_pk_fma_f16 v25, v27, v198, v25
	s_delay_alu instid0(VALU_DEP_2) | instskip(NEXT) | instid1(VALU_DEP_1)
	v_pack_b32_f16 v28, v29, v28
	v_pk_mul_f16 v26, v28, v26
	s_delay_alu instid0(VALU_DEP_1) | instskip(SKIP_1) | instid1(VALU_DEP_1)
	v_pk_fma_f16 v198, v26, v198, v20
	v_and_b32_e32 v20, 0xffff, v21
	v_mul_u32_u24_e32 v199, 0x10001, v20
	v_add_nc_u64_e32 v[20:21], s[12:13], v[132:133]
	s_delay_alu instid0(VALU_DEP_1) | instskip(SKIP_1) | instid1(VALU_DEP_2)
	v_add_nc_u64_e32 v[26:27], v[20:21], v[168:169]
	v_add_nc_u64_e32 v[20:21], v[20:21], v[166:167]
	;; [unrolled: 1-line block ×3, first 2 shown]
	s_clause 0x2
	global_load_b32 v28, v[28:29], off offset:6
	global_load_b32 v29, v[26:27], off offset:2
	global_load_u16 v26, v[26:27], off
	s_wait_loadcnt 0x2
	v_ashrrev_i32_e32 v28, v193, v28
	s_wait_loadcnt 0x1
	v_dual_lshrrev_b32 v201, v189, v29 :: v_dual_lshrrev_b32 v202, v194, v29
	s_wait_loadcnt 0x0
	v_mul_u32_u24_e32 v26, 0x10001, v26
	v_and_b32_e32 v28, 0xf0f0f0f, v28
	s_delay_alu instid0(VALU_DEP_3) | instskip(NEXT) | instid1(VALU_DEP_1)
	v_dual_lshlrev_b32 v201, 4, v201 :: v_dual_lshlrev_b32 v202, 12, v202
	v_and_b32_e32 v201, 16, v201
	s_delay_alu instid0(VALU_DEP_2) | instskip(NEXT) | instid1(VALU_DEP_1)
	v_and_b32_e32 v202, 0x1000, v202
	v_or3_b32 v201, v201, v28, v202
	v_dual_lshrrev_b32 v202, v195, v29 :: v_dual_lshrrev_b32 v29, v196, v29
	s_delay_alu instid0(VALU_DEP_1) | instskip(NEXT) | instid1(VALU_DEP_1)
	v_dual_lshlrev_b32 v29, 28, v29 :: v_dual_lshlrev_b32 v202, 20, v202
	v_and_b32_e32 v29, 0x10000000, v29
	s_delay_alu instid0(VALU_DEP_2) | instskip(NEXT) | instid1(VALU_DEP_1)
	v_and_b32_e32 v202, 0x100000, v202
	v_or3_b32 v28, v28, v202, v29
	v_lshlrev_b16 v29, 8, v201
	s_delay_alu instid0(VALU_DEP_1) | instskip(NEXT) | instid1(VALU_DEP_1)
	v_add_nc_u16 v29, 0xf000, v29
	v_lshrrev_b16 v29, 8, v29
	s_delay_alu instid0(VALU_DEP_1) | instskip(NEXT) | instid1(VALU_DEP_1)
	v_bitop3_b16 v29, v201, v29, 0x1f00 bitop3:0xec
	v_add_nc_u16 v29, 0xf000, v29
	s_delay_alu instid0(VALU_DEP_1) | instskip(NEXT) | instid1(VALU_DEP_1)
	v_dual_lshrrev_b32 v28, 16, v28 :: v_dual_lshrrev_b32 v27, 8, v29
	v_lshlrev_b16 v201, 8, v28
	v_and_b32_e32 v28, 0x1f00, v28
	v_bfe_i32 v29, v29, 0, 8
	s_delay_alu instid0(VALU_DEP_4) | instskip(NEXT) | instid1(VALU_DEP_4)
	v_bfe_i32 v27, v27, 0, 8
	v_add_nc_u16 v201, 0xf000, v201
	s_delay_alu instid0(VALU_DEP_4) | instskip(NEXT) | instid1(VALU_DEP_4)
	v_add_nc_u16 v28, 0xf000, v28
	v_cvt_f16_i16_e32 v29, v29
	s_delay_alu instid0(VALU_DEP_4) | instskip(NEXT) | instid1(VALU_DEP_3)
	v_cvt_f16_i16_e32 v27, v27
	v_lshrrev_b32_e32 v28, 8, v28
	s_delay_alu instid0(VALU_DEP_2) | instskip(SKIP_1) | instid1(VALU_DEP_3)
	v_pack_b32_f16 v27, v29, v27
	v_ashrrev_i16 v29, 8, v201
	v_bfe_i32 v28, v28, 0, 8
	s_delay_alu instid0(VALU_DEP_3) | instskip(NEXT) | instid1(VALU_DEP_3)
	v_pk_mul_f16 v27, v27, v26
	v_cvt_f16_i16_e32 v29, v29
	s_delay_alu instid0(VALU_DEP_3) | instskip(NEXT) | instid1(VALU_DEP_3)
	v_cvt_f16_i16_e32 v28, v28
	v_pk_fma_f16 v30, v27, v199, v30
	s_delay_alu instid0(VALU_DEP_2) | instskip(NEXT) | instid1(VALU_DEP_1)
	v_pack_b32_f16 v28, v29, v28
	v_pk_mul_f16 v26, v28, v26
	s_delay_alu instid0(VALU_DEP_1)
	v_pk_fma_f16 v31, v26, v199, v31
	v_add_nc_u64_e32 v[26:27], v[20:21], v[112:113]
	s_clause 0x2
	global_load_b32 v26, v[26:27], off offset:6
	global_load_b32 v27, v[20:21], off offset:2
	global_load_u16 v20, v[20:21], off
	s_wait_loadcnt 0x2
	v_ashrrev_i32_e32 v26, v193, v26
	s_wait_loadcnt 0x1
	v_dual_lshrrev_b32 v28, v189, v27 :: v_dual_lshrrev_b32 v29, v194, v27
	s_wait_loadcnt 0x0
	v_mul_u32_u24_e32 v20, 0x10001, v20
	v_and_b32_e32 v26, 0xf0f0f0f, v26
	s_delay_alu instid0(VALU_DEP_3) | instskip(NEXT) | instid1(VALU_DEP_1)
	v_dual_lshlrev_b32 v28, 4, v28 :: v_dual_lshlrev_b32 v29, 12, v29
	v_and_b32_e32 v28, 16, v28
	s_delay_alu instid0(VALU_DEP_2) | instskip(NEXT) | instid1(VALU_DEP_1)
	v_and_b32_e32 v29, 0x1000, v29
	v_or3_b32 v28, v28, v26, v29
	v_dual_lshrrev_b32 v29, v195, v27 :: v_dual_lshrrev_b32 v27, v196, v27
	s_delay_alu instid0(VALU_DEP_1) | instskip(NEXT) | instid1(VALU_DEP_1)
	v_dual_lshlrev_b32 v29, 20, v29 :: v_dual_lshlrev_b32 v27, 28, v27
	v_and_b32_e32 v29, 0x100000, v29
	s_delay_alu instid0(VALU_DEP_2) | instskip(NEXT) | instid1(VALU_DEP_1)
	v_and_b32_e32 v27, 0x10000000, v27
	v_or3_b32 v26, v26, v29, v27
	v_lshlrev_b16 v27, 8, v28
	s_delay_alu instid0(VALU_DEP_2) | instskip(NEXT) | instid1(VALU_DEP_2)
	v_lshrrev_b32_e32 v26, 16, v26
	v_add_nc_u16 v27, 0xf000, v27
	s_delay_alu instid0(VALU_DEP_1) | instskip(NEXT) | instid1(VALU_DEP_1)
	v_lshrrev_b16 v27, 8, v27
	v_bitop3_b16 v27, v28, v27, 0x1f00 bitop3:0xec
	s_delay_alu instid0(VALU_DEP_4) | instskip(SKIP_1) | instid1(VALU_DEP_3)
	v_lshlrev_b16 v28, 8, v26
	v_and_b32_e32 v26, 0x1f00, v26
	v_add_nc_u16 v27, 0xf000, v27
	s_delay_alu instid0(VALU_DEP_3) | instskip(NEXT) | instid1(VALU_DEP_3)
	v_add_nc_u16 v28, 0xf000, v28
	v_add_nc_u16 v26, 0xf000, v26
	s_delay_alu instid0(VALU_DEP_3) | instskip(SKIP_1) | instid1(VALU_DEP_3)
	v_lshrrev_b32_e32 v21, 8, v27
	v_bfe_i32 v27, v27, 0, 8
	v_lshrrev_b32_e32 v26, 8, v26
	s_delay_alu instid0(VALU_DEP_3) | instskip(NEXT) | instid1(VALU_DEP_3)
	v_bfe_i32 v21, v21, 0, 8
	v_cvt_f16_i16_e32 v27, v27
	s_delay_alu instid0(VALU_DEP_3) | instskip(NEXT) | instid1(VALU_DEP_3)
	v_bfe_i32 v26, v26, 0, 8
	v_cvt_f16_i16_e32 v21, v21
	s_delay_alu instid0(VALU_DEP_2) | instskip(NEXT) | instid1(VALU_DEP_2)
	v_cvt_f16_i16_e32 v26, v26
	v_pack_b32_f16 v21, v27, v21
	v_ashrrev_i16 v27, 8, v28
	s_delay_alu instid0(VALU_DEP_2) | instskip(NEXT) | instid1(VALU_DEP_2)
	v_pk_mul_f16 v21, v21, v20
	v_cvt_f16_i16_e32 v27, v27
	s_delay_alu instid0(VALU_DEP_2) | instskip(NEXT) | instid1(VALU_DEP_2)
	v_pk_fma_f16 v25, v21, v199, v25
	v_pack_b32_f16 v26, v27, v26
	s_delay_alu instid0(VALU_DEP_1) | instskip(NEXT) | instid1(VALU_DEP_1)
	v_pk_mul_f16 v20, v26, v20
	v_pk_fma_f16 v198, v20, v199, v198
	v_add_nc_u64_e32 v[20:21], s[12:13], v[134:135]
	v_mul_u32_u24_e32 v199, 0x10001, v200
	s_delay_alu instid0(VALU_DEP_2) | instskip(SKIP_1) | instid1(VALU_DEP_2)
	v_add_nc_u64_e32 v[26:27], v[20:21], v[168:169]
	v_add_nc_u64_e32 v[20:21], v[20:21], v[166:167]
	;; [unrolled: 1-line block ×3, first 2 shown]
	s_clause 0x2
	global_load_b32 v28, v[28:29], off offset:6
	global_load_b32 v29, v[26:27], off offset:2
	global_load_u16 v26, v[26:27], off
	s_wait_loadcnt 0x1
	v_dual_ashrrev_i32 v28, v193, v28 :: v_dual_lshrrev_b32 v201, v194, v29
	v_lshrrev_b32_e32 v200, v189, v29
	s_wait_loadcnt 0x0
	v_mul_u32_u24_e32 v26, 0x10001, v26
	s_delay_alu instid0(VALU_DEP_3) | instskip(NEXT) | instid1(VALU_DEP_3)
	v_and_b32_e32 v28, 0xf0f0f0f, v28
	v_dual_lshlrev_b32 v201, 12, v201 :: v_dual_lshlrev_b32 v200, 4, v200
	s_delay_alu instid0(VALU_DEP_1) | instskip(NEXT) | instid1(VALU_DEP_2)
	v_and_b32_e32 v201, 0x1000, v201
	v_and_b32_e32 v200, 16, v200
	s_delay_alu instid0(VALU_DEP_1) | instskip(SKIP_1) | instid1(VALU_DEP_1)
	v_or3_b32 v200, v200, v28, v201
	v_dual_lshrrev_b32 v201, v195, v29 :: v_dual_lshrrev_b32 v29, v196, v29
	v_lshlrev_b32_e32 v201, 20, v201
	s_delay_alu instid0(VALU_DEP_2) | instskip(NEXT) | instid1(VALU_DEP_2)
	v_lshlrev_b32_e32 v29, 28, v29
	v_and_b32_e32 v201, 0x100000, v201
	s_delay_alu instid0(VALU_DEP_2) | instskip(NEXT) | instid1(VALU_DEP_1)
	v_and_b32_e32 v29, 0x10000000, v29
	v_or3_b32 v28, v28, v201, v29
	v_lshlrev_b16 v29, 8, v200
	s_delay_alu instid0(VALU_DEP_2) | instskip(NEXT) | instid1(VALU_DEP_2)
	v_lshrrev_b32_e32 v28, 16, v28
	v_add_nc_u16 v29, 0xf000, v29
	s_delay_alu instid0(VALU_DEP_1) | instskip(NEXT) | instid1(VALU_DEP_1)
	v_lshrrev_b16 v29, 8, v29
	v_bitop3_b16 v29, v200, v29, 0x1f00 bitop3:0xec
	s_delay_alu instid0(VALU_DEP_4) | instskip(SKIP_1) | instid1(VALU_DEP_3)
	v_lshlrev_b16 v200, 8, v28
	v_and_b32_e32 v28, 0x1f00, v28
	v_add_nc_u16 v29, 0xf000, v29
	s_delay_alu instid0(VALU_DEP_3) | instskip(NEXT) | instid1(VALU_DEP_3)
	v_add_nc_u16 v200, 0xf000, v200
	v_add_nc_u16 v28, 0xf000, v28
	s_delay_alu instid0(VALU_DEP_3) | instskip(SKIP_1) | instid1(VALU_DEP_3)
	v_lshrrev_b32_e32 v27, 8, v29
	v_bfe_i32 v29, v29, 0, 8
	v_lshrrev_b32_e32 v28, 8, v28
	s_delay_alu instid0(VALU_DEP_3) | instskip(NEXT) | instid1(VALU_DEP_3)
	v_bfe_i32 v27, v27, 0, 8
	v_cvt_f16_i16_e32 v29, v29
	s_delay_alu instid0(VALU_DEP_3) | instskip(NEXT) | instid1(VALU_DEP_3)
	v_bfe_i32 v28, v28, 0, 8
	v_cvt_f16_i16_e32 v27, v27
	s_delay_alu instid0(VALU_DEP_2) | instskip(NEXT) | instid1(VALU_DEP_2)
	v_cvt_f16_i16_e32 v28, v28
	v_pack_b32_f16 v27, v29, v27
	v_ashrrev_i16 v29, 8, v200
	s_delay_alu instid0(VALU_DEP_2) | instskip(NEXT) | instid1(VALU_DEP_2)
	v_pk_mul_f16 v27, v27, v26
	v_cvt_f16_i16_e32 v29, v29
	s_delay_alu instid0(VALU_DEP_2) | instskip(NEXT) | instid1(VALU_DEP_2)
	v_pk_fma_f16 v30, v27, v199, v30
	v_pack_b32_f16 v28, v29, v28
	s_delay_alu instid0(VALU_DEP_1) | instskip(NEXT) | instid1(VALU_DEP_1)
	v_pk_mul_f16 v26, v28, v26
	v_pk_fma_f16 v31, v26, v199, v31
	v_add_nc_u64_e32 v[26:27], v[20:21], v[112:113]
	s_clause 0x2
	global_load_b32 v26, v[26:27], off offset:6
	global_load_b32 v27, v[20:21], off offset:2
	global_load_u16 v20, v[20:21], off
	s_wait_loadcnt 0x2
	v_ashrrev_i32_e32 v26, v193, v26
	s_wait_loadcnt 0x1
	v_dual_lshrrev_b32 v28, v189, v27 :: v_dual_lshrrev_b32 v29, v194, v27
	s_wait_loadcnt 0x0
	v_mul_u32_u24_e32 v20, 0x10001, v20
	v_and_b32_e32 v26, 0xf0f0f0f, v26
	s_delay_alu instid0(VALU_DEP_3) | instskip(NEXT) | instid1(VALU_DEP_1)
	v_dual_lshlrev_b32 v28, 4, v28 :: v_dual_lshlrev_b32 v29, 12, v29
	v_and_b32_e32 v28, 16, v28
	s_delay_alu instid0(VALU_DEP_2) | instskip(NEXT) | instid1(VALU_DEP_1)
	v_and_b32_e32 v29, 0x1000, v29
	v_or3_b32 v28, v28, v26, v29
	v_dual_lshrrev_b32 v29, v195, v27 :: v_dual_lshrrev_b32 v27, v196, v27
	s_delay_alu instid0(VALU_DEP_1) | instskip(NEXT) | instid1(VALU_DEP_1)
	v_dual_lshlrev_b32 v29, 20, v29 :: v_dual_lshlrev_b32 v27, 28, v27
	v_and_b32_e32 v29, 0x100000, v29
	s_delay_alu instid0(VALU_DEP_2) | instskip(NEXT) | instid1(VALU_DEP_1)
	v_and_b32_e32 v27, 0x10000000, v27
	v_or3_b32 v26, v26, v29, v27
	v_lshlrev_b16 v27, 8, v28
	s_delay_alu instid0(VALU_DEP_2) | instskip(NEXT) | instid1(VALU_DEP_2)
	v_lshrrev_b32_e32 v26, 16, v26
	v_add_nc_u16 v27, 0xf000, v27
	s_delay_alu instid0(VALU_DEP_1) | instskip(NEXT) | instid1(VALU_DEP_1)
	v_lshrrev_b16 v27, 8, v27
	v_bitop3_b16 v27, v28, v27, 0x1f00 bitop3:0xec
	s_delay_alu instid0(VALU_DEP_4) | instskip(SKIP_1) | instid1(VALU_DEP_3)
	v_lshlrev_b16 v28, 8, v26
	v_and_b32_e32 v26, 0x1f00, v26
	v_add_nc_u16 v27, 0xf000, v27
	s_delay_alu instid0(VALU_DEP_3) | instskip(NEXT) | instid1(VALU_DEP_3)
	v_add_nc_u16 v28, 0xf000, v28
	v_add_nc_u16 v26, 0xf000, v26
	s_delay_alu instid0(VALU_DEP_3) | instskip(SKIP_1) | instid1(VALU_DEP_3)
	v_lshrrev_b32_e32 v21, 8, v27
	v_bfe_i32 v27, v27, 0, 8
	v_lshrrev_b32_e32 v26, 8, v26
	s_delay_alu instid0(VALU_DEP_3) | instskip(NEXT) | instid1(VALU_DEP_3)
	v_bfe_i32 v21, v21, 0, 8
	v_cvt_f16_i16_e32 v27, v27
	s_delay_alu instid0(VALU_DEP_3) | instskip(NEXT) | instid1(VALU_DEP_3)
	v_bfe_i32 v26, v26, 0, 8
	v_cvt_f16_i16_e32 v21, v21
	s_delay_alu instid0(VALU_DEP_2) | instskip(NEXT) | instid1(VALU_DEP_2)
	v_cvt_f16_i16_e32 v26, v26
	v_pack_b32_f16 v21, v27, v21
	v_ashrrev_i16 v27, 8, v28
	s_delay_alu instid0(VALU_DEP_2) | instskip(NEXT) | instid1(VALU_DEP_2)
	v_pk_mul_f16 v21, v21, v20
	v_cvt_f16_i16_e32 v27, v27
	s_delay_alu instid0(VALU_DEP_2) | instskip(NEXT) | instid1(VALU_DEP_2)
	v_pk_fma_f16 v25, v21, v199, v25
	v_pack_b32_f16 v26, v27, v26
	s_delay_alu instid0(VALU_DEP_1) | instskip(NEXT) | instid1(VALU_DEP_1)
	v_pk_mul_f16 v20, v26, v20
	v_pk_fma_f16 v198, v20, v199, v198
	v_and_b32_e32 v20, 0xffff, v22
	s_delay_alu instid0(VALU_DEP_1) | instskip(SKIP_1) | instid1(VALU_DEP_1)
	v_mul_u32_u24_e32 v22, 0x10001, v20
	v_add_nc_u64_e32 v[20:21], s[12:13], v[136:137]
	v_add_nc_u64_e32 v[26:27], v[20:21], v[168:169]
	v_add_nc_u64_e32 v[20:21], v[20:21], v[166:167]
	s_delay_alu instid0(VALU_DEP_2)
	v_add_nc_u64_e32 v[28:29], v[26:27], v[88:89]
	s_clause 0x2
	global_load_b32 v28, v[28:29], off offset:6
	global_load_b32 v29, v[26:27], off offset:2
	global_load_u16 v26, v[26:27], off
	s_wait_loadcnt 0x1
	v_dual_lshrrev_b32 v199, v189, v29 :: v_dual_lshrrev_b32 v200, v194, v29
	v_ashrrev_i32_e32 v28, v193, v28
	s_wait_loadcnt 0x0
	v_mul_u32_u24_e32 v26, 0x10001, v26
	s_delay_alu instid0(VALU_DEP_3) | instskip(NEXT) | instid1(VALU_DEP_3)
	v_dual_lshlrev_b32 v199, 4, v199 :: v_dual_lshlrev_b32 v200, 12, v200
	v_and_b32_e32 v28, 0xf0f0f0f, v28
	s_delay_alu instid0(VALU_DEP_2) | instskip(NEXT) | instid1(VALU_DEP_3)
	v_and_b32_e32 v199, 16, v199
	v_and_b32_e32 v200, 0x1000, v200
	s_delay_alu instid0(VALU_DEP_1) | instskip(SKIP_1) | instid1(VALU_DEP_1)
	v_or3_b32 v199, v199, v28, v200
	v_dual_lshrrev_b32 v200, v195, v29 :: v_dual_lshrrev_b32 v29, v196, v29
	v_dual_lshlrev_b32 v200, 20, v200 :: v_dual_lshlrev_b32 v29, 28, v29
	s_delay_alu instid0(VALU_DEP_1) | instskip(NEXT) | instid1(VALU_DEP_2)
	v_and_b32_e32 v200, 0x100000, v200
	v_and_b32_e32 v29, 0x10000000, v29
	s_delay_alu instid0(VALU_DEP_1) | instskip(SKIP_1) | instid1(VALU_DEP_1)
	v_or3_b32 v28, v28, v200, v29
	v_lshlrev_b16 v29, 8, v199
	v_add_nc_u16 v29, 0xf000, v29
	s_delay_alu instid0(VALU_DEP_1) | instskip(NEXT) | instid1(VALU_DEP_1)
	v_lshrrev_b16 v29, 8, v29
	v_bitop3_b16 v29, v199, v29, 0x1f00 bitop3:0xec
	s_delay_alu instid0(VALU_DEP_1) | instskip(NEXT) | instid1(VALU_DEP_1)
	v_add_nc_u16 v29, 0xf000, v29
	v_dual_lshrrev_b32 v28, 16, v28 :: v_dual_lshrrev_b32 v27, 8, v29
	s_delay_alu instid0(VALU_DEP_1) | instskip(SKIP_2) | instid1(VALU_DEP_4)
	v_lshlrev_b16 v199, 8, v28
	v_and_b32_e32 v28, 0x1f00, v28
	v_bfe_i32 v29, v29, 0, 8
	v_bfe_i32 v27, v27, 0, 8
	s_delay_alu instid0(VALU_DEP_4) | instskip(NEXT) | instid1(VALU_DEP_4)
	v_add_nc_u16 v199, 0xf000, v199
	v_add_nc_u16 v28, 0xf000, v28
	s_delay_alu instid0(VALU_DEP_4) | instskip(NEXT) | instid1(VALU_DEP_4)
	v_cvt_f16_i16_e32 v29, v29
	v_cvt_f16_i16_e32 v27, v27
	s_delay_alu instid0(VALU_DEP_3) | instskip(NEXT) | instid1(VALU_DEP_2)
	v_lshrrev_b32_e32 v28, 8, v28
	v_pack_b32_f16 v27, v29, v27
	v_ashrrev_i16 v29, 8, v199
	s_delay_alu instid0(VALU_DEP_3) | instskip(NEXT) | instid1(VALU_DEP_3)
	v_bfe_i32 v28, v28, 0, 8
	v_pk_mul_f16 v27, v27, v26
	s_delay_alu instid0(VALU_DEP_3) | instskip(NEXT) | instid1(VALU_DEP_3)
	v_cvt_f16_i16_e32 v29, v29
	v_cvt_f16_i16_e32 v28, v28
	s_delay_alu instid0(VALU_DEP_3) | instskip(NEXT) | instid1(VALU_DEP_2)
	v_pk_fma_f16 v30, v27, v22, v30
	v_pack_b32_f16 v28, v29, v28
	s_delay_alu instid0(VALU_DEP_1) | instskip(NEXT) | instid1(VALU_DEP_1)
	v_pk_mul_f16 v26, v28, v26
	v_pk_fma_f16 v31, v26, v22, v31
	v_add_nc_u64_e32 v[26:27], v[20:21], v[112:113]
	s_clause 0x2
	global_load_b32 v26, v[26:27], off offset:6
	global_load_b32 v27, v[20:21], off offset:2
	global_load_u16 v20, v[20:21], off
	s_wait_loadcnt 0x2
	v_ashrrev_i32_e32 v26, v193, v26
	s_wait_loadcnt 0x1
	v_dual_lshrrev_b32 v28, v189, v27 :: v_dual_lshrrev_b32 v29, v194, v27
	s_wait_loadcnt 0x0
	v_mul_u32_u24_e32 v20, 0x10001, v20
	v_and_b32_e32 v26, 0xf0f0f0f, v26
	s_delay_alu instid0(VALU_DEP_3) | instskip(NEXT) | instid1(VALU_DEP_1)
	v_dual_lshlrev_b32 v28, 4, v28 :: v_dual_lshlrev_b32 v29, 12, v29
	v_and_b32_e32 v28, 16, v28
	s_delay_alu instid0(VALU_DEP_2) | instskip(NEXT) | instid1(VALU_DEP_1)
	v_and_b32_e32 v29, 0x1000, v29
	v_or3_b32 v28, v28, v26, v29
	v_dual_lshrrev_b32 v29, v195, v27 :: v_dual_lshrrev_b32 v27, v196, v27
	s_delay_alu instid0(VALU_DEP_1) | instskip(NEXT) | instid1(VALU_DEP_1)
	v_dual_lshlrev_b32 v29, 20, v29 :: v_dual_lshlrev_b32 v27, 28, v27
	v_and_b32_e32 v29, 0x100000, v29
	s_delay_alu instid0(VALU_DEP_2) | instskip(NEXT) | instid1(VALU_DEP_1)
	v_and_b32_e32 v27, 0x10000000, v27
	v_or3_b32 v26, v26, v29, v27
	v_lshlrev_b16 v27, 8, v28
	s_delay_alu instid0(VALU_DEP_2) | instskip(NEXT) | instid1(VALU_DEP_2)
	v_lshrrev_b32_e32 v26, 16, v26
	v_add_nc_u16 v27, 0xf000, v27
	s_delay_alu instid0(VALU_DEP_1) | instskip(NEXT) | instid1(VALU_DEP_1)
	v_lshrrev_b16 v27, 8, v27
	v_bitop3_b16 v27, v28, v27, 0x1f00 bitop3:0xec
	s_delay_alu instid0(VALU_DEP_4) | instskip(SKIP_1) | instid1(VALU_DEP_3)
	v_lshlrev_b16 v28, 8, v26
	v_and_b32_e32 v26, 0x1f00, v26
	v_add_nc_u16 v27, 0xf000, v27
	s_delay_alu instid0(VALU_DEP_3) | instskip(NEXT) | instid1(VALU_DEP_3)
	v_add_nc_u16 v28, 0xf000, v28
	v_add_nc_u16 v26, 0xf000, v26
	s_delay_alu instid0(VALU_DEP_3) | instskip(SKIP_1) | instid1(VALU_DEP_3)
	v_lshrrev_b32_e32 v21, 8, v27
	v_bfe_i32 v27, v27, 0, 8
	v_lshrrev_b32_e32 v26, 8, v26
	s_delay_alu instid0(VALU_DEP_3) | instskip(NEXT) | instid1(VALU_DEP_3)
	v_bfe_i32 v21, v21, 0, 8
	v_cvt_f16_i16_e32 v27, v27
	s_delay_alu instid0(VALU_DEP_3) | instskip(NEXT) | instid1(VALU_DEP_3)
	v_bfe_i32 v26, v26, 0, 8
	v_cvt_f16_i16_e32 v21, v21
	s_delay_alu instid0(VALU_DEP_2) | instskip(NEXT) | instid1(VALU_DEP_2)
	v_cvt_f16_i16_e32 v26, v26
	v_pack_b32_f16 v21, v27, v21
	v_ashrrev_i16 v27, 8, v28
	s_delay_alu instid0(VALU_DEP_2) | instskip(NEXT) | instid1(VALU_DEP_2)
	v_pk_mul_f16 v21, v21, v20
	v_cvt_f16_i16_e32 v27, v27
	s_delay_alu instid0(VALU_DEP_2) | instskip(NEXT) | instid1(VALU_DEP_2)
	v_pk_fma_f16 v25, v21, v22, v25
	v_pack_b32_f16 v26, v27, v26
	s_delay_alu instid0(VALU_DEP_1) | instskip(NEXT) | instid1(VALU_DEP_1)
	v_pk_mul_f16 v20, v26, v20
	v_pk_fma_f16 v22, v20, v22, v198
	v_add_nc_u64_e32 v[20:21], s[12:13], v[140:141]
	v_mul_u32_u24_e32 v198, 0x10001, v203
	s_delay_alu instid0(VALU_DEP_2) | instskip(SKIP_1) | instid1(VALU_DEP_2)
	v_add_nc_u64_e32 v[26:27], v[20:21], v[168:169]
	v_add_nc_u64_e32 v[20:21], v[20:21], v[166:167]
	;; [unrolled: 1-line block ×3, first 2 shown]
	s_clause 0x2
	global_load_b32 v28, v[28:29], off offset:6
	global_load_b32 v29, v[26:27], off offset:2
	global_load_u16 v26, v[26:27], off
	s_wait_loadcnt 0x1
	v_dual_lshrrev_b32 v199, v189, v29 :: v_dual_lshrrev_b32 v200, v194, v29
	v_ashrrev_i32_e32 v28, v193, v28
	s_wait_loadcnt 0x0
	v_mul_u32_u24_e32 v26, 0x10001, v26
	s_delay_alu instid0(VALU_DEP_3) | instskip(NEXT) | instid1(VALU_DEP_3)
	v_dual_lshlrev_b32 v199, 4, v199 :: v_dual_lshlrev_b32 v200, 12, v200
	v_and_b32_e32 v28, 0xf0f0f0f, v28
	s_delay_alu instid0(VALU_DEP_2) | instskip(NEXT) | instid1(VALU_DEP_3)
	v_and_b32_e32 v199, 16, v199
	v_and_b32_e32 v200, 0x1000, v200
	s_delay_alu instid0(VALU_DEP_1) | instskip(SKIP_1) | instid1(VALU_DEP_1)
	v_or3_b32 v199, v199, v28, v200
	v_dual_lshrrev_b32 v200, v195, v29 :: v_dual_lshrrev_b32 v29, v196, v29
	v_dual_lshlrev_b32 v200, 20, v200 :: v_dual_lshlrev_b32 v29, 28, v29
	s_delay_alu instid0(VALU_DEP_1) | instskip(NEXT) | instid1(VALU_DEP_2)
	v_and_b32_e32 v200, 0x100000, v200
	v_and_b32_e32 v29, 0x10000000, v29
	s_delay_alu instid0(VALU_DEP_1) | instskip(SKIP_1) | instid1(VALU_DEP_1)
	v_or3_b32 v28, v28, v200, v29
	v_lshlrev_b16 v29, 8, v199
	v_add_nc_u16 v29, 0xf000, v29
	s_delay_alu instid0(VALU_DEP_1) | instskip(NEXT) | instid1(VALU_DEP_1)
	v_lshrrev_b16 v29, 8, v29
	v_bitop3_b16 v29, v199, v29, 0x1f00 bitop3:0xec
	s_delay_alu instid0(VALU_DEP_1) | instskip(NEXT) | instid1(VALU_DEP_1)
	v_add_nc_u16 v29, 0xf000, v29
	v_dual_lshrrev_b32 v28, 16, v28 :: v_dual_lshrrev_b32 v27, 8, v29
	s_delay_alu instid0(VALU_DEP_1) | instskip(SKIP_2) | instid1(VALU_DEP_4)
	v_lshlrev_b16 v199, 8, v28
	v_and_b32_e32 v28, 0x1f00, v28
	v_bfe_i32 v29, v29, 0, 8
	v_bfe_i32 v27, v27, 0, 8
	s_delay_alu instid0(VALU_DEP_4) | instskip(NEXT) | instid1(VALU_DEP_4)
	v_add_nc_u16 v199, 0xf000, v199
	v_add_nc_u16 v28, 0xf000, v28
	s_delay_alu instid0(VALU_DEP_4) | instskip(NEXT) | instid1(VALU_DEP_4)
	v_cvt_f16_i16_e32 v29, v29
	v_cvt_f16_i16_e32 v27, v27
	s_delay_alu instid0(VALU_DEP_3) | instskip(NEXT) | instid1(VALU_DEP_2)
	v_lshrrev_b32_e32 v28, 8, v28
	v_pack_b32_f16 v27, v29, v27
	v_ashrrev_i16 v29, 8, v199
	s_delay_alu instid0(VALU_DEP_3) | instskip(NEXT) | instid1(VALU_DEP_3)
	v_bfe_i32 v28, v28, 0, 8
	v_pk_mul_f16 v27, v27, v26
	s_delay_alu instid0(VALU_DEP_3) | instskip(NEXT) | instid1(VALU_DEP_3)
	v_cvt_f16_i16_e32 v29, v29
	v_cvt_f16_i16_e32 v28, v28
	s_delay_alu instid0(VALU_DEP_1) | instskip(NEXT) | instid1(VALU_DEP_1)
	v_pack_b32_f16 v28, v29, v28
	v_pk_mul_f16 v26, v28, v26
	v_pk_fma_f16 v28, v27, v198, v30
	s_delay_alu instid0(VALU_DEP_2)
	v_pk_fma_f16 v29, v26, v198, v31
	v_add_nc_u64_e32 v[26:27], v[20:21], v[112:113]
	s_clause 0x2
	global_load_b32 v26, v[26:27], off offset:6
	global_load_b32 v27, v[20:21], off offset:2
	global_load_u16 v20, v[20:21], off
	s_wait_loadcnt 0x2
	v_ashrrev_i32_e32 v26, v193, v26
	s_wait_loadcnt 0x1
	v_dual_lshrrev_b32 v30, v189, v27 :: v_dual_lshrrev_b32 v31, v194, v27
	s_wait_loadcnt 0x0
	v_mul_u32_u24_e32 v20, 0x10001, v20
	v_and_b32_e32 v26, 0xf0f0f0f, v26
	s_delay_alu instid0(VALU_DEP_3) | instskip(NEXT) | instid1(VALU_DEP_1)
	v_dual_lshlrev_b32 v30, 4, v30 :: v_dual_lshlrev_b32 v31, 12, v31
	v_and_b32_e32 v30, 16, v30
	s_delay_alu instid0(VALU_DEP_2) | instskip(NEXT) | instid1(VALU_DEP_1)
	v_and_b32_e32 v31, 0x1000, v31
	v_or3_b32 v30, v30, v26, v31
	v_dual_lshrrev_b32 v31, v195, v27 :: v_dual_lshrrev_b32 v27, v196, v27
	s_delay_alu instid0(VALU_DEP_1) | instskip(NEXT) | instid1(VALU_DEP_2)
	v_lshlrev_b32_e32 v31, 20, v31
	v_lshlrev_b32_e32 v27, 28, v27
	s_delay_alu instid0(VALU_DEP_2) | instskip(NEXT) | instid1(VALU_DEP_2)
	v_and_b32_e32 v31, 0x100000, v31
	v_and_b32_e32 v27, 0x10000000, v27
	s_delay_alu instid0(VALU_DEP_1) | instskip(SKIP_1) | instid1(VALU_DEP_2)
	v_or3_b32 v26, v26, v31, v27
	v_lshlrev_b16 v27, 8, v30
	v_lshrrev_b32_e32 v26, 16, v26
	s_delay_alu instid0(VALU_DEP_2) | instskip(NEXT) | instid1(VALU_DEP_1)
	v_add_nc_u16 v27, 0xf000, v27
	v_lshrrev_b16 v27, 8, v27
	s_delay_alu instid0(VALU_DEP_1) | instskip(NEXT) | instid1(VALU_DEP_4)
	v_bitop3_b16 v27, v30, v27, 0x1f00 bitop3:0xec
	v_lshlrev_b16 v30, 8, v26
	v_and_b32_e32 v26, 0x1f00, v26
	s_delay_alu instid0(VALU_DEP_3) | instskip(NEXT) | instid1(VALU_DEP_3)
	v_add_nc_u16 v27, 0xf000, v27
	v_add_nc_u16 v30, 0xf000, v30
	s_delay_alu instid0(VALU_DEP_3) | instskip(NEXT) | instid1(VALU_DEP_3)
	v_add_nc_u16 v26, 0xf000, v26
	v_lshrrev_b32_e32 v21, 8, v27
	v_bfe_i32 v27, v27, 0, 8
	s_delay_alu instid0(VALU_DEP_3) | instskip(NEXT) | instid1(VALU_DEP_3)
	v_lshrrev_b32_e32 v26, 8, v26
	v_bfe_i32 v21, v21, 0, 8
	s_delay_alu instid0(VALU_DEP_3) | instskip(NEXT) | instid1(VALU_DEP_3)
	v_cvt_f16_i16_e32 v27, v27
	v_bfe_i32 v26, v26, 0, 8
	s_delay_alu instid0(VALU_DEP_3) | instskip(NEXT) | instid1(VALU_DEP_2)
	v_cvt_f16_i16_e32 v21, v21
	v_cvt_f16_i16_e32 v26, v26
	s_delay_alu instid0(VALU_DEP_2) | instskip(SKIP_1) | instid1(VALU_DEP_2)
	v_pack_b32_f16 v21, v27, v21
	v_ashrrev_i16 v27, 8, v30
	v_pk_mul_f16 v21, v21, v20
	s_delay_alu instid0(VALU_DEP_2) | instskip(NEXT) | instid1(VALU_DEP_2)
	v_cvt_f16_i16_e32 v27, v27
	v_pk_fma_f16 v25, v21, v198, v25
	s_delay_alu instid0(VALU_DEP_2) | instskip(NEXT) | instid1(VALU_DEP_1)
	v_pack_b32_f16 v26, v27, v26
	v_pk_mul_f16 v20, v26, v20
	s_delay_alu instid0(VALU_DEP_1) | instskip(SKIP_1) | instid1(VALU_DEP_1)
	v_pk_fma_f16 v30, v20, v198, v22
	v_and_b32_e32 v20, 0xffff, v23
	v_mul_u32_u24_e32 v31, 0x10001, v20
	v_add_nc_u64_e32 v[20:21], s[12:13], v[142:143]
	s_delay_alu instid0(VALU_DEP_1) | instskip(SKIP_1) | instid1(VALU_DEP_2)
	v_add_nc_u64_e32 v[22:23], v[20:21], v[168:169]
	v_add_nc_u64_e32 v[20:21], v[20:21], v[166:167]
	;; [unrolled: 1-line block ×3, first 2 shown]
	s_clause 0x2
	global_load_b32 v26, v[26:27], off offset:6
	global_load_b32 v27, v[22:23], off offset:2
	global_load_u16 v22, v[22:23], off
	s_wait_loadcnt 0x2
	v_ashrrev_i32_e32 v26, v193, v26
	s_wait_loadcnt 0x1
	v_dual_lshrrev_b32 v198, v189, v27 :: v_dual_lshrrev_b32 v199, v194, v27
	s_wait_loadcnt 0x0
	v_mul_u32_u24_e32 v22, 0x10001, v22
	v_and_b32_e32 v26, 0xf0f0f0f, v26
	s_delay_alu instid0(VALU_DEP_3) | instskip(NEXT) | instid1(VALU_DEP_1)
	v_dual_lshlrev_b32 v198, 4, v198 :: v_dual_lshlrev_b32 v199, 12, v199
	v_and_b32_e32 v198, 16, v198
	s_delay_alu instid0(VALU_DEP_2) | instskip(NEXT) | instid1(VALU_DEP_1)
	v_and_b32_e32 v199, 0x1000, v199
	v_or3_b32 v198, v198, v26, v199
	v_dual_lshrrev_b32 v199, v195, v27 :: v_dual_lshrrev_b32 v27, v196, v27
	s_delay_alu instid0(VALU_DEP_1) | instskip(NEXT) | instid1(VALU_DEP_2)
	v_lshlrev_b32_e32 v199, 20, v199
	v_lshlrev_b32_e32 v27, 28, v27
	s_delay_alu instid0(VALU_DEP_2) | instskip(NEXT) | instid1(VALU_DEP_2)
	v_and_b32_e32 v199, 0x100000, v199
	v_and_b32_e32 v27, 0x10000000, v27
	s_delay_alu instid0(VALU_DEP_1) | instskip(SKIP_2) | instid1(VALU_DEP_2)
	v_or3_b32 v26, v26, v199, v27
	v_lshlrev_b16 v27, 8, v198
	s_wait_dscnt 0x0
	v_dual_lshrrev_b32 v199, 16, v19 :: v_dual_lshrrev_b32 v26, 16, v26
	s_delay_alu instid0(VALU_DEP_2) | instskip(NEXT) | instid1(VALU_DEP_1)
	v_add_nc_u16 v27, 0xf000, v27
	v_lshrrev_b16 v27, 8, v27
	s_delay_alu instid0(VALU_DEP_1) | instskip(NEXT) | instid1(VALU_DEP_4)
	v_bitop3_b16 v27, v198, v27, 0x1f00 bitop3:0xec
	v_lshlrev_b16 v198, 8, v26
	v_and_b32_e32 v26, 0x1f00, v26
	s_delay_alu instid0(VALU_DEP_3) | instskip(NEXT) | instid1(VALU_DEP_3)
	v_add_nc_u16 v27, 0xf000, v27
	v_add_nc_u16 v198, 0xf000, v198
	s_delay_alu instid0(VALU_DEP_3) | instskip(NEXT) | instid1(VALU_DEP_3)
	v_add_nc_u16 v26, 0xf000, v26
	v_lshrrev_b32_e32 v23, 8, v27
	v_bfe_i32 v27, v27, 0, 8
	s_delay_alu instid0(VALU_DEP_3) | instskip(NEXT) | instid1(VALU_DEP_3)
	v_lshrrev_b32_e32 v26, 8, v26
	v_bfe_i32 v23, v23, 0, 8
	s_delay_alu instid0(VALU_DEP_3) | instskip(NEXT) | instid1(VALU_DEP_3)
	v_cvt_f16_i16_e32 v27, v27
	v_bfe_i32 v26, v26, 0, 8
	s_delay_alu instid0(VALU_DEP_3) | instskip(NEXT) | instid1(VALU_DEP_2)
	v_cvt_f16_i16_e32 v23, v23
	v_cvt_f16_i16_e32 v26, v26
	s_delay_alu instid0(VALU_DEP_2) | instskip(SKIP_1) | instid1(VALU_DEP_2)
	v_pack_b32_f16 v23, v27, v23
	v_ashrrev_i16 v27, 8, v198
	v_pk_mul_f16 v23, v23, v22
	s_delay_alu instid0(VALU_DEP_2) | instskip(NEXT) | instid1(VALU_DEP_1)
	v_cvt_f16_i16_e32 v27, v27
	v_pack_b32_f16 v26, v27, v26
	s_delay_alu instid0(VALU_DEP_1) | instskip(NEXT) | instid1(VALU_DEP_4)
	v_pk_mul_f16 v22, v26, v22
	v_pk_fma_f16 v26, v23, v31, v28
	s_delay_alu instid0(VALU_DEP_2)
	v_pk_fma_f16 v27, v22, v31, v29
	v_add_nc_u64_e32 v[22:23], v[20:21], v[112:113]
	s_clause 0x2
	global_load_b32 v22, v[22:23], off offset:6
	global_load_b32 v23, v[20:21], off offset:2
	global_load_u16 v20, v[20:21], off
	s_wait_loadcnt 0x2
	v_ashrrev_i32_e32 v22, v193, v22
	s_wait_loadcnt 0x1
	v_dual_lshrrev_b32 v28, v189, v23 :: v_dual_lshrrev_b32 v29, v194, v23
	s_wait_loadcnt 0x0
	v_mul_u32_u24_e32 v20, 0x10001, v20
	v_and_b32_e32 v22, 0xf0f0f0f, v22
	s_delay_alu instid0(VALU_DEP_3) | instskip(NEXT) | instid1(VALU_DEP_1)
	v_dual_lshlrev_b32 v28, 4, v28 :: v_dual_lshlrev_b32 v29, 12, v29
	v_and_b32_e32 v28, 16, v28
	s_delay_alu instid0(VALU_DEP_2) | instskip(NEXT) | instid1(VALU_DEP_1)
	v_and_b32_e32 v29, 0x1000, v29
	v_or3_b32 v28, v28, v22, v29
	v_dual_lshrrev_b32 v29, v195, v23 :: v_dual_lshrrev_b32 v23, v196, v23
	s_delay_alu instid0(VALU_DEP_1) | instskip(NEXT) | instid1(VALU_DEP_1)
	v_dual_lshlrev_b32 v29, 20, v29 :: v_dual_lshlrev_b32 v23, 28, v23
	v_and_b32_e32 v29, 0x100000, v29
	s_delay_alu instid0(VALU_DEP_2) | instskip(NEXT) | instid1(VALU_DEP_1)
	v_and_b32_e32 v23, 0x10000000, v23
	v_or3_b32 v22, v22, v29, v23
	v_lshlrev_b16 v23, 8, v28
	s_delay_alu instid0(VALU_DEP_2) | instskip(NEXT) | instid1(VALU_DEP_2)
	v_lshrrev_b32_e32 v22, 16, v22
	v_add_nc_u16 v23, 0xf000, v23
	s_delay_alu instid0(VALU_DEP_1) | instskip(NEXT) | instid1(VALU_DEP_1)
	v_lshrrev_b16 v23, 8, v23
	v_bitop3_b16 v23, v28, v23, 0x1f00 bitop3:0xec
	s_delay_alu instid0(VALU_DEP_4) | instskip(SKIP_1) | instid1(VALU_DEP_3)
	v_lshlrev_b16 v28, 8, v22
	v_and_b32_e32 v22, 0x1f00, v22
	v_add_nc_u16 v23, 0xf000, v23
	s_delay_alu instid0(VALU_DEP_3) | instskip(NEXT) | instid1(VALU_DEP_3)
	v_add_nc_u16 v28, 0xf000, v28
	v_add_nc_u16 v22, 0xf000, v22
	s_delay_alu instid0(VALU_DEP_3) | instskip(SKIP_1) | instid1(VALU_DEP_3)
	v_lshrrev_b32_e32 v21, 8, v23
	v_bfe_i32 v23, v23, 0, 8
	v_lshrrev_b32_e32 v22, 8, v22
	s_delay_alu instid0(VALU_DEP_3) | instskip(NEXT) | instid1(VALU_DEP_3)
	v_bfe_i32 v21, v21, 0, 8
	v_cvt_f16_i16_e32 v23, v23
	s_delay_alu instid0(VALU_DEP_3) | instskip(NEXT) | instid1(VALU_DEP_3)
	v_bfe_i32 v22, v22, 0, 8
	v_cvt_f16_i16_e32 v21, v21
	s_delay_alu instid0(VALU_DEP_2) | instskip(NEXT) | instid1(VALU_DEP_2)
	v_cvt_f16_i16_e32 v22, v22
	v_pack_b32_f16 v21, v23, v21
	v_ashrrev_i16 v23, 8, v28
	s_delay_alu instid0(VALU_DEP_2) | instskip(NEXT) | instid1(VALU_DEP_2)
	v_pk_mul_f16 v21, v21, v20
	v_cvt_f16_i16_e32 v23, v23
	s_delay_alu instid0(VALU_DEP_2) | instskip(NEXT) | instid1(VALU_DEP_2)
	v_pk_fma_f16 v28, v21, v31, v25
	v_pack_b32_f16 v22, v23, v22
	s_delay_alu instid0(VALU_DEP_1) | instskip(NEXT) | instid1(VALU_DEP_1)
	v_pk_mul_f16 v20, v22, v20
	v_pk_fma_f16 v29, v20, v31, v30
	v_add_nc_u64_e32 v[20:21], s[12:13], v[144:145]
	v_mul_u32_u24_e32 v30, 0x10001, v24
	s_delay_alu instid0(VALU_DEP_2) | instskip(SKIP_1) | instid1(VALU_DEP_2)
	v_add_nc_u64_e32 v[22:23], v[20:21], v[168:169]
	v_add_nc_u64_e32 v[20:21], v[20:21], v[166:167]
	;; [unrolled: 1-line block ×3, first 2 shown]
	s_clause 0x2
	global_load_b32 v24, v[24:25], off offset:6
	global_load_b32 v25, v[22:23], off offset:2
	global_load_u16 v22, v[22:23], off
	s_wait_loadcnt 0x1
	v_dual_lshrrev_b32 v31, v189, v25 :: v_dual_lshrrev_b32 v198, v194, v25
	v_ashrrev_i32_e32 v24, v193, v24
	s_wait_loadcnt 0x0
	v_mul_u32_u24_e32 v22, 0x10001, v22
	s_delay_alu instid0(VALU_DEP_3) | instskip(NEXT) | instid1(VALU_DEP_3)
	v_dual_lshlrev_b32 v31, 4, v31 :: v_dual_lshlrev_b32 v198, 12, v198
	v_and_b32_e32 v24, 0xf0f0f0f, v24
	s_delay_alu instid0(VALU_DEP_2) | instskip(NEXT) | instid1(VALU_DEP_3)
	v_and_b32_e32 v31, 16, v31
	v_and_b32_e32 v198, 0x1000, v198
	s_delay_alu instid0(VALU_DEP_1) | instskip(SKIP_1) | instid1(VALU_DEP_1)
	v_or3_b32 v31, v31, v24, v198
	v_dual_lshrrev_b32 v198, v195, v25 :: v_dual_lshrrev_b32 v25, v196, v25
	v_dual_lshlrev_b32 v198, 20, v198 :: v_dual_lshlrev_b32 v25, 28, v25
	s_delay_alu instid0(VALU_DEP_1) | instskip(NEXT) | instid1(VALU_DEP_2)
	v_and_b32_e32 v198, 0x100000, v198
	v_and_b32_e32 v25, 0x10000000, v25
	s_delay_alu instid0(VALU_DEP_1) | instskip(SKIP_2) | instid1(VALU_DEP_2)
	v_or3_b32 v24, v24, v198, v25
	v_lshlrev_b16 v25, 8, v31
	v_lshrrev_b32_e32 v198, 16, v18
	v_add_nc_u16 v25, 0xf000, v25
	s_delay_alu instid0(VALU_DEP_1) | instskip(NEXT) | instid1(VALU_DEP_1)
	v_lshrrev_b16 v25, 8, v25
	v_bitop3_b16 v25, v31, v25, 0x1f00 bitop3:0xec
	s_delay_alu instid0(VALU_DEP_1) | instskip(NEXT) | instid1(VALU_DEP_1)
	v_add_nc_u16 v25, 0xf000, v25
	v_dual_lshrrev_b32 v24, 16, v24 :: v_dual_lshrrev_b32 v23, 8, v25
	s_delay_alu instid0(VALU_DEP_1) | instskip(SKIP_2) | instid1(VALU_DEP_4)
	v_lshlrev_b16 v31, 8, v24
	v_and_b32_e32 v24, 0x1f00, v24
	v_bfe_i32 v25, v25, 0, 8
	v_bfe_i32 v23, v23, 0, 8
	s_delay_alu instid0(VALU_DEP_4) | instskip(NEXT) | instid1(VALU_DEP_4)
	v_add_nc_u16 v31, 0xf000, v31
	v_add_nc_u16 v24, 0xf000, v24
	s_delay_alu instid0(VALU_DEP_4) | instskip(NEXT) | instid1(VALU_DEP_4)
	v_cvt_f16_i16_e32 v25, v25
	v_cvt_f16_i16_e32 v23, v23
	s_delay_alu instid0(VALU_DEP_3) | instskip(NEXT) | instid1(VALU_DEP_2)
	v_lshrrev_b32_e32 v24, 8, v24
	v_pack_b32_f16 v23, v25, v23
	v_ashrrev_i16 v25, 8, v31
	s_delay_alu instid0(VALU_DEP_3) | instskip(SKIP_1) | instid1(VALU_DEP_4)
	v_bfe_i32 v24, v24, 0, 8
	v_lshrrev_b32_e32 v31, 16, v17
	v_pk_mul_f16 v23, v23, v22
	s_delay_alu instid0(VALU_DEP_4) | instskip(NEXT) | instid1(VALU_DEP_4)
	v_cvt_f16_i16_e32 v25, v25
	v_cvt_f16_i16_e32 v24, v24
	s_delay_alu instid0(VALU_DEP_3) | instskip(NEXT) | instid1(VALU_DEP_2)
	v_pk_fma_f16 v26, v23, v30, v26
	v_pack_b32_f16 v24, v25, v24
	s_delay_alu instid0(VALU_DEP_1) | instskip(NEXT) | instid1(VALU_DEP_1)
	v_pk_mul_f16 v22, v24, v22
	v_pk_fma_f16 v27, v22, v30, v27
	v_add_nc_u64_e32 v[22:23], v[20:21], v[112:113]
	s_clause 0x2
	global_load_b32 v22, v[22:23], off offset:6
	global_load_b32 v23, v[20:21], off offset:2
	global_load_u16 v20, v[20:21], off
	s_wait_loadcnt 0x2
	v_ashrrev_i32_e32 v22, v193, v22
	s_wait_loadcnt 0x1
	v_dual_lshrrev_b32 v24, v189, v23 :: v_dual_lshrrev_b32 v25, v194, v23
	s_wait_loadcnt 0x0
	v_mul_u32_u24_e32 v20, 0x10001, v20
	v_and_b32_e32 v22, 0xf0f0f0f, v22
	s_delay_alu instid0(VALU_DEP_3) | instskip(NEXT) | instid1(VALU_DEP_1)
	v_dual_lshlrev_b32 v24, 4, v24 :: v_dual_lshlrev_b32 v25, 12, v25
	v_and_b32_e32 v24, 16, v24
	s_delay_alu instid0(VALU_DEP_2) | instskip(NEXT) | instid1(VALU_DEP_1)
	v_and_b32_e32 v25, 0x1000, v25
	v_or3_b32 v24, v24, v22, v25
	v_dual_lshrrev_b32 v25, v195, v23 :: v_dual_lshrrev_b32 v23, v196, v23
	s_delay_alu instid0(VALU_DEP_1) | instskip(NEXT) | instid1(VALU_DEP_1)
	v_dual_lshlrev_b32 v25, 20, v25 :: v_dual_lshlrev_b32 v23, 28, v23
	v_and_b32_e32 v25, 0x100000, v25
	s_delay_alu instid0(VALU_DEP_2) | instskip(NEXT) | instid1(VALU_DEP_1)
	v_and_b32_e32 v23, 0x10000000, v23
	v_or3_b32 v22, v22, v25, v23
	v_lshlrev_b16 v23, 8, v24
	s_delay_alu instid0(VALU_DEP_2) | instskip(NEXT) | instid1(VALU_DEP_2)
	v_lshrrev_b32_e32 v22, 16, v22
	v_add_nc_u16 v23, 0xf000, v23
	s_delay_alu instid0(VALU_DEP_1) | instskip(NEXT) | instid1(VALU_DEP_1)
	v_lshrrev_b16 v23, 8, v23
	v_bitop3_b16 v23, v24, v23, 0x1f00 bitop3:0xec
	s_delay_alu instid0(VALU_DEP_4) | instskip(SKIP_1) | instid1(VALU_DEP_3)
	v_lshlrev_b16 v24, 8, v22
	v_and_b32_e32 v22, 0x1f00, v22
	v_add_nc_u16 v23, 0xf000, v23
	s_delay_alu instid0(VALU_DEP_3) | instskip(NEXT) | instid1(VALU_DEP_3)
	v_add_nc_u16 v24, 0xf000, v24
	v_add_nc_u16 v22, 0xf000, v22
	s_delay_alu instid0(VALU_DEP_3) | instskip(SKIP_1) | instid1(VALU_DEP_3)
	v_lshrrev_b32_e32 v21, 8, v23
	v_bfe_i32 v23, v23, 0, 8
	v_lshrrev_b32_e32 v22, 8, v22
	s_delay_alu instid0(VALU_DEP_3) | instskip(NEXT) | instid1(VALU_DEP_3)
	v_bfe_i32 v21, v21, 0, 8
	v_cvt_f16_i16_e32 v23, v23
	s_delay_alu instid0(VALU_DEP_3) | instskip(NEXT) | instid1(VALU_DEP_3)
	v_bfe_i32 v22, v22, 0, 8
	v_cvt_f16_i16_e32 v21, v21
	s_delay_alu instid0(VALU_DEP_2) | instskip(NEXT) | instid1(VALU_DEP_2)
	v_cvt_f16_i16_e32 v22, v22
	v_pack_b32_f16 v21, v23, v21
	v_ashrrev_i16 v23, 8, v24
	s_delay_alu instid0(VALU_DEP_2) | instskip(NEXT) | instid1(VALU_DEP_2)
	v_pk_mul_f16 v21, v21, v20
	v_cvt_f16_i16_e32 v23, v23
	s_delay_alu instid0(VALU_DEP_2) | instskip(NEXT) | instid1(VALU_DEP_2)
	v_pk_fma_f16 v28, v21, v30, v28
	v_pack_b32_f16 v22, v23, v22
	s_delay_alu instid0(VALU_DEP_1) | instskip(NEXT) | instid1(VALU_DEP_1)
	v_pk_mul_f16 v20, v22, v20
	v_pk_fma_f16 v29, v20, v30, v29
	v_add_nc_u64_e32 v[20:21], s[12:13], v[146:147]
	v_lshrrev_b32_e32 v30, 16, v16
	v_and_b32_e32 v16, 0xffff, v16
	s_delay_alu instid0(VALU_DEP_3) | instskip(SKIP_1) | instid1(VALU_DEP_3)
	v_add_nc_u64_e32 v[22:23], v[20:21], v[168:169]
	v_add_nc_u64_e32 v[20:21], v[20:21], v[166:167]
	v_mul_u32_u24_e32 v16, 0x10001, v16
	s_delay_alu instid0(VALU_DEP_3)
	v_add_nc_u64_e32 v[24:25], v[22:23], v[88:89]
	s_clause 0x2
	global_load_b32 v24, v[24:25], off offset:6
	global_load_b32 v25, v[22:23], off offset:2
	global_load_u16 v22, v[22:23], off
	s_wait_loadcnt 0x1
	v_dual_ashrrev_i32 v24, v193, v24 :: v_dual_lshrrev_b32 v201, v194, v25
	v_lshrrev_b32_e32 v200, v189, v25
	s_wait_loadcnt 0x0
	v_mul_u32_u24_e32 v22, 0x10001, v22
	s_delay_alu instid0(VALU_DEP_3) | instskip(NEXT) | instid1(VALU_DEP_3)
	v_and_b32_e32 v24, 0xf0f0f0f, v24
	v_dual_lshlrev_b32 v201, 12, v201 :: v_dual_lshlrev_b32 v200, 4, v200
	s_delay_alu instid0(VALU_DEP_1) | instskip(NEXT) | instid1(VALU_DEP_2)
	v_and_b32_e32 v201, 0x1000, v201
	v_and_b32_e32 v200, 16, v200
	s_delay_alu instid0(VALU_DEP_1) | instskip(SKIP_1) | instid1(VALU_DEP_1)
	v_or3_b32 v200, v200, v24, v201
	v_dual_lshrrev_b32 v201, v195, v25 :: v_dual_lshrrev_b32 v25, v196, v25
	v_lshlrev_b32_e32 v201, 20, v201
	s_delay_alu instid0(VALU_DEP_2) | instskip(NEXT) | instid1(VALU_DEP_2)
	v_lshlrev_b32_e32 v25, 28, v25
	v_and_b32_e32 v201, 0x100000, v201
	s_delay_alu instid0(VALU_DEP_2) | instskip(NEXT) | instid1(VALU_DEP_1)
	v_and_b32_e32 v25, 0x10000000, v25
	v_or3_b32 v24, v24, v201, v25
	v_lshlrev_b16 v25, 8, v200
	s_delay_alu instid0(VALU_DEP_2) | instskip(NEXT) | instid1(VALU_DEP_2)
	v_lshrrev_b32_e32 v24, 16, v24
	v_add_nc_u16 v25, 0xf000, v25
	s_delay_alu instid0(VALU_DEP_1) | instskip(NEXT) | instid1(VALU_DEP_1)
	v_lshrrev_b16 v25, 8, v25
	v_bitop3_b16 v25, v200, v25, 0x1f00 bitop3:0xec
	s_delay_alu instid0(VALU_DEP_4) | instskip(SKIP_1) | instid1(VALU_DEP_3)
	v_lshlrev_b16 v200, 8, v24
	v_and_b32_e32 v24, 0x1f00, v24
	v_add_nc_u16 v25, 0xf000, v25
	s_delay_alu instid0(VALU_DEP_3) | instskip(NEXT) | instid1(VALU_DEP_3)
	v_add_nc_u16 v200, 0xf000, v200
	v_add_nc_u16 v24, 0xf000, v24
	s_delay_alu instid0(VALU_DEP_3) | instskip(SKIP_1) | instid1(VALU_DEP_3)
	v_lshrrev_b32_e32 v23, 8, v25
	v_bfe_i32 v25, v25, 0, 8
	v_lshrrev_b32_e32 v24, 8, v24
	s_delay_alu instid0(VALU_DEP_3) | instskip(NEXT) | instid1(VALU_DEP_3)
	v_bfe_i32 v23, v23, 0, 8
	v_cvt_f16_i16_e32 v25, v25
	s_delay_alu instid0(VALU_DEP_3) | instskip(NEXT) | instid1(VALU_DEP_3)
	v_bfe_i32 v24, v24, 0, 8
	v_cvt_f16_i16_e32 v23, v23
	s_delay_alu instid0(VALU_DEP_2) | instskip(NEXT) | instid1(VALU_DEP_2)
	v_cvt_f16_i16_e32 v24, v24
	v_pack_b32_f16 v23, v25, v23
	v_ashrrev_i16 v25, 8, v200
	s_delay_alu instid0(VALU_DEP_2) | instskip(NEXT) | instid1(VALU_DEP_2)
	v_pk_mul_f16 v23, v23, v22
	v_cvt_f16_i16_e32 v25, v25
	s_delay_alu instid0(VALU_DEP_2) | instskip(NEXT) | instid1(VALU_DEP_2)
	v_pk_fma_f16 v26, v23, v16, v26
	v_pack_b32_f16 v24, v25, v24
	s_delay_alu instid0(VALU_DEP_1) | instskip(NEXT) | instid1(VALU_DEP_1)
	v_pk_mul_f16 v22, v24, v22
	v_pk_fma_f16 v27, v22, v16, v27
	v_add_nc_u64_e32 v[22:23], v[20:21], v[112:113]
	s_clause 0x2
	global_load_b32 v22, v[22:23], off offset:6
	global_load_b32 v23, v[20:21], off offset:2
	global_load_u16 v20, v[20:21], off
	s_wait_loadcnt 0x2
	v_ashrrev_i32_e32 v22, v193, v22
	s_wait_loadcnt 0x1
	v_dual_lshrrev_b32 v24, v189, v23 :: v_dual_lshrrev_b32 v25, v194, v23
	s_wait_loadcnt 0x0
	v_mul_u32_u24_e32 v20, 0x10001, v20
	v_and_b32_e32 v22, 0xf0f0f0f, v22
	s_delay_alu instid0(VALU_DEP_3) | instskip(NEXT) | instid1(VALU_DEP_1)
	v_dual_lshlrev_b32 v24, 4, v24 :: v_dual_lshlrev_b32 v25, 12, v25
	v_and_b32_e32 v24, 16, v24
	s_delay_alu instid0(VALU_DEP_2) | instskip(NEXT) | instid1(VALU_DEP_1)
	v_and_b32_e32 v25, 0x1000, v25
	v_or3_b32 v24, v24, v22, v25
	v_dual_lshrrev_b32 v25, v195, v23 :: v_dual_lshrrev_b32 v23, v196, v23
	s_delay_alu instid0(VALU_DEP_1) | instskip(NEXT) | instid1(VALU_DEP_1)
	v_dual_lshlrev_b32 v25, 20, v25 :: v_dual_lshlrev_b32 v23, 28, v23
	v_and_b32_e32 v25, 0x100000, v25
	s_delay_alu instid0(VALU_DEP_2) | instskip(NEXT) | instid1(VALU_DEP_1)
	v_and_b32_e32 v23, 0x10000000, v23
	v_or3_b32 v22, v22, v25, v23
	v_lshlrev_b16 v23, 8, v24
	s_delay_alu instid0(VALU_DEP_2) | instskip(NEXT) | instid1(VALU_DEP_2)
	v_lshrrev_b32_e32 v22, 16, v22
	v_add_nc_u16 v23, 0xf000, v23
	s_delay_alu instid0(VALU_DEP_1) | instskip(NEXT) | instid1(VALU_DEP_1)
	v_lshrrev_b16 v23, 8, v23
	v_bitop3_b16 v23, v24, v23, 0x1f00 bitop3:0xec
	s_delay_alu instid0(VALU_DEP_4) | instskip(SKIP_1) | instid1(VALU_DEP_3)
	v_lshlrev_b16 v24, 8, v22
	v_and_b32_e32 v22, 0x1f00, v22
	v_add_nc_u16 v23, 0xf000, v23
	s_delay_alu instid0(VALU_DEP_3) | instskip(NEXT) | instid1(VALU_DEP_3)
	v_add_nc_u16 v24, 0xf000, v24
	v_add_nc_u16 v22, 0xf000, v22
	s_delay_alu instid0(VALU_DEP_3) | instskip(SKIP_1) | instid1(VALU_DEP_3)
	v_lshrrev_b32_e32 v21, 8, v23
	v_bfe_i32 v23, v23, 0, 8
	v_lshrrev_b32_e32 v22, 8, v22
	s_delay_alu instid0(VALU_DEP_3) | instskip(NEXT) | instid1(VALU_DEP_3)
	v_bfe_i32 v21, v21, 0, 8
	v_cvt_f16_i16_e32 v23, v23
	s_delay_alu instid0(VALU_DEP_3) | instskip(NEXT) | instid1(VALU_DEP_3)
	v_bfe_i32 v22, v22, 0, 8
	v_cvt_f16_i16_e32 v21, v21
	s_delay_alu instid0(VALU_DEP_2) | instskip(NEXT) | instid1(VALU_DEP_2)
	v_cvt_f16_i16_e32 v22, v22
	v_pack_b32_f16 v21, v23, v21
	v_ashrrev_i16 v23, 8, v24
	s_delay_alu instid0(VALU_DEP_2) | instskip(NEXT) | instid1(VALU_DEP_2)
	v_pk_mul_f16 v21, v21, v20
	v_cvt_f16_i16_e32 v23, v23
	s_delay_alu instid0(VALU_DEP_2) | instskip(NEXT) | instid1(VALU_DEP_2)
	v_pk_fma_f16 v28, v21, v16, v28
	v_pack_b32_f16 v22, v23, v22
	s_delay_alu instid0(VALU_DEP_1) | instskip(NEXT) | instid1(VALU_DEP_1)
	v_pk_mul_f16 v20, v22, v20
	v_pk_fma_f16 v16, v20, v16, v29
	v_add_nc_u64_e32 v[20:21], s[12:13], v[148:149]
	v_mul_u32_u24_e32 v29, 0x10001, v30
	s_delay_alu instid0(VALU_DEP_2) | instskip(SKIP_1) | instid1(VALU_DEP_2)
	v_add_nc_u64_e32 v[22:23], v[20:21], v[168:169]
	v_add_nc_u64_e32 v[20:21], v[20:21], v[166:167]
	;; [unrolled: 1-line block ×3, first 2 shown]
	s_clause 0x2
	global_load_b32 v24, v[24:25], off offset:6
	global_load_b32 v25, v[22:23], off offset:2
	global_load_u16 v22, v[22:23], off
	s_wait_loadcnt 0x1
	v_dual_lshrrev_b32 v30, v189, v25 :: v_dual_lshrrev_b32 v200, v194, v25
	v_ashrrev_i32_e32 v24, v193, v24
	s_wait_loadcnt 0x0
	v_mul_u32_u24_e32 v22, 0x10001, v22
	s_delay_alu instid0(VALU_DEP_3) | instskip(NEXT) | instid1(VALU_DEP_3)
	v_dual_lshlrev_b32 v30, 4, v30 :: v_dual_lshlrev_b32 v200, 12, v200
	v_and_b32_e32 v24, 0xf0f0f0f, v24
	s_delay_alu instid0(VALU_DEP_2) | instskip(NEXT) | instid1(VALU_DEP_3)
	v_and_b32_e32 v30, 16, v30
	v_and_b32_e32 v200, 0x1000, v200
	s_delay_alu instid0(VALU_DEP_1) | instskip(SKIP_1) | instid1(VALU_DEP_1)
	v_or3_b32 v30, v30, v24, v200
	v_dual_lshrrev_b32 v200, v195, v25 :: v_dual_lshrrev_b32 v25, v196, v25
	v_dual_lshlrev_b32 v200, 20, v200 :: v_dual_lshlrev_b32 v25, 28, v25
	s_delay_alu instid0(VALU_DEP_1) | instskip(NEXT) | instid1(VALU_DEP_2)
	v_and_b32_e32 v200, 0x100000, v200
	v_and_b32_e32 v25, 0x10000000, v25
	s_delay_alu instid0(VALU_DEP_1) | instskip(SKIP_1) | instid1(VALU_DEP_1)
	v_or3_b32 v24, v24, v200, v25
	v_lshlrev_b16 v25, 8, v30
	v_add_nc_u16 v25, 0xf000, v25
	s_delay_alu instid0(VALU_DEP_1) | instskip(NEXT) | instid1(VALU_DEP_1)
	v_lshrrev_b16 v25, 8, v25
	v_bitop3_b16 v25, v30, v25, 0x1f00 bitop3:0xec
	s_delay_alu instid0(VALU_DEP_1) | instskip(NEXT) | instid1(VALU_DEP_1)
	v_add_nc_u16 v25, 0xf000, v25
	v_dual_lshrrev_b32 v24, 16, v24 :: v_dual_lshrrev_b32 v23, 8, v25
	s_delay_alu instid0(VALU_DEP_1) | instskip(SKIP_2) | instid1(VALU_DEP_4)
	v_lshlrev_b16 v30, 8, v24
	v_and_b32_e32 v24, 0x1f00, v24
	v_bfe_i32 v25, v25, 0, 8
	v_bfe_i32 v23, v23, 0, 8
	s_delay_alu instid0(VALU_DEP_4) | instskip(NEXT) | instid1(VALU_DEP_4)
	v_add_nc_u16 v30, 0xf000, v30
	v_add_nc_u16 v24, 0xf000, v24
	s_delay_alu instid0(VALU_DEP_4) | instskip(NEXT) | instid1(VALU_DEP_4)
	v_cvt_f16_i16_e32 v25, v25
	v_cvt_f16_i16_e32 v23, v23
	s_delay_alu instid0(VALU_DEP_3) | instskip(NEXT) | instid1(VALU_DEP_2)
	v_lshrrev_b32_e32 v24, 8, v24
	v_pack_b32_f16 v23, v25, v23
	v_ashrrev_i16 v25, 8, v30
	s_delay_alu instid0(VALU_DEP_3) | instskip(NEXT) | instid1(VALU_DEP_3)
	v_bfe_i32 v24, v24, 0, 8
	v_pk_mul_f16 v23, v23, v22
	s_delay_alu instid0(VALU_DEP_3) | instskip(NEXT) | instid1(VALU_DEP_3)
	v_cvt_f16_i16_e32 v25, v25
	v_cvt_f16_i16_e32 v24, v24
	s_delay_alu instid0(VALU_DEP_1) | instskip(NEXT) | instid1(VALU_DEP_1)
	v_pack_b32_f16 v24, v25, v24
	v_pk_mul_f16 v22, v24, v22
	v_pk_fma_f16 v24, v23, v29, v26
	s_delay_alu instid0(VALU_DEP_2)
	v_pk_fma_f16 v25, v22, v29, v27
	v_add_nc_u64_e32 v[22:23], v[20:21], v[112:113]
	s_clause 0x2
	global_load_b32 v22, v[22:23], off offset:6
	global_load_b32 v23, v[20:21], off offset:2
	global_load_u16 v20, v[20:21], off
	s_wait_loadcnt 0x2
	v_ashrrev_i32_e32 v22, v193, v22
	s_wait_loadcnt 0x1
	v_dual_lshrrev_b32 v26, v189, v23 :: v_dual_lshrrev_b32 v27, v194, v23
	s_wait_loadcnt 0x0
	v_mul_u32_u24_e32 v20, 0x10001, v20
	v_and_b32_e32 v22, 0xf0f0f0f, v22
	s_delay_alu instid0(VALU_DEP_3) | instskip(NEXT) | instid1(VALU_DEP_1)
	v_dual_lshlrev_b32 v26, 4, v26 :: v_dual_lshlrev_b32 v27, 12, v27
	v_and_b32_e32 v26, 16, v26
	s_delay_alu instid0(VALU_DEP_2) | instskip(NEXT) | instid1(VALU_DEP_1)
	v_and_b32_e32 v27, 0x1000, v27
	v_or3_b32 v26, v26, v22, v27
	v_dual_lshrrev_b32 v27, v195, v23 :: v_dual_lshrrev_b32 v23, v196, v23
	s_delay_alu instid0(VALU_DEP_1) | instskip(NEXT) | instid1(VALU_DEP_2)
	v_lshlrev_b32_e32 v27, 20, v27
	v_lshlrev_b32_e32 v23, 28, v23
	s_delay_alu instid0(VALU_DEP_2) | instskip(NEXT) | instid1(VALU_DEP_2)
	v_and_b32_e32 v27, 0x100000, v27
	v_and_b32_e32 v23, 0x10000000, v23
	s_delay_alu instid0(VALU_DEP_1) | instskip(SKIP_1) | instid1(VALU_DEP_2)
	v_or3_b32 v22, v22, v27, v23
	v_lshlrev_b16 v23, 8, v26
	v_lshrrev_b32_e32 v22, 16, v22
	s_delay_alu instid0(VALU_DEP_2) | instskip(NEXT) | instid1(VALU_DEP_1)
	v_add_nc_u16 v23, 0xf000, v23
	v_lshrrev_b16 v23, 8, v23
	s_delay_alu instid0(VALU_DEP_1) | instskip(NEXT) | instid1(VALU_DEP_4)
	v_bitop3_b16 v23, v26, v23, 0x1f00 bitop3:0xec
	v_lshlrev_b16 v26, 8, v22
	v_and_b32_e32 v22, 0x1f00, v22
	s_delay_alu instid0(VALU_DEP_3) | instskip(NEXT) | instid1(VALU_DEP_3)
	v_add_nc_u16 v23, 0xf000, v23
	v_add_nc_u16 v26, 0xf000, v26
	s_delay_alu instid0(VALU_DEP_3) | instskip(NEXT) | instid1(VALU_DEP_3)
	v_add_nc_u16 v22, 0xf000, v22
	v_lshrrev_b32_e32 v21, 8, v23
	v_bfe_i32 v23, v23, 0, 8
	s_delay_alu instid0(VALU_DEP_3) | instskip(NEXT) | instid1(VALU_DEP_3)
	v_lshrrev_b32_e32 v22, 8, v22
	v_bfe_i32 v21, v21, 0, 8
	s_delay_alu instid0(VALU_DEP_3) | instskip(NEXT) | instid1(VALU_DEP_3)
	v_cvt_f16_i16_e32 v23, v23
	v_bfe_i32 v22, v22, 0, 8
	s_delay_alu instid0(VALU_DEP_3) | instskip(NEXT) | instid1(VALU_DEP_2)
	v_cvt_f16_i16_e32 v21, v21
	v_cvt_f16_i16_e32 v22, v22
	s_delay_alu instid0(VALU_DEP_2) | instskip(SKIP_1) | instid1(VALU_DEP_2)
	v_pack_b32_f16 v21, v23, v21
	v_ashrrev_i16 v23, 8, v26
	v_pk_mul_f16 v21, v21, v20
	s_delay_alu instid0(VALU_DEP_2) | instskip(NEXT) | instid1(VALU_DEP_2)
	v_cvt_f16_i16_e32 v23, v23
	v_pk_fma_f16 v26, v21, v29, v28
	s_delay_alu instid0(VALU_DEP_2) | instskip(NEXT) | instid1(VALU_DEP_1)
	v_pack_b32_f16 v22, v23, v22
	v_pk_mul_f16 v20, v22, v20
	s_delay_alu instid0(VALU_DEP_1) | instskip(SKIP_1) | instid1(VALU_DEP_1)
	v_pk_fma_f16 v27, v20, v29, v16
	v_and_b32_e32 v16, 0xffff, v17
	v_mul_u32_u24_e32 v28, 0x10001, v16
	v_add_nc_u64_e32 v[16:17], s[12:13], v[150:151]
	s_delay_alu instid0(VALU_DEP_1) | instskip(SKIP_1) | instid1(VALU_DEP_2)
	v_add_nc_u64_e32 v[20:21], v[16:17], v[168:169]
	v_add_nc_u64_e32 v[16:17], v[16:17], v[166:167]
	;; [unrolled: 1-line block ×3, first 2 shown]
	s_clause 0x2
	global_load_b32 v22, v[22:23], off offset:6
	global_load_b32 v23, v[20:21], off offset:2
	global_load_u16 v20, v[20:21], off
	s_wait_loadcnt 0x2
	v_ashrrev_i32_e32 v22, v193, v22
	s_wait_loadcnt 0x1
	v_dual_lshrrev_b32 v29, v189, v23 :: v_dual_lshrrev_b32 v30, v194, v23
	s_wait_loadcnt 0x0
	v_mul_u32_u24_e32 v20, 0x10001, v20
	v_and_b32_e32 v22, 0xf0f0f0f, v22
	s_delay_alu instid0(VALU_DEP_3) | instskip(NEXT) | instid1(VALU_DEP_1)
	v_dual_lshlrev_b32 v29, 4, v29 :: v_dual_lshlrev_b32 v30, 12, v30
	v_and_b32_e32 v29, 16, v29
	s_delay_alu instid0(VALU_DEP_2) | instskip(NEXT) | instid1(VALU_DEP_1)
	v_and_b32_e32 v30, 0x1000, v30
	v_or3_b32 v29, v29, v22, v30
	v_dual_lshrrev_b32 v30, v195, v23 :: v_dual_lshrrev_b32 v23, v196, v23
	s_delay_alu instid0(VALU_DEP_1) | instskip(NEXT) | instid1(VALU_DEP_1)
	v_dual_lshlrev_b32 v30, 20, v30 :: v_dual_lshlrev_b32 v23, 28, v23
	v_and_b32_e32 v30, 0x100000, v30
	s_delay_alu instid0(VALU_DEP_2) | instskip(NEXT) | instid1(VALU_DEP_1)
	v_and_b32_e32 v23, 0x10000000, v23
	v_or3_b32 v22, v22, v30, v23
	v_lshlrev_b16 v23, 8, v29
	s_delay_alu instid0(VALU_DEP_1) | instskip(NEXT) | instid1(VALU_DEP_1)
	v_add_nc_u16 v23, 0xf000, v23
	v_lshrrev_b16 v23, 8, v23
	s_delay_alu instid0(VALU_DEP_1) | instskip(NEXT) | instid1(VALU_DEP_1)
	v_bitop3_b16 v23, v29, v23, 0x1f00 bitop3:0xec
	v_add_nc_u16 v23, 0xf000, v23
	s_delay_alu instid0(VALU_DEP_1) | instskip(NEXT) | instid1(VALU_DEP_1)
	v_dual_lshrrev_b32 v22, 16, v22 :: v_dual_lshrrev_b32 v21, 8, v23
	v_lshlrev_b16 v29, 8, v22
	v_and_b32_e32 v22, 0x1f00, v22
	v_bfe_i32 v23, v23, 0, 8
	s_delay_alu instid0(VALU_DEP_4) | instskip(NEXT) | instid1(VALU_DEP_4)
	v_bfe_i32 v21, v21, 0, 8
	v_add_nc_u16 v29, 0xf000, v29
	s_delay_alu instid0(VALU_DEP_4) | instskip(NEXT) | instid1(VALU_DEP_4)
	v_add_nc_u16 v22, 0xf000, v22
	v_cvt_f16_i16_e32 v23, v23
	s_delay_alu instid0(VALU_DEP_4) | instskip(NEXT) | instid1(VALU_DEP_3)
	v_cvt_f16_i16_e32 v21, v21
	v_lshrrev_b32_e32 v22, 8, v22
	s_delay_alu instid0(VALU_DEP_2) | instskip(SKIP_1) | instid1(VALU_DEP_3)
	v_pack_b32_f16 v21, v23, v21
	v_ashrrev_i16 v23, 8, v29
	v_bfe_i32 v22, v22, 0, 8
	s_delay_alu instid0(VALU_DEP_3) | instskip(NEXT) | instid1(VALU_DEP_3)
	v_pk_mul_f16 v21, v21, v20
	v_cvt_f16_i16_e32 v23, v23
	s_delay_alu instid0(VALU_DEP_3) | instskip(NEXT) | instid1(VALU_DEP_3)
	v_cvt_f16_i16_e32 v22, v22
	v_pk_fma_f16 v24, v21, v28, v24
	s_delay_alu instid0(VALU_DEP_2) | instskip(NEXT) | instid1(VALU_DEP_1)
	v_pack_b32_f16 v22, v23, v22
	v_pk_mul_f16 v20, v22, v20
	s_delay_alu instid0(VALU_DEP_1)
	v_pk_fma_f16 v25, v20, v28, v25
	v_add_nc_u64_e32 v[20:21], v[16:17], v[112:113]
	s_clause 0x2
	global_load_b32 v20, v[20:21], off offset:6
	global_load_b32 v21, v[16:17], off offset:2
	global_load_u16 v16, v[16:17], off
	s_wait_loadcnt 0x2
	v_ashrrev_i32_e32 v20, v193, v20
	s_wait_loadcnt 0x1
	v_dual_lshrrev_b32 v22, v189, v21 :: v_dual_lshrrev_b32 v23, v194, v21
	s_wait_loadcnt 0x0
	v_mul_u32_u24_e32 v16, 0x10001, v16
	v_and_b32_e32 v20, 0xf0f0f0f, v20
	s_delay_alu instid0(VALU_DEP_3) | instskip(NEXT) | instid1(VALU_DEP_1)
	v_dual_lshlrev_b32 v22, 4, v22 :: v_dual_lshlrev_b32 v23, 12, v23
	v_and_b32_e32 v22, 16, v22
	s_delay_alu instid0(VALU_DEP_2) | instskip(NEXT) | instid1(VALU_DEP_1)
	v_and_b32_e32 v23, 0x1000, v23
	v_or3_b32 v22, v22, v20, v23
	v_dual_lshrrev_b32 v23, v195, v21 :: v_dual_lshrrev_b32 v21, v196, v21
	s_delay_alu instid0(VALU_DEP_1) | instskip(NEXT) | instid1(VALU_DEP_1)
	v_dual_lshlrev_b32 v23, 20, v23 :: v_dual_lshlrev_b32 v21, 28, v21
	v_and_b32_e32 v23, 0x100000, v23
	s_delay_alu instid0(VALU_DEP_2) | instskip(NEXT) | instid1(VALU_DEP_1)
	v_and_b32_e32 v21, 0x10000000, v21
	v_or3_b32 v20, v20, v23, v21
	v_lshlrev_b16 v21, 8, v22
	s_delay_alu instid0(VALU_DEP_2) | instskip(NEXT) | instid1(VALU_DEP_2)
	v_lshrrev_b32_e32 v20, 16, v20
	v_add_nc_u16 v21, 0xf000, v21
	s_delay_alu instid0(VALU_DEP_1) | instskip(NEXT) | instid1(VALU_DEP_1)
	v_lshrrev_b16 v21, 8, v21
	v_bitop3_b16 v21, v22, v21, 0x1f00 bitop3:0xec
	s_delay_alu instid0(VALU_DEP_4) | instskip(SKIP_1) | instid1(VALU_DEP_3)
	v_lshlrev_b16 v22, 8, v20
	v_and_b32_e32 v20, 0x1f00, v20
	v_add_nc_u16 v21, 0xf000, v21
	s_delay_alu instid0(VALU_DEP_3) | instskip(NEXT) | instid1(VALU_DEP_3)
	v_add_nc_u16 v22, 0xf000, v22
	v_add_nc_u16 v20, 0xf000, v20
	s_delay_alu instid0(VALU_DEP_3) | instskip(SKIP_1) | instid1(VALU_DEP_3)
	v_lshrrev_b32_e32 v17, 8, v21
	v_bfe_i32 v21, v21, 0, 8
	v_lshrrev_b32_e32 v20, 8, v20
	s_delay_alu instid0(VALU_DEP_3) | instskip(NEXT) | instid1(VALU_DEP_3)
	v_bfe_i32 v17, v17, 0, 8
	v_cvt_f16_i16_e32 v21, v21
	s_delay_alu instid0(VALU_DEP_3) | instskip(NEXT) | instid1(VALU_DEP_3)
	v_bfe_i32 v20, v20, 0, 8
	v_cvt_f16_i16_e32 v17, v17
	s_delay_alu instid0(VALU_DEP_2) | instskip(NEXT) | instid1(VALU_DEP_2)
	v_cvt_f16_i16_e32 v20, v20
	v_pack_b32_f16 v17, v21, v17
	v_ashrrev_i16 v21, 8, v22
	s_delay_alu instid0(VALU_DEP_2) | instskip(NEXT) | instid1(VALU_DEP_2)
	v_pk_mul_f16 v17, v17, v16
	v_cvt_f16_i16_e32 v21, v21
	s_delay_alu instid0(VALU_DEP_2) | instskip(NEXT) | instid1(VALU_DEP_2)
	v_pk_fma_f16 v26, v17, v28, v26
	v_pack_b32_f16 v20, v21, v20
	s_delay_alu instid0(VALU_DEP_1) | instskip(NEXT) | instid1(VALU_DEP_1)
	v_pk_mul_f16 v16, v20, v16
	v_pk_fma_f16 v27, v16, v28, v27
	v_add_nc_u64_e32 v[16:17], s[12:13], v[152:153]
	v_mul_u32_u24_e32 v28, 0x10001, v31
	s_delay_alu instid0(VALU_DEP_2) | instskip(SKIP_1) | instid1(VALU_DEP_2)
	v_add_nc_u64_e32 v[20:21], v[16:17], v[168:169]
	v_add_nc_u64_e32 v[16:17], v[16:17], v[166:167]
	;; [unrolled: 1-line block ×3, first 2 shown]
	s_clause 0x2
	global_load_b32 v22, v[22:23], off offset:6
	global_load_b32 v23, v[20:21], off offset:2
	global_load_u16 v20, v[20:21], off
	s_wait_loadcnt 0x1
	v_dual_lshrrev_b32 v29, v189, v23 :: v_dual_lshrrev_b32 v30, v194, v23
	v_ashrrev_i32_e32 v22, v193, v22
	s_wait_loadcnt 0x0
	v_mul_u32_u24_e32 v20, 0x10001, v20
	s_delay_alu instid0(VALU_DEP_3) | instskip(NEXT) | instid1(VALU_DEP_3)
	v_dual_lshlrev_b32 v29, 4, v29 :: v_dual_lshlrev_b32 v30, 12, v30
	v_and_b32_e32 v22, 0xf0f0f0f, v22
	s_delay_alu instid0(VALU_DEP_2) | instskip(NEXT) | instid1(VALU_DEP_3)
	v_and_b32_e32 v29, 16, v29
	v_and_b32_e32 v30, 0x1000, v30
	s_delay_alu instid0(VALU_DEP_1) | instskip(SKIP_1) | instid1(VALU_DEP_1)
	v_or3_b32 v29, v29, v22, v30
	v_dual_lshrrev_b32 v30, v195, v23 :: v_dual_lshrrev_b32 v23, v196, v23
	v_dual_lshlrev_b32 v30, 20, v30 :: v_dual_lshlrev_b32 v23, 28, v23
	s_delay_alu instid0(VALU_DEP_1) | instskip(NEXT) | instid1(VALU_DEP_2)
	v_and_b32_e32 v30, 0x100000, v30
	v_and_b32_e32 v23, 0x10000000, v23
	s_delay_alu instid0(VALU_DEP_1) | instskip(SKIP_1) | instid1(VALU_DEP_1)
	v_or3_b32 v22, v22, v30, v23
	v_lshlrev_b16 v23, 8, v29
	v_add_nc_u16 v23, 0xf000, v23
	s_delay_alu instid0(VALU_DEP_1) | instskip(NEXT) | instid1(VALU_DEP_1)
	v_lshrrev_b16 v23, 8, v23
	v_bitop3_b16 v23, v29, v23, 0x1f00 bitop3:0xec
	s_delay_alu instid0(VALU_DEP_1) | instskip(NEXT) | instid1(VALU_DEP_1)
	v_add_nc_u16 v23, 0xf000, v23
	v_dual_lshrrev_b32 v22, 16, v22 :: v_dual_lshrrev_b32 v21, 8, v23
	s_delay_alu instid0(VALU_DEP_1) | instskip(SKIP_2) | instid1(VALU_DEP_4)
	v_lshlrev_b16 v29, 8, v22
	v_and_b32_e32 v22, 0x1f00, v22
	v_bfe_i32 v23, v23, 0, 8
	v_bfe_i32 v21, v21, 0, 8
	s_delay_alu instid0(VALU_DEP_4) | instskip(NEXT) | instid1(VALU_DEP_4)
	v_add_nc_u16 v29, 0xf000, v29
	v_add_nc_u16 v22, 0xf000, v22
	s_delay_alu instid0(VALU_DEP_4) | instskip(NEXT) | instid1(VALU_DEP_4)
	v_cvt_f16_i16_e32 v23, v23
	v_cvt_f16_i16_e32 v21, v21
	s_delay_alu instid0(VALU_DEP_3) | instskip(NEXT) | instid1(VALU_DEP_2)
	v_lshrrev_b32_e32 v22, 8, v22
	v_pack_b32_f16 v21, v23, v21
	v_ashrrev_i16 v23, 8, v29
	s_delay_alu instid0(VALU_DEP_3) | instskip(NEXT) | instid1(VALU_DEP_3)
	v_bfe_i32 v22, v22, 0, 8
	v_pk_mul_f16 v21, v21, v20
	s_delay_alu instid0(VALU_DEP_3) | instskip(NEXT) | instid1(VALU_DEP_3)
	v_cvt_f16_i16_e32 v23, v23
	v_cvt_f16_i16_e32 v22, v22
	s_delay_alu instid0(VALU_DEP_3) | instskip(NEXT) | instid1(VALU_DEP_2)
	v_pk_fma_f16 v24, v21, v28, v24
	v_pack_b32_f16 v22, v23, v22
	s_delay_alu instid0(VALU_DEP_1) | instskip(NEXT) | instid1(VALU_DEP_1)
	v_pk_mul_f16 v20, v22, v20
	v_pk_fma_f16 v25, v20, v28, v25
	v_add_nc_u64_e32 v[20:21], v[16:17], v[112:113]
	s_clause 0x2
	global_load_b32 v20, v[20:21], off offset:6
	global_load_b32 v21, v[16:17], off offset:2
	global_load_u16 v16, v[16:17], off
	s_wait_loadcnt 0x2
	v_ashrrev_i32_e32 v20, v193, v20
	s_wait_loadcnt 0x1
	v_dual_lshrrev_b32 v22, v189, v21 :: v_dual_lshrrev_b32 v23, v194, v21
	s_wait_loadcnt 0x0
	v_mul_u32_u24_e32 v16, 0x10001, v16
	v_and_b32_e32 v20, 0xf0f0f0f, v20
	s_delay_alu instid0(VALU_DEP_3) | instskip(NEXT) | instid1(VALU_DEP_1)
	v_dual_lshlrev_b32 v22, 4, v22 :: v_dual_lshlrev_b32 v23, 12, v23
	v_and_b32_e32 v22, 16, v22
	s_delay_alu instid0(VALU_DEP_2) | instskip(NEXT) | instid1(VALU_DEP_1)
	v_and_b32_e32 v23, 0x1000, v23
	v_or3_b32 v22, v22, v20, v23
	v_dual_lshrrev_b32 v23, v195, v21 :: v_dual_lshrrev_b32 v21, v196, v21
	s_delay_alu instid0(VALU_DEP_1) | instskip(NEXT) | instid1(VALU_DEP_1)
	v_dual_lshlrev_b32 v23, 20, v23 :: v_dual_lshlrev_b32 v21, 28, v21
	v_and_b32_e32 v23, 0x100000, v23
	s_delay_alu instid0(VALU_DEP_2) | instskip(NEXT) | instid1(VALU_DEP_1)
	v_and_b32_e32 v21, 0x10000000, v21
	v_or3_b32 v20, v20, v23, v21
	v_lshlrev_b16 v21, 8, v22
	s_delay_alu instid0(VALU_DEP_2) | instskip(NEXT) | instid1(VALU_DEP_2)
	v_lshrrev_b32_e32 v20, 16, v20
	v_add_nc_u16 v21, 0xf000, v21
	s_delay_alu instid0(VALU_DEP_1) | instskip(NEXT) | instid1(VALU_DEP_1)
	v_lshrrev_b16 v21, 8, v21
	v_bitop3_b16 v21, v22, v21, 0x1f00 bitop3:0xec
	s_delay_alu instid0(VALU_DEP_4) | instskip(SKIP_1) | instid1(VALU_DEP_3)
	v_lshlrev_b16 v22, 8, v20
	v_and_b32_e32 v20, 0x1f00, v20
	v_add_nc_u16 v21, 0xf000, v21
	s_delay_alu instid0(VALU_DEP_3) | instskip(NEXT) | instid1(VALU_DEP_3)
	v_add_nc_u16 v22, 0xf000, v22
	v_add_nc_u16 v20, 0xf000, v20
	s_delay_alu instid0(VALU_DEP_3) | instskip(SKIP_1) | instid1(VALU_DEP_3)
	v_lshrrev_b32_e32 v17, 8, v21
	v_bfe_i32 v21, v21, 0, 8
	v_lshrrev_b32_e32 v20, 8, v20
	s_delay_alu instid0(VALU_DEP_3) | instskip(NEXT) | instid1(VALU_DEP_3)
	v_bfe_i32 v17, v17, 0, 8
	v_cvt_f16_i16_e32 v21, v21
	s_delay_alu instid0(VALU_DEP_3) | instskip(NEXT) | instid1(VALU_DEP_3)
	v_bfe_i32 v20, v20, 0, 8
	v_cvt_f16_i16_e32 v17, v17
	s_delay_alu instid0(VALU_DEP_2) | instskip(NEXT) | instid1(VALU_DEP_2)
	v_cvt_f16_i16_e32 v20, v20
	v_pack_b32_f16 v17, v21, v17
	v_ashrrev_i16 v21, 8, v22
	s_delay_alu instid0(VALU_DEP_2) | instskip(NEXT) | instid1(VALU_DEP_2)
	v_pk_mul_f16 v17, v17, v16
	v_cvt_f16_i16_e32 v21, v21
	s_delay_alu instid0(VALU_DEP_2) | instskip(NEXT) | instid1(VALU_DEP_2)
	v_pk_fma_f16 v26, v17, v28, v26
	v_pack_b32_f16 v20, v21, v20
	s_delay_alu instid0(VALU_DEP_1) | instskip(NEXT) | instid1(VALU_DEP_1)
	v_pk_mul_f16 v16, v20, v16
	v_pk_fma_f16 v27, v16, v28, v27
	v_and_b32_e32 v16, 0xffff, v18
	s_delay_alu instid0(VALU_DEP_1) | instskip(SKIP_1) | instid1(VALU_DEP_1)
	v_mul_u32_u24_e32 v18, 0x10001, v16
	v_add_nc_u64_e32 v[16:17], s[12:13], v[154:155]
	v_add_nc_u64_e32 v[20:21], v[16:17], v[168:169]
	;; [unrolled: 1-line block ×3, first 2 shown]
	s_delay_alu instid0(VALU_DEP_2)
	v_add_nc_u64_e32 v[22:23], v[20:21], v[88:89]
	s_clause 0x2
	global_load_b32 v22, v[22:23], off offset:6
	global_load_b32 v23, v[20:21], off offset:2
	global_load_u16 v20, v[20:21], off
	s_wait_loadcnt 0x1
	v_dual_lshrrev_b32 v28, v189, v23 :: v_dual_lshrrev_b32 v29, v194, v23
	v_ashrrev_i32_e32 v22, v193, v22
	s_wait_loadcnt 0x0
	v_mul_u32_u24_e32 v20, 0x10001, v20
	s_delay_alu instid0(VALU_DEP_3) | instskip(NEXT) | instid1(VALU_DEP_3)
	v_dual_lshlrev_b32 v28, 4, v28 :: v_dual_lshlrev_b32 v29, 12, v29
	v_and_b32_e32 v22, 0xf0f0f0f, v22
	s_delay_alu instid0(VALU_DEP_2) | instskip(NEXT) | instid1(VALU_DEP_3)
	v_and_b32_e32 v28, 16, v28
	v_and_b32_e32 v29, 0x1000, v29
	s_delay_alu instid0(VALU_DEP_1) | instskip(SKIP_1) | instid1(VALU_DEP_1)
	v_or3_b32 v28, v28, v22, v29
	v_dual_lshrrev_b32 v29, v195, v23 :: v_dual_lshrrev_b32 v23, v196, v23
	v_dual_lshlrev_b32 v29, 20, v29 :: v_dual_lshlrev_b32 v23, 28, v23
	s_delay_alu instid0(VALU_DEP_1) | instskip(NEXT) | instid1(VALU_DEP_2)
	v_and_b32_e32 v29, 0x100000, v29
	v_and_b32_e32 v23, 0x10000000, v23
	s_delay_alu instid0(VALU_DEP_1) | instskip(SKIP_1) | instid1(VALU_DEP_1)
	v_or3_b32 v22, v22, v29, v23
	v_lshlrev_b16 v23, 8, v28
	v_add_nc_u16 v23, 0xf000, v23
	s_delay_alu instid0(VALU_DEP_1) | instskip(NEXT) | instid1(VALU_DEP_1)
	v_lshrrev_b16 v23, 8, v23
	v_bitop3_b16 v23, v28, v23, 0x1f00 bitop3:0xec
	s_delay_alu instid0(VALU_DEP_1) | instskip(NEXT) | instid1(VALU_DEP_1)
	v_add_nc_u16 v23, 0xf000, v23
	v_dual_lshrrev_b32 v22, 16, v22 :: v_dual_lshrrev_b32 v21, 8, v23
	s_delay_alu instid0(VALU_DEP_1) | instskip(SKIP_2) | instid1(VALU_DEP_4)
	v_lshlrev_b16 v28, 8, v22
	v_and_b32_e32 v22, 0x1f00, v22
	v_bfe_i32 v23, v23, 0, 8
	v_bfe_i32 v21, v21, 0, 8
	s_delay_alu instid0(VALU_DEP_4) | instskip(NEXT) | instid1(VALU_DEP_4)
	v_add_nc_u16 v28, 0xf000, v28
	v_add_nc_u16 v22, 0xf000, v22
	s_delay_alu instid0(VALU_DEP_4) | instskip(NEXT) | instid1(VALU_DEP_4)
	v_cvt_f16_i16_e32 v23, v23
	v_cvt_f16_i16_e32 v21, v21
	s_delay_alu instid0(VALU_DEP_3) | instskip(NEXT) | instid1(VALU_DEP_2)
	v_lshrrev_b32_e32 v22, 8, v22
	v_pack_b32_f16 v21, v23, v21
	v_ashrrev_i16 v23, 8, v28
	s_delay_alu instid0(VALU_DEP_3) | instskip(NEXT) | instid1(VALU_DEP_3)
	v_bfe_i32 v22, v22, 0, 8
	v_pk_mul_f16 v21, v21, v20
	s_delay_alu instid0(VALU_DEP_3) | instskip(NEXT) | instid1(VALU_DEP_3)
	v_cvt_f16_i16_e32 v23, v23
	v_cvt_f16_i16_e32 v22, v22
	s_delay_alu instid0(VALU_DEP_3) | instskip(NEXT) | instid1(VALU_DEP_2)
	v_pk_fma_f16 v24, v21, v18, v24
	v_pack_b32_f16 v22, v23, v22
	s_delay_alu instid0(VALU_DEP_1) | instskip(NEXT) | instid1(VALU_DEP_1)
	v_pk_mul_f16 v20, v22, v20
	v_pk_fma_f16 v25, v20, v18, v25
	v_add_nc_u64_e32 v[20:21], v[16:17], v[112:113]
	s_clause 0x2
	global_load_b32 v20, v[20:21], off offset:6
	global_load_b32 v21, v[16:17], off offset:2
	global_load_u16 v16, v[16:17], off
	s_wait_loadcnt 0x2
	v_ashrrev_i32_e32 v20, v193, v20
	s_wait_loadcnt 0x1
	v_dual_lshrrev_b32 v22, v189, v21 :: v_dual_lshrrev_b32 v23, v194, v21
	s_wait_loadcnt 0x0
	v_mul_u32_u24_e32 v16, 0x10001, v16
	v_and_b32_e32 v20, 0xf0f0f0f, v20
	s_delay_alu instid0(VALU_DEP_3) | instskip(NEXT) | instid1(VALU_DEP_1)
	v_dual_lshlrev_b32 v22, 4, v22 :: v_dual_lshlrev_b32 v23, 12, v23
	v_and_b32_e32 v22, 16, v22
	s_delay_alu instid0(VALU_DEP_2) | instskip(NEXT) | instid1(VALU_DEP_1)
	v_and_b32_e32 v23, 0x1000, v23
	v_or3_b32 v22, v22, v20, v23
	v_dual_lshrrev_b32 v23, v195, v21 :: v_dual_lshrrev_b32 v21, v196, v21
	s_delay_alu instid0(VALU_DEP_1) | instskip(NEXT) | instid1(VALU_DEP_1)
	v_dual_lshlrev_b32 v23, 20, v23 :: v_dual_lshlrev_b32 v21, 28, v21
	v_and_b32_e32 v23, 0x100000, v23
	s_delay_alu instid0(VALU_DEP_2) | instskip(NEXT) | instid1(VALU_DEP_1)
	v_and_b32_e32 v21, 0x10000000, v21
	v_or3_b32 v20, v20, v23, v21
	v_lshlrev_b16 v21, 8, v22
	s_delay_alu instid0(VALU_DEP_2) | instskip(NEXT) | instid1(VALU_DEP_2)
	v_lshrrev_b32_e32 v20, 16, v20
	v_add_nc_u16 v21, 0xf000, v21
	s_delay_alu instid0(VALU_DEP_1) | instskip(NEXT) | instid1(VALU_DEP_1)
	v_lshrrev_b16 v21, 8, v21
	v_bitop3_b16 v21, v22, v21, 0x1f00 bitop3:0xec
	s_delay_alu instid0(VALU_DEP_4) | instskip(SKIP_1) | instid1(VALU_DEP_3)
	v_lshlrev_b16 v22, 8, v20
	v_and_b32_e32 v20, 0x1f00, v20
	v_add_nc_u16 v21, 0xf000, v21
	s_delay_alu instid0(VALU_DEP_3) | instskip(NEXT) | instid1(VALU_DEP_3)
	v_add_nc_u16 v22, 0xf000, v22
	v_add_nc_u16 v20, 0xf000, v20
	s_delay_alu instid0(VALU_DEP_3) | instskip(SKIP_1) | instid1(VALU_DEP_3)
	v_lshrrev_b32_e32 v17, 8, v21
	v_bfe_i32 v21, v21, 0, 8
	v_lshrrev_b32_e32 v20, 8, v20
	s_delay_alu instid0(VALU_DEP_3) | instskip(NEXT) | instid1(VALU_DEP_3)
	v_bfe_i32 v17, v17, 0, 8
	v_cvt_f16_i16_e32 v21, v21
	s_delay_alu instid0(VALU_DEP_3) | instskip(NEXT) | instid1(VALU_DEP_3)
	v_bfe_i32 v20, v20, 0, 8
	v_cvt_f16_i16_e32 v17, v17
	s_delay_alu instid0(VALU_DEP_2) | instskip(NEXT) | instid1(VALU_DEP_2)
	v_cvt_f16_i16_e32 v20, v20
	v_pack_b32_f16 v17, v21, v17
	v_ashrrev_i16 v21, 8, v22
	s_delay_alu instid0(VALU_DEP_2) | instskip(NEXT) | instid1(VALU_DEP_2)
	v_pk_mul_f16 v17, v17, v16
	v_cvt_f16_i16_e32 v21, v21
	s_delay_alu instid0(VALU_DEP_2) | instskip(NEXT) | instid1(VALU_DEP_2)
	v_pk_fma_f16 v26, v17, v18, v26
	v_pack_b32_f16 v20, v21, v20
	s_delay_alu instid0(VALU_DEP_1) | instskip(NEXT) | instid1(VALU_DEP_1)
	v_pk_mul_f16 v16, v20, v16
	v_pk_fma_f16 v18, v16, v18, v27
	v_add_nc_u64_e32 v[16:17], s[12:13], v[156:157]
	v_mul_u32_u24_e32 v27, 0x10001, v198
	s_delay_alu instid0(VALU_DEP_2) | instskip(SKIP_1) | instid1(VALU_DEP_2)
	v_add_nc_u64_e32 v[20:21], v[16:17], v[168:169]
	v_add_nc_u64_e32 v[16:17], v[16:17], v[166:167]
	;; [unrolled: 1-line block ×3, first 2 shown]
	s_clause 0x2
	global_load_b32 v22, v[22:23], off offset:6
	global_load_b32 v23, v[20:21], off offset:2
	global_load_u16 v20, v[20:21], off
	s_wait_loadcnt 0x1
	v_dual_lshrrev_b32 v28, v189, v23 :: v_dual_lshrrev_b32 v29, v194, v23
	v_ashrrev_i32_e32 v22, v193, v22
	s_wait_loadcnt 0x0
	v_mul_u32_u24_e32 v20, 0x10001, v20
	s_delay_alu instid0(VALU_DEP_3) | instskip(NEXT) | instid1(VALU_DEP_3)
	v_dual_lshlrev_b32 v28, 4, v28 :: v_dual_lshlrev_b32 v29, 12, v29
	v_and_b32_e32 v22, 0xf0f0f0f, v22
	s_delay_alu instid0(VALU_DEP_2) | instskip(NEXT) | instid1(VALU_DEP_3)
	v_and_b32_e32 v28, 16, v28
	v_and_b32_e32 v29, 0x1000, v29
	s_delay_alu instid0(VALU_DEP_1) | instskip(SKIP_1) | instid1(VALU_DEP_1)
	v_or3_b32 v28, v28, v22, v29
	v_dual_lshrrev_b32 v29, v195, v23 :: v_dual_lshrrev_b32 v23, v196, v23
	v_dual_lshlrev_b32 v29, 20, v29 :: v_dual_lshlrev_b32 v23, 28, v23
	s_delay_alu instid0(VALU_DEP_1) | instskip(NEXT) | instid1(VALU_DEP_2)
	v_and_b32_e32 v29, 0x100000, v29
	v_and_b32_e32 v23, 0x10000000, v23
	s_delay_alu instid0(VALU_DEP_1) | instskip(SKIP_1) | instid1(VALU_DEP_1)
	v_or3_b32 v22, v22, v29, v23
	v_lshlrev_b16 v23, 8, v28
	v_add_nc_u16 v23, 0xf000, v23
	s_delay_alu instid0(VALU_DEP_1) | instskip(NEXT) | instid1(VALU_DEP_1)
	v_lshrrev_b16 v23, 8, v23
	v_bitop3_b16 v23, v28, v23, 0x1f00 bitop3:0xec
	s_delay_alu instid0(VALU_DEP_1) | instskip(NEXT) | instid1(VALU_DEP_1)
	v_add_nc_u16 v23, 0xf000, v23
	v_dual_lshrrev_b32 v22, 16, v22 :: v_dual_lshrrev_b32 v21, 8, v23
	s_delay_alu instid0(VALU_DEP_1) | instskip(SKIP_2) | instid1(VALU_DEP_4)
	v_lshlrev_b16 v28, 8, v22
	v_and_b32_e32 v22, 0x1f00, v22
	v_bfe_i32 v23, v23, 0, 8
	v_bfe_i32 v21, v21, 0, 8
	s_delay_alu instid0(VALU_DEP_4) | instskip(NEXT) | instid1(VALU_DEP_4)
	v_add_nc_u16 v28, 0xf000, v28
	v_add_nc_u16 v22, 0xf000, v22
	s_delay_alu instid0(VALU_DEP_4) | instskip(NEXT) | instid1(VALU_DEP_4)
	v_cvt_f16_i16_e32 v23, v23
	v_cvt_f16_i16_e32 v21, v21
	s_delay_alu instid0(VALU_DEP_3) | instskip(NEXT) | instid1(VALU_DEP_2)
	v_lshrrev_b32_e32 v22, 8, v22
	v_pack_b32_f16 v21, v23, v21
	v_ashrrev_i16 v23, 8, v28
	s_delay_alu instid0(VALU_DEP_3) | instskip(NEXT) | instid1(VALU_DEP_3)
	v_bfe_i32 v22, v22, 0, 8
	v_pk_mul_f16 v21, v21, v20
	s_delay_alu instid0(VALU_DEP_3) | instskip(NEXT) | instid1(VALU_DEP_3)
	v_cvt_f16_i16_e32 v23, v23
	v_cvt_f16_i16_e32 v22, v22
	s_delay_alu instid0(VALU_DEP_1) | instskip(NEXT) | instid1(VALU_DEP_1)
	v_pack_b32_f16 v22, v23, v22
	v_pk_mul_f16 v20, v22, v20
	v_pk_fma_f16 v22, v21, v27, v24
	s_delay_alu instid0(VALU_DEP_2)
	v_pk_fma_f16 v23, v20, v27, v25
	v_add_nc_u64_e32 v[20:21], v[16:17], v[112:113]
	s_clause 0x2
	global_load_b32 v20, v[20:21], off offset:6
	global_load_b32 v21, v[16:17], off offset:2
	global_load_u16 v16, v[16:17], off
	s_wait_loadcnt 0x2
	v_ashrrev_i32_e32 v20, v193, v20
	s_wait_loadcnt 0x1
	v_dual_lshrrev_b32 v24, v189, v21 :: v_dual_lshrrev_b32 v25, v194, v21
	s_wait_loadcnt 0x0
	v_mul_u32_u24_e32 v16, 0x10001, v16
	v_and_b32_e32 v20, 0xf0f0f0f, v20
	s_delay_alu instid0(VALU_DEP_3) | instskip(NEXT) | instid1(VALU_DEP_1)
	v_dual_lshlrev_b32 v24, 4, v24 :: v_dual_lshlrev_b32 v25, 12, v25
	v_and_b32_e32 v24, 16, v24
	s_delay_alu instid0(VALU_DEP_2) | instskip(NEXT) | instid1(VALU_DEP_1)
	v_and_b32_e32 v25, 0x1000, v25
	v_or3_b32 v24, v24, v20, v25
	v_dual_lshrrev_b32 v25, v195, v21 :: v_dual_lshrrev_b32 v21, v196, v21
	s_delay_alu instid0(VALU_DEP_1) | instskip(NEXT) | instid1(VALU_DEP_2)
	v_lshlrev_b32_e32 v25, 20, v25
	v_lshlrev_b32_e32 v21, 28, v21
	s_delay_alu instid0(VALU_DEP_2) | instskip(NEXT) | instid1(VALU_DEP_2)
	v_and_b32_e32 v25, 0x100000, v25
	v_and_b32_e32 v21, 0x10000000, v21
	s_delay_alu instid0(VALU_DEP_1) | instskip(SKIP_1) | instid1(VALU_DEP_2)
	v_or3_b32 v20, v20, v25, v21
	v_lshlrev_b16 v21, 8, v24
	v_lshrrev_b32_e32 v20, 16, v20
	s_delay_alu instid0(VALU_DEP_2) | instskip(NEXT) | instid1(VALU_DEP_1)
	v_add_nc_u16 v21, 0xf000, v21
	v_lshrrev_b16 v21, 8, v21
	s_delay_alu instid0(VALU_DEP_1) | instskip(NEXT) | instid1(VALU_DEP_4)
	v_bitop3_b16 v21, v24, v21, 0x1f00 bitop3:0xec
	v_lshlrev_b16 v24, 8, v20
	v_and_b32_e32 v20, 0x1f00, v20
	s_delay_alu instid0(VALU_DEP_3) | instskip(NEXT) | instid1(VALU_DEP_3)
	v_add_nc_u16 v21, 0xf000, v21
	v_add_nc_u16 v24, 0xf000, v24
	s_delay_alu instid0(VALU_DEP_3) | instskip(NEXT) | instid1(VALU_DEP_3)
	v_add_nc_u16 v20, 0xf000, v20
	v_lshrrev_b32_e32 v17, 8, v21
	v_bfe_i32 v21, v21, 0, 8
	s_delay_alu instid0(VALU_DEP_3) | instskip(NEXT) | instid1(VALU_DEP_3)
	v_lshrrev_b32_e32 v20, 8, v20
	v_bfe_i32 v17, v17, 0, 8
	s_delay_alu instid0(VALU_DEP_3) | instskip(NEXT) | instid1(VALU_DEP_3)
	v_cvt_f16_i16_e32 v21, v21
	v_bfe_i32 v20, v20, 0, 8
	s_delay_alu instid0(VALU_DEP_3) | instskip(NEXT) | instid1(VALU_DEP_2)
	v_cvt_f16_i16_e32 v17, v17
	v_cvt_f16_i16_e32 v20, v20
	s_delay_alu instid0(VALU_DEP_2) | instskip(SKIP_1) | instid1(VALU_DEP_2)
	v_pack_b32_f16 v17, v21, v17
	v_ashrrev_i16 v21, 8, v24
	v_pk_mul_f16 v17, v17, v16
	s_delay_alu instid0(VALU_DEP_2) | instskip(NEXT) | instid1(VALU_DEP_2)
	v_cvt_f16_i16_e32 v21, v21
	v_pk_fma_f16 v24, v17, v27, v26
	s_delay_alu instid0(VALU_DEP_2) | instskip(NEXT) | instid1(VALU_DEP_1)
	v_pack_b32_f16 v20, v21, v20
	v_pk_mul_f16 v16, v20, v16
	s_delay_alu instid0(VALU_DEP_1) | instskip(SKIP_1) | instid1(VALU_DEP_1)
	v_pk_fma_f16 v25, v16, v27, v18
	v_and_b32_e32 v16, 0xffff, v19
	v_mul_u32_u24_e32 v26, 0x10001, v16
	v_add_nc_u64_e32 v[16:17], s[12:13], v[158:159]
	s_delay_alu instid0(VALU_DEP_1) | instskip(SKIP_1) | instid1(VALU_DEP_2)
	v_add_nc_u64_e32 v[18:19], v[16:17], v[168:169]
	v_add_nc_u64_e32 v[16:17], v[16:17], v[166:167]
	;; [unrolled: 1-line block ×3, first 2 shown]
	s_clause 0x2
	global_load_b32 v20, v[20:21], off offset:6
	global_load_b32 v21, v[18:19], off offset:2
	global_load_u16 v18, v[18:19], off
	s_wait_loadcnt 0x2
	v_ashrrev_i32_e32 v20, v193, v20
	s_wait_loadcnt 0x1
	v_dual_lshrrev_b32 v27, v189, v21 :: v_dual_lshrrev_b32 v28, v194, v21
	s_wait_loadcnt 0x0
	v_mul_u32_u24_e32 v18, 0x10001, v18
	v_and_b32_e32 v20, 0xf0f0f0f, v20
	s_delay_alu instid0(VALU_DEP_3) | instskip(NEXT) | instid1(VALU_DEP_1)
	v_dual_lshlrev_b32 v27, 4, v27 :: v_dual_lshlrev_b32 v28, 12, v28
	v_and_b32_e32 v27, 16, v27
	s_delay_alu instid0(VALU_DEP_2) | instskip(NEXT) | instid1(VALU_DEP_1)
	v_and_b32_e32 v28, 0x1000, v28
	v_or3_b32 v27, v27, v20, v28
	v_dual_lshrrev_b32 v28, v195, v21 :: v_dual_lshrrev_b32 v21, v196, v21
	s_delay_alu instid0(VALU_DEP_1) | instskip(NEXT) | instid1(VALU_DEP_1)
	v_dual_lshlrev_b32 v28, 20, v28 :: v_dual_lshlrev_b32 v21, 28, v21
	v_and_b32_e32 v28, 0x100000, v28
	s_delay_alu instid0(VALU_DEP_2) | instskip(NEXT) | instid1(VALU_DEP_1)
	v_and_b32_e32 v21, 0x10000000, v21
	v_or3_b32 v20, v20, v28, v21
	v_lshlrev_b16 v21, 8, v27
	s_delay_alu instid0(VALU_DEP_1) | instskip(NEXT) | instid1(VALU_DEP_1)
	v_add_nc_u16 v21, 0xf000, v21
	v_lshrrev_b16 v21, 8, v21
	s_delay_alu instid0(VALU_DEP_1) | instskip(NEXT) | instid1(VALU_DEP_1)
	v_bitop3_b16 v21, v27, v21, 0x1f00 bitop3:0xec
	v_add_nc_u16 v21, 0xf000, v21
	s_delay_alu instid0(VALU_DEP_1) | instskip(NEXT) | instid1(VALU_DEP_1)
	v_dual_lshrrev_b32 v20, 16, v20 :: v_dual_lshrrev_b32 v19, 8, v21
	v_lshlrev_b16 v27, 8, v20
	v_and_b32_e32 v20, 0x1f00, v20
	v_bfe_i32 v21, v21, 0, 8
	s_delay_alu instid0(VALU_DEP_4) | instskip(NEXT) | instid1(VALU_DEP_4)
	v_bfe_i32 v19, v19, 0, 8
	v_add_nc_u16 v27, 0xf000, v27
	s_delay_alu instid0(VALU_DEP_4) | instskip(NEXT) | instid1(VALU_DEP_4)
	v_add_nc_u16 v20, 0xf000, v20
	v_cvt_f16_i16_e32 v21, v21
	s_delay_alu instid0(VALU_DEP_4) | instskip(NEXT) | instid1(VALU_DEP_3)
	v_cvt_f16_i16_e32 v19, v19
	v_lshrrev_b32_e32 v20, 8, v20
	s_delay_alu instid0(VALU_DEP_2) | instskip(SKIP_1) | instid1(VALU_DEP_3)
	v_pack_b32_f16 v19, v21, v19
	v_ashrrev_i16 v21, 8, v27
	v_bfe_i32 v20, v20, 0, 8
	v_mul_u32_u24_e32 v27, 0x10001, v199
	s_delay_alu instid0(VALU_DEP_4) | instskip(NEXT) | instid1(VALU_DEP_4)
	v_pk_mul_f16 v19, v19, v18
	v_cvt_f16_i16_e32 v21, v21
	s_delay_alu instid0(VALU_DEP_4) | instskip(NEXT) | instid1(VALU_DEP_3)
	v_cvt_f16_i16_e32 v20, v20
	v_pk_fma_f16 v22, v19, v26, v22
	s_delay_alu instid0(VALU_DEP_2) | instskip(NEXT) | instid1(VALU_DEP_1)
	v_pack_b32_f16 v20, v21, v20
	v_pk_mul_f16 v18, v20, v18
	s_delay_alu instid0(VALU_DEP_1)
	v_pk_fma_f16 v23, v18, v26, v23
	v_add_nc_u64_e32 v[18:19], v[16:17], v[112:113]
	s_clause 0x2
	global_load_b32 v18, v[18:19], off offset:6
	global_load_b32 v19, v[16:17], off offset:2
	global_load_u16 v16, v[16:17], off
	s_wait_loadcnt 0x2
	v_ashrrev_i32_e32 v18, v193, v18
	s_wait_loadcnt 0x1
	v_dual_lshrrev_b32 v20, v189, v19 :: v_dual_lshrrev_b32 v21, v194, v19
	s_wait_loadcnt 0x0
	v_mul_u32_u24_e32 v16, 0x10001, v16
	v_and_b32_e32 v18, 0xf0f0f0f, v18
	s_delay_alu instid0(VALU_DEP_3) | instskip(NEXT) | instid1(VALU_DEP_1)
	v_dual_lshlrev_b32 v20, 4, v20 :: v_dual_lshlrev_b32 v21, 12, v21
	v_and_b32_e32 v20, 16, v20
	s_delay_alu instid0(VALU_DEP_2) | instskip(NEXT) | instid1(VALU_DEP_1)
	v_and_b32_e32 v21, 0x1000, v21
	v_or3_b32 v20, v20, v18, v21
	v_dual_lshrrev_b32 v21, v195, v19 :: v_dual_lshrrev_b32 v19, v196, v19
	s_delay_alu instid0(VALU_DEP_1) | instskip(NEXT) | instid1(VALU_DEP_1)
	v_dual_lshlrev_b32 v21, 20, v21 :: v_dual_lshlrev_b32 v19, 28, v19
	v_and_b32_e32 v21, 0x100000, v21
	s_delay_alu instid0(VALU_DEP_2) | instskip(NEXT) | instid1(VALU_DEP_1)
	v_and_b32_e32 v19, 0x10000000, v19
	v_or3_b32 v18, v18, v21, v19
	v_lshlrev_b16 v19, 8, v20
	s_delay_alu instid0(VALU_DEP_2) | instskip(NEXT) | instid1(VALU_DEP_2)
	v_lshrrev_b32_e32 v18, 16, v18
	v_add_nc_u16 v19, 0xf000, v19
	s_delay_alu instid0(VALU_DEP_1) | instskip(NEXT) | instid1(VALU_DEP_1)
	v_lshrrev_b16 v19, 8, v19
	v_bitop3_b16 v19, v20, v19, 0x1f00 bitop3:0xec
	s_delay_alu instid0(VALU_DEP_4) | instskip(SKIP_1) | instid1(VALU_DEP_3)
	v_lshlrev_b16 v20, 8, v18
	v_and_b32_e32 v18, 0x1f00, v18
	v_add_nc_u16 v19, 0xf000, v19
	s_delay_alu instid0(VALU_DEP_3) | instskip(NEXT) | instid1(VALU_DEP_3)
	v_add_nc_u16 v20, 0xf000, v20
	v_add_nc_u16 v18, 0xf000, v18
	s_delay_alu instid0(VALU_DEP_3) | instskip(SKIP_1) | instid1(VALU_DEP_3)
	v_lshrrev_b32_e32 v17, 8, v19
	v_bfe_i32 v19, v19, 0, 8
	v_lshrrev_b32_e32 v18, 8, v18
	s_delay_alu instid0(VALU_DEP_3) | instskip(NEXT) | instid1(VALU_DEP_3)
	v_bfe_i32 v17, v17, 0, 8
	v_cvt_f16_i16_e32 v19, v19
	s_delay_alu instid0(VALU_DEP_3) | instskip(NEXT) | instid1(VALU_DEP_3)
	v_bfe_i32 v18, v18, 0, 8
	v_cvt_f16_i16_e32 v17, v17
	s_delay_alu instid0(VALU_DEP_2) | instskip(NEXT) | instid1(VALU_DEP_2)
	v_cvt_f16_i16_e32 v18, v18
	v_pack_b32_f16 v17, v19, v17
	v_ashrrev_i16 v19, 8, v20
	s_delay_alu instid0(VALU_DEP_2) | instskip(NEXT) | instid1(VALU_DEP_2)
	v_pk_mul_f16 v17, v17, v16
	v_cvt_f16_i16_e32 v19, v19
	s_delay_alu instid0(VALU_DEP_2) | instskip(NEXT) | instid1(VALU_DEP_2)
	v_pk_fma_f16 v24, v17, v26, v24
	v_pack_b32_f16 v18, v19, v18
	s_delay_alu instid0(VALU_DEP_1) | instskip(NEXT) | instid1(VALU_DEP_1)
	v_pk_mul_f16 v16, v18, v16
	v_pk_fma_f16 v26, v16, v26, v25
	v_add_nc_u64_e32 v[16:17], s[12:13], v[160:161]
	s_add_nc_u64 s[12:13], s[12:13], s[18:19]
	s_delay_alu instid0(VALU_DEP_1) | instskip(SKIP_1) | instid1(VALU_DEP_2)
	v_add_nc_u64_e32 v[18:19], v[16:17], v[168:169]
	v_add_nc_u64_e32 v[16:17], v[16:17], v[166:167]
	;; [unrolled: 1-line block ×3, first 2 shown]
	s_clause 0x2
	global_load_b32 v20, v[20:21], off offset:6
	global_load_b32 v21, v[18:19], off offset:2
	global_load_u16 v18, v[18:19], off
	s_wait_loadcnt 0x1
	v_dual_lshrrev_b32 v25, v189, v21 :: v_dual_lshrrev_b32 v28, v194, v21
	v_ashrrev_i32_e32 v20, v193, v20
	s_wait_loadcnt 0x0
	v_mul_u32_u24_e32 v18, 0x10001, v18
	s_delay_alu instid0(VALU_DEP_3) | instskip(NEXT) | instid1(VALU_DEP_3)
	v_dual_lshlrev_b32 v25, 4, v25 :: v_dual_lshlrev_b32 v28, 12, v28
	v_and_b32_e32 v20, 0xf0f0f0f, v20
	s_delay_alu instid0(VALU_DEP_2) | instskip(NEXT) | instid1(VALU_DEP_3)
	v_and_b32_e32 v25, 16, v25
	v_and_b32_e32 v28, 0x1000, v28
	s_delay_alu instid0(VALU_DEP_1) | instskip(SKIP_1) | instid1(VALU_DEP_1)
	v_or3_b32 v25, v25, v20, v28
	v_dual_lshrrev_b32 v28, v195, v21 :: v_dual_lshrrev_b32 v21, v196, v21
	v_dual_lshlrev_b32 v28, 20, v28 :: v_dual_lshlrev_b32 v21, 28, v21
	s_delay_alu instid0(VALU_DEP_1) | instskip(NEXT) | instid1(VALU_DEP_2)
	v_and_b32_e32 v28, 0x100000, v28
	v_and_b32_e32 v21, 0x10000000, v21
	s_delay_alu instid0(VALU_DEP_1) | instskip(SKIP_1) | instid1(VALU_DEP_1)
	v_or3_b32 v20, v20, v28, v21
	v_lshlrev_b16 v21, 8, v25
	v_add_nc_u16 v21, 0xf000, v21
	s_delay_alu instid0(VALU_DEP_1) | instskip(NEXT) | instid1(VALU_DEP_1)
	v_lshrrev_b16 v21, 8, v21
	v_bitop3_b16 v21, v25, v21, 0x1f00 bitop3:0xec
	s_delay_alu instid0(VALU_DEP_1) | instskip(NEXT) | instid1(VALU_DEP_1)
	v_add_nc_u16 v21, 0xf000, v21
	v_dual_lshrrev_b32 v20, 16, v20 :: v_dual_lshrrev_b32 v19, 8, v21
	s_delay_alu instid0(VALU_DEP_1) | instskip(SKIP_2) | instid1(VALU_DEP_4)
	v_lshlrev_b16 v25, 8, v20
	v_and_b32_e32 v20, 0x1f00, v20
	v_bfe_i32 v21, v21, 0, 8
	v_bfe_i32 v19, v19, 0, 8
	s_delay_alu instid0(VALU_DEP_4) | instskip(NEXT) | instid1(VALU_DEP_4)
	v_add_nc_u16 v25, 0xf000, v25
	v_add_nc_u16 v20, 0xf000, v20
	s_delay_alu instid0(VALU_DEP_4) | instskip(NEXT) | instid1(VALU_DEP_4)
	v_cvt_f16_i16_e32 v21, v21
	v_cvt_f16_i16_e32 v19, v19
	s_delay_alu instid0(VALU_DEP_3) | instskip(NEXT) | instid1(VALU_DEP_2)
	v_lshrrev_b32_e32 v20, 8, v20
	v_pack_b32_f16 v19, v21, v19
	v_ashrrev_i16 v21, 8, v25
	s_delay_alu instid0(VALU_DEP_3) | instskip(NEXT) | instid1(VALU_DEP_3)
	v_bfe_i32 v20, v20, 0, 8
	v_pk_mul_f16 v19, v19, v18
	s_delay_alu instid0(VALU_DEP_3) | instskip(NEXT) | instid1(VALU_DEP_3)
	v_cvt_f16_i16_e32 v21, v21
	v_cvt_f16_i16_e32 v20, v20
	s_delay_alu instid0(VALU_DEP_3) | instskip(NEXT) | instid1(VALU_DEP_2)
	v_pk_fma_f16 v22, v19, v27, v22
	v_pack_b32_f16 v20, v21, v20
	s_delay_alu instid0(VALU_DEP_1) | instskip(NEXT) | instid1(VALU_DEP_1)
	v_pk_mul_f16 v18, v20, v18
	v_pk_fma_f16 v23, v18, v27, v23
	v_add_nc_u64_e32 v[18:19], v[16:17], v[112:113]
	s_clause 0x2
	global_load_b32 v18, v[18:19], off offset:6
	global_load_b32 v19, v[16:17], off offset:2
	global_load_u16 v16, v[16:17], off
	s_wait_loadcnt 0x2
	v_ashrrev_i32_e32 v18, v193, v18
	s_wait_loadcnt 0x1
	v_dual_lshrrev_b32 v20, v189, v19 :: v_dual_lshrrev_b32 v21, v194, v19
	s_wait_loadcnt 0x0
	v_mul_u32_u24_e32 v16, 0x10001, v16
	v_and_b32_e32 v18, 0xf0f0f0f, v18
	s_delay_alu instid0(VALU_DEP_3) | instskip(NEXT) | instid1(VALU_DEP_1)
	v_dual_lshlrev_b32 v20, 4, v20 :: v_dual_lshlrev_b32 v21, 12, v21
	v_and_b32_e32 v20, 16, v20
	s_delay_alu instid0(VALU_DEP_2) | instskip(NEXT) | instid1(VALU_DEP_1)
	v_and_b32_e32 v21, 0x1000, v21
	v_or3_b32 v20, v20, v18, v21
	v_dual_lshrrev_b32 v21, v195, v19 :: v_dual_lshrrev_b32 v19, v196, v19
	s_delay_alu instid0(VALU_DEP_1) | instskip(NEXT) | instid1(VALU_DEP_1)
	v_dual_lshlrev_b32 v21, 20, v21 :: v_dual_lshlrev_b32 v19, 28, v19
	v_and_b32_e32 v21, 0x100000, v21
	s_delay_alu instid0(VALU_DEP_2) | instskip(NEXT) | instid1(VALU_DEP_1)
	v_and_b32_e32 v19, 0x10000000, v19
	v_or3_b32 v18, v18, v21, v19
	v_lshlrev_b16 v19, 8, v20
	s_delay_alu instid0(VALU_DEP_2) | instskip(NEXT) | instid1(VALU_DEP_2)
	v_lshrrev_b32_e32 v18, 16, v18
	v_add_nc_u16 v19, 0xf000, v19
	s_delay_alu instid0(VALU_DEP_1) | instskip(NEXT) | instid1(VALU_DEP_1)
	v_lshrrev_b16 v19, 8, v19
	v_bitop3_b16 v19, v20, v19, 0x1f00 bitop3:0xec
	s_delay_alu instid0(VALU_DEP_4) | instskip(SKIP_1) | instid1(VALU_DEP_3)
	v_lshlrev_b16 v20, 8, v18
	v_and_b32_e32 v18, 0x1f00, v18
	v_add_nc_u16 v19, 0xf000, v19
	s_delay_alu instid0(VALU_DEP_3) | instskip(NEXT) | instid1(VALU_DEP_3)
	v_add_nc_u16 v20, 0xf000, v20
	v_add_nc_u16 v18, 0xf000, v18
	s_delay_alu instid0(VALU_DEP_3) | instskip(SKIP_1) | instid1(VALU_DEP_3)
	v_lshrrev_b32_e32 v17, 8, v19
	v_bfe_i32 v19, v19, 0, 8
	v_lshrrev_b32_e32 v18, 8, v18
	s_delay_alu instid0(VALU_DEP_3) | instskip(NEXT) | instid1(VALU_DEP_3)
	v_bfe_i32 v17, v17, 0, 8
	v_cvt_f16_i16_e32 v19, v19
	s_delay_alu instid0(VALU_DEP_3) | instskip(NEXT) | instid1(VALU_DEP_3)
	v_bfe_i32 v18, v18, 0, 8
	v_cvt_f16_i16_e32 v17, v17
	s_delay_alu instid0(VALU_DEP_2) | instskip(NEXT) | instid1(VALU_DEP_2)
	v_cvt_f16_i16_e32 v18, v18
	v_pack_b32_f16 v17, v19, v17
	v_ashrrev_i16 v19, 8, v20
	s_delay_alu instid0(VALU_DEP_2) | instskip(NEXT) | instid1(VALU_DEP_2)
	v_pk_mul_f16 v17, v17, v16
	v_cvt_f16_i16_e32 v19, v19
	s_delay_alu instid0(VALU_DEP_2) | instskip(NEXT) | instid1(VALU_DEP_2)
	v_pk_fma_f16 v25, v17, v27, v24
	v_pack_b32_f16 v18, v19, v18
	s_delay_alu instid0(VALU_DEP_1) | instskip(NEXT) | instid1(VALU_DEP_1)
	v_pk_mul_f16 v16, v18, v16
	v_pk_fma_f16 v24, v16, v27, v26
	s_cbranch_scc1 .LBB27_30
; %bb.28:                               ;   in Loop: Header=BB27_15 Depth=1
	v_mov_b32_e32 v26, v197
	s_branch .LBB27_15
.LBB27_29:
	v_dual_mov_b32 v22, 0 :: v_dual_mov_b32 v197, 0xfeffffff
	v_dual_mov_b32 v25, 0 :: v_dual_mov_b32 v23, 0
	v_mov_b32_e32 v24, 0
.LBB27_30:
	v_or_b32_e32 v0, s37, v163
	s_cmp_lg_u64 s[16:17], 0
	s_cselect_b32 s3, -1, 0
	s_delay_alu instid0(VALU_DEP_1) | instskip(SKIP_1) | instid1(SALU_CYCLE_1)
	v_cmp_eq_u32_e32 vcc_lo, 0, v0
	s_and_b32 s4, vcc_lo, s3
	s_and_saveexec_b32 s3, s4
	s_cbranch_execz .LBB27_32
; %bb.31:
	s_lshl_b64 s[4:5], s[34:35], 2
	v_max_num_f32_e32 v0, v197, v197
	s_add_nc_u64 s[4:5], s[16:17], s[4:5]
	s_load_b32 s4, s[4:5], 0x0
	s_wait_kmcnt 0x0
	v_max_num_f32_e64 v1, s4, s4
	s_delay_alu instid0(VALU_DEP_1) | instskip(NEXT) | instid1(VALU_DEP_1)
	v_max_num_f32_e32 v0, v0, v1
	v_sub_f32_e32 v1, v197, v0
	s_delay_alu instid0(VALU_DEP_1) | instskip(SKIP_2) | instid1(VALU_DEP_3)
	v_dual_mul_f32 v3, 0x3fb8aa3b, v1 :: v_dual_sub_f32 v2, s4, v0
	v_cmp_ngt_f32_e32 vcc_lo, 0xc2ce8ed0, v1
	v_mov_b32_e32 v197, v0
	v_fma_f32 v5, 0x3fb8aa3b, v1, -v3
	v_rndne_f32_e32 v6, v3
	s_delay_alu instid0(VALU_DEP_2) | instskip(NEXT) | instid1(VALU_DEP_2)
	v_fmac_f32_e32 v5, 0x32a5705f, v1
	v_sub_f32_e32 v3, v3, v6
	s_delay_alu instid0(VALU_DEP_1) | instskip(SKIP_1) | instid1(VALU_DEP_2)
	v_dual_mul_f32 v4, 0x3fb8aa3b, v2 :: v_dual_add_f32 v3, v3, v5
	v_cvt_i32_f32_e32 v5, v6
	v_fma_f32 v7, 0x3fb8aa3b, v2, -v4
	v_rndne_f32_e32 v8, v4
	s_delay_alu instid0(VALU_DEP_4) | instskip(NEXT) | instid1(VALU_DEP_1)
	v_exp_f32_e32 v3, v3
	v_sub_f32_e32 v4, v4, v8
	v_cvt_i32_f32_e32 v6, v8
	s_delay_alu instid0(TRANS32_DEP_1) | instskip(NEXT) | instid1(VALU_DEP_1)
	v_ldexp_f32 v3, v3, v5
	v_cndmask_b32_e32 v3, 0, v3, vcc_lo
	v_cmp_ngt_f32_e32 vcc_lo, 0xc2ce8ed0, v2
	v_fmac_f32_e32 v7, 0x32a5705f, v2
	s_delay_alu instid0(VALU_DEP_1) | instskip(NEXT) | instid1(VALU_DEP_1)
	v_add_f32_e32 v4, v4, v7
	v_exp_f32_e32 v4, v4
	v_nop
	s_delay_alu instid0(TRANS32_DEP_1) | instskip(NEXT) | instid1(VALU_DEP_1)
	v_ldexp_f32 v4, v4, v6
	v_cndmask_b32_e32 v4, 0, v4, vcc_lo
	v_cmp_nlt_f32_e32 vcc_lo, 0x42b17218, v1
	v_cndmask_b32_e32 v1, 0x7f800000, v3, vcc_lo
	v_cmp_nlt_f32_e32 vcc_lo, 0x42b17218, v2
	s_delay_alu instid0(VALU_DEP_4) | instskip(SKIP_1) | instid1(VALU_DEP_2)
	v_cndmask_b32_e32 v2, 0x7f800000, v4, vcc_lo
	v_cmp_eq_u32_e32 vcc_lo, 0, v165
	v_cndmask_b32_e32 v2, 0, v2, vcc_lo
	s_delay_alu instid0(VALU_DEP_1) | instskip(NEXT) | instid1(VALU_DEP_1)
	v_fmac_f32_e32 v2, v176, v1
	v_mov_b32_e32 v176, v2
	v_cvt_f16_f32_e32 v3, v1
	s_delay_alu instid0(VALU_DEP_1) | instskip(NEXT) | instid1(VALU_DEP_1)
	v_and_b32_e32 v3, 0xffff, v3
	v_mul_u32_u24_e32 v1, 0x10001, v3
	s_delay_alu instid0(VALU_DEP_1)
	v_pk_mul_f16 v22, v22, v1
	v_pk_mul_f16 v23, v23, v1
	;; [unrolled: 1-line block ×4, first 2 shown]
.LBB27_32:
	s_or_b32 exec_lo, exec_lo, s3
	s_and_saveexec_b32 s3, s2
; %bb.33:
	v_dual_mov_b32 v0, 0xfeffffff :: v_dual_mov_b32 v1, 0
	v_add_nc_u32_e32 v2, 0x800, v174
	ds_store_2addr_b32 v2, v0, v1 offset1:32
; %bb.34:
	s_or_b32 exec_lo, exec_lo, s3
	v_cmp_eq_u32_e32 vcc_lo, 0, v165
	v_lshlrev_b32_e32 v2, 2, v163
	s_wait_dscnt 0x0
	s_barrier_signal -1
	s_barrier_wait -1
	s_and_saveexec_b32 s2, vcc_lo
; %bb.35:
	ds_store_b32 v2, v197 offset:2048
; %bb.36:
	s_or_b32 exec_lo, exec_lo, s2
	s_wait_dscnt 0x0
	s_barrier_signal -1
	s_barrier_wait -1
	ds_load_b32 v0, v174 offset:2048
	v_xor_b32_e32 v4, 8, v170
	v_xor_b32_e32 v1, 16, v170
	s_load_b32 s1, s[0:1], 0xd4
	v_xor_b32_e32 v5, 4, v170
	v_xor_b32_e32 v6, 2, v170
	;; [unrolled: 1-line block ×3, first 2 shown]
	v_cmp_gt_i32_e64 s2, 32, v1
	v_lshlrev_b32_e32 v14, 3, v165
	s_delay_alu instid0(VALU_DEP_2) | instskip(NEXT) | instid1(VALU_DEP_1)
	v_cndmask_b32_e64 v1, v170, v1, s2
	v_lshlrev_b32_e32 v3, 2, v1
	s_wait_dscnt 0x0
	ds_bpermute_b32 v1, v3, v0
	s_wait_dscnt 0x0
	v_dual_max_num_f32 v0, v0, v0 :: v_dual_max_num_f32 v1, v1, v1
	s_delay_alu instid0(VALU_DEP_1) | instskip(SKIP_1) | instid1(VALU_DEP_1)
	v_max_num_f32_e32 v0, v0, v1
	v_cmp_gt_i32_e64 s2, 32, v4
	v_cndmask_b32_e64 v4, v170, v4, s2
	v_cmp_gt_i32_e64 s2, 32, v5
	s_delay_alu instid0(VALU_DEP_1)
	v_dual_lshlrev_b32 v4, 2, v4 :: v_dual_cndmask_b32 v5, v170, v5, s2
	v_cmp_gt_i32_e64 s2, 32, v6
	ds_bpermute_b32 v1, v4, v0
	v_dual_cndmask_b32 v6, v170, v6, s2 :: v_dual_lshlrev_b32 v5, 2, v5
	v_cmp_gt_i32_e64 s2, 32, v7
	s_wait_dscnt 0x0
	s_delay_alu instid0(VALU_DEP_2) | instskip(NEXT) | instid1(VALU_DEP_1)
	v_dual_max_num_f32 v1, v1, v1 :: v_dual_lshlrev_b32 v6, 2, v6
	v_max_num_f32_e32 v0, v0, v1
	ds_bpermute_b32 v1, v5, v0
	s_wait_dscnt 0x0
	v_max_num_f32_e32 v1, v1, v1
	s_delay_alu instid0(VALU_DEP_1) | instskip(SKIP_3) | instid1(VALU_DEP_1)
	v_max_num_f32_e32 v0, v0, v1
	ds_bpermute_b32 v1, v6, v0
	s_wait_dscnt 0x0
	v_dual_cndmask_b32 v7, v170, v7, s2 :: v_dual_max_num_f32 v8, v1, v1
	v_dual_max_num_f32 v0, v0, v8 :: v_dual_lshlrev_b32 v1, 2, v7
	ds_bpermute_b32 v7, v1, v0
	s_wait_dscnt 0x0
	v_max_num_f32_e32 v7, v7, v7
	s_delay_alu instid0(VALU_DEP_1) | instskip(NEXT) | instid1(VALU_DEP_1)
	v_max_num_f32_e32 v0, v0, v7
	v_sub_f32_e32 v7, v197, v0
	s_delay_alu instid0(VALU_DEP_1) | instskip(NEXT) | instid1(VALU_DEP_1)
	v_mul_f32_e32 v8, 0x3fb8aa3b, v7
	v_fma_f32 v9, 0x3fb8aa3b, v7, -v8
	v_rndne_f32_e32 v10, v8
	s_delay_alu instid0(VALU_DEP_1) | instskip(NEXT) | instid1(VALU_DEP_1)
	v_dual_fmamk_f32 v9, v7, 0x32a5705f, v9 :: v_dual_sub_f32 v8, v8, v10
	v_add_f32_e32 v8, v8, v9
	v_cvt_i32_f32_e32 v9, v10
	v_cmp_ngt_f32_e64 s2, 0xc2ce8ed0, v7
	s_delay_alu instid0(VALU_DEP_3) | instskip(SKIP_1) | instid1(TRANS32_DEP_1)
	v_exp_f32_e32 v8, v8
	v_nop
	v_ldexp_f32 v8, v8, v9
	s_delay_alu instid0(VALU_DEP_1) | instskip(SKIP_1) | instid1(VALU_DEP_1)
	v_cndmask_b32_e64 v8, 0, v8, s2
	v_cmp_nlt_f32_e64 s2, 0x42b17218, v7
	v_cndmask_b32_e64 v7, 0x7f800000, v8, s2
	s_delay_alu instid0(VALU_DEP_1)
	v_mul_f32_e32 v8, v176, v7
	v_cvt_f16_f32_e32 v10, v7
	ds_bpermute_b32 v8, v3, v8
	s_wait_dscnt 0x0
	v_fmac_f32_e32 v8, v176, v7
	ds_bpermute_b32 v9, v4, v8
	s_wait_dscnt 0x0
	v_add_f32_e32 v8, v8, v9
	ds_bpermute_b32 v9, v5, v8
	s_wait_dscnt 0x0
	v_add_f32_e32 v8, v8, v9
	;; [unrolled: 3-line block ×3, first 2 shown]
	v_and_b32_e32 v9, 0xffff, v10
	ds_bpermute_b32 v8, v1, v7
	v_mul_u32_u24_e32 v9, 0x10001, v9
	s_delay_alu instid0(VALU_DEP_1)
	v_pk_mul_f16 v10, v22, v9
	v_pk_mul_f16 v11, v23, v9
	;; [unrolled: 1-line block ×4, first 2 shown]
	v_lshl_add_u32 v9, v163, 9, v14
	ds_store_2addr_b64 v9, v[10:11], v[12:13] offset1:32
	s_wait_xcnt 0x0
	s_and_saveexec_b32 s0, vcc_lo
	s_cbranch_execz .LBB27_38
; %bb.37:
	s_wait_dscnt 0x1
	v_add_f32_e32 v7, v7, v8
	ds_store_b32 v2, v7 offset:2176
.LBB27_38:
	s_or_b32 exec_lo, exec_lo, s0
	s_wait_dscnt 0x0
	s_barrier_signal -1
	s_barrier_wait -1
	ds_load_b32 v2, v174 offset:2176
	s_mul_i32 s2, s30, s28
	s_delay_alu instid0(SALU_CYCLE_1) | instskip(NEXT) | instid1(SALU_CYCLE_1)
	s_add_co_i32 s2, s2, s33
	s_mul_i32 s2, s2, s29
	s_delay_alu instid0(SALU_CYCLE_1) | instskip(SKIP_2) | instid1(SALU_CYCLE_1)
	s_add_co_i32 s2, s2, s34
	s_wait_kmcnt 0x0
	s_mul_i32 s2, s1, s2
	s_add_co_i32 s2, s2, s37
	s_cmp_eq_u32 s1, 1
	s_wait_dscnt 0x0
	ds_bpermute_b32 v3, v3, v2
	s_wait_dscnt 0x0
	v_add_f32_e32 v2, v2, v3
	ds_bpermute_b32 v3, v4, v2
	s_wait_dscnt 0x0
	v_add_f32_e32 v2, v2, v3
	ds_bpermute_b32 v3, v5, v2
	s_wait_dscnt 0x0
	v_add_f32_e32 v2, v2, v3
	ds_bpermute_b32 v3, v6, v2
	ds_load_u16 v4, v173
	ds_load_u16 v5, v173 offset:1792
	ds_load_u16 v6, v173 offset:1280
	;; [unrolled: 1-line block ×7, first 2 shown]
	s_wait_dscnt 0x6
	v_cvt_f32_f16_e32 v5, v5
	s_wait_dscnt 0x5
	v_cvt_f32_f16_e32 v6, v6
	;; [unrolled: 2-line block ×3, first 2 shown]
	v_add_f32_e32 v2, v2, v3
	v_cvt_f32_f16_e32 v3, v4
	s_wait_dscnt 0x3
	v_cvt_f32_f16_e32 v4, v8
	s_wait_dscnt 0x2
	;; [unrolled: 2-line block ×3, first 2 shown]
	v_cvt_f32_f16_e32 v9, v10
	v_dual_add_f32 v3, 0, v3 :: v_dual_add_f32 v4, 0, v4
	s_delay_alu instid0(VALU_DEP_1) | instskip(NEXT) | instid1(VALU_DEP_1)
	v_add_f32_e32 v3, v3, v8
	v_add_f32_e32 v3, v3, v9
	ds_bpermute_b32 v1, v1, v2
	v_add_f32_e32 v4, v4, v7
	s_wait_dscnt 0x1
	v_cvt_f32_f16_e32 v7, v11
	s_delay_alu instid0(VALU_DEP_1) | instskip(SKIP_2) | instid1(VALU_DEP_2)
	v_dual_add_f32 v3, v3, v7 :: v_dual_add_f32 v4, v4, v6
	s_wait_dscnt 0x0
	v_add_f32_e32 v1, v2, v1
	v_add_f32_e32 v2, v4, v5
	s_delay_alu instid0(VALU_DEP_2) | instskip(NEXT) | instid1(VALU_DEP_2)
	v_div_scale_f32 v4, null, v1, v1, v3
	v_div_scale_f32 v5, null, v1, v1, v2
	v_div_scale_f32 v10, vcc_lo, v3, v1, v3
	s_delay_alu instid0(VALU_DEP_3) | instskip(NEXT) | instid1(VALU_DEP_2)
	v_rcp_f32_e32 v6, v4
	v_rcp_f32_e32 v7, v5
	s_delay_alu instid0(TRANS32_DEP_2) | instskip(NEXT) | instid1(TRANS32_DEP_1)
	v_fma_f32 v8, -v4, v6, 1.0
	v_fma_f32 v9, -v5, v7, 1.0
	s_delay_alu instid0(VALU_DEP_1) | instskip(SKIP_1) | instid1(VALU_DEP_1)
	v_dual_fmac_f32 v7, v9, v7 :: v_dual_fmac_f32 v6, v8, v6
	v_div_scale_f32 v8, s0, v2, v1, v2
	v_dual_mul_f32 v11, v8, v7 :: v_dual_mul_f32 v9, v10, v6
	s_delay_alu instid0(VALU_DEP_1) | instskip(NEXT) | instid1(VALU_DEP_1)
	v_dual_fma_f32 v13, -v5, v11, v8 :: v_dual_fma_f32 v12, -v4, v9, v10
	v_dual_fmac_f32 v11, v13, v7 :: v_dual_fmac_f32 v9, v12, v6
	s_delay_alu instid0(VALU_DEP_1) | instskip(NEXT) | instid1(VALU_DEP_1)
	v_dual_fma_f32 v5, -v5, v11, v8 :: v_dual_fma_f32 v4, -v4, v9, v10
	v_div_fmas_f32 v4, v4, v6, v9
	s_mov_b32 vcc_lo, s0
	v_cmp_eq_u32_e64 s0, 0, v172
	s_delay_alu instid0(VALU_DEP_3)
	v_div_fmas_f32 v5, v5, v7, v11
	s_cselect_b32 vcc_lo, -1, 0
	v_div_fixup_f32 v4, v4, v1, v3
	s_cmp_lg_u32 s1, 1
	v_lshl_or_b32 v6, s2, 8, v172
	v_div_fixup_f32 v5, v5, v1, v2
	s_cselect_b32 s1, -1, 0
	v_cndmask_b32_e32 v3, v3, v4, vcc_lo
	s_and_b32 s0, s0, s1
	s_delay_alu instid0(VALU_DEP_2)
	v_cndmask_b32_e32 v2, v2, v5, vcc_lo
	s_clause 0x1
	global_store_b32 v6, v3, s[20:21] scale_offset
	global_store_b32 v6, v2, s[20:21] offset:512 scale_offset
	s_wait_xcnt 0x0
	s_and_saveexec_b32 s1, s0
	s_cbranch_execz .LBB27_40
; %bb.39:
	v_mov_b32_e32 v2, s2
	global_store_b64 v2, v[0:1], s[22:23] scale_offset
.LBB27_40:
	s_sendmsg sendmsg(MSG_DEALLOC_VGPRS)
	s_endpgm
	.section	.rodata,"a",@progbits
	.p2align	6, 0x0
	.amdhsa_kernel _ZL18flash_attn_ext_vecILi256ELi1EL9ggml_type6ELS0_6ELb1EEvPKcS2_S2_S2_S2_PKiPfP15HIP_vector_typeIfLj2EEffffjfiS6_IjLj3EEiiiiiiiiiiiliiliiiiil
		.amdhsa_group_segment_fixed_size 2304
		.amdhsa_private_segment_fixed_size 0
		.amdhsa_kernarg_size 464
		.amdhsa_user_sgpr_count 2
		.amdhsa_user_sgpr_dispatch_ptr 0
		.amdhsa_user_sgpr_queue_ptr 0
		.amdhsa_user_sgpr_kernarg_segment_ptr 1
		.amdhsa_user_sgpr_dispatch_id 0
		.amdhsa_user_sgpr_kernarg_preload_length 0
		.amdhsa_user_sgpr_kernarg_preload_offset 0
		.amdhsa_user_sgpr_private_segment_size 0
		.amdhsa_wavefront_size32 1
		.amdhsa_uses_dynamic_stack 0
		.amdhsa_enable_private_segment 0
		.amdhsa_system_sgpr_workgroup_id_x 1
		.amdhsa_system_sgpr_workgroup_id_y 1
		.amdhsa_system_sgpr_workgroup_id_z 1
		.amdhsa_system_sgpr_workgroup_info 0
		.amdhsa_system_vgpr_workitem_id 1
		.amdhsa_next_free_vgpr 213
		.amdhsa_next_free_sgpr 59
		.amdhsa_named_barrier_count 0
		.amdhsa_reserve_vcc 1
		.amdhsa_float_round_mode_32 0
		.amdhsa_float_round_mode_16_64 0
		.amdhsa_float_denorm_mode_32 3
		.amdhsa_float_denorm_mode_16_64 3
		.amdhsa_fp16_overflow 0
		.amdhsa_memory_ordered 1
		.amdhsa_forward_progress 1
		.amdhsa_inst_pref_size 255
		.amdhsa_round_robin_scheduling 0
		.amdhsa_exception_fp_ieee_invalid_op 0
		.amdhsa_exception_fp_denorm_src 0
		.amdhsa_exception_fp_ieee_div_zero 0
		.amdhsa_exception_fp_ieee_overflow 0
		.amdhsa_exception_fp_ieee_underflow 0
		.amdhsa_exception_fp_ieee_inexact 0
		.amdhsa_exception_int_div_zero 0
	.end_amdhsa_kernel
	.section	.text._ZL18flash_attn_ext_vecILi256ELi1EL9ggml_type6ELS0_6ELb1EEvPKcS2_S2_S2_S2_PKiPfP15HIP_vector_typeIfLj2EEffffjfiS6_IjLj3EEiiiiiiiiiiiliiliiiiil,"axG",@progbits,_ZL18flash_attn_ext_vecILi256ELi1EL9ggml_type6ELS0_6ELb1EEvPKcS2_S2_S2_S2_PKiPfP15HIP_vector_typeIfLj2EEffffjfiS6_IjLj3EEiiiiiiiiiiiliiliiiiil,comdat
.Lfunc_end27:
	.size	_ZL18flash_attn_ext_vecILi256ELi1EL9ggml_type6ELS0_6ELb1EEvPKcS2_S2_S2_S2_PKiPfP15HIP_vector_typeIfLj2EEffffjfiS6_IjLj3EEiiiiiiiiiiiliiliiiiil, .Lfunc_end27-_ZL18flash_attn_ext_vecILi256ELi1EL9ggml_type6ELS0_6ELb1EEvPKcS2_S2_S2_S2_PKiPfP15HIP_vector_typeIfLj2EEffffjfiS6_IjLj3EEiiiiiiiiiiiliiliiiiil
                                        ; -- End function
	.set _ZL18flash_attn_ext_vecILi256ELi1EL9ggml_type6ELS0_6ELb1EEvPKcS2_S2_S2_S2_PKiPfP15HIP_vector_typeIfLj2EEffffjfiS6_IjLj3EEiiiiiiiiiiiliiliiiiil.num_vgpr, 213
	.set _ZL18flash_attn_ext_vecILi256ELi1EL9ggml_type6ELS0_6ELb1EEvPKcS2_S2_S2_S2_PKiPfP15HIP_vector_typeIfLj2EEffffjfiS6_IjLj3EEiiiiiiiiiiiliiliiiiil.num_agpr, 0
	.set _ZL18flash_attn_ext_vecILi256ELi1EL9ggml_type6ELS0_6ELb1EEvPKcS2_S2_S2_S2_PKiPfP15HIP_vector_typeIfLj2EEffffjfiS6_IjLj3EEiiiiiiiiiiiliiliiiiil.numbered_sgpr, 59
	.set _ZL18flash_attn_ext_vecILi256ELi1EL9ggml_type6ELS0_6ELb1EEvPKcS2_S2_S2_S2_PKiPfP15HIP_vector_typeIfLj2EEffffjfiS6_IjLj3EEiiiiiiiiiiiliiliiiiil.num_named_barrier, 0
	.set _ZL18flash_attn_ext_vecILi256ELi1EL9ggml_type6ELS0_6ELb1EEvPKcS2_S2_S2_S2_PKiPfP15HIP_vector_typeIfLj2EEffffjfiS6_IjLj3EEiiiiiiiiiiiliiliiiiil.private_seg_size, 0
	.set _ZL18flash_attn_ext_vecILi256ELi1EL9ggml_type6ELS0_6ELb1EEvPKcS2_S2_S2_S2_PKiPfP15HIP_vector_typeIfLj2EEffffjfiS6_IjLj3EEiiiiiiiiiiiliiliiiiil.uses_vcc, 1
	.set _ZL18flash_attn_ext_vecILi256ELi1EL9ggml_type6ELS0_6ELb1EEvPKcS2_S2_S2_S2_PKiPfP15HIP_vector_typeIfLj2EEffffjfiS6_IjLj3EEiiiiiiiiiiiliiliiiiil.uses_flat_scratch, 0
	.set _ZL18flash_attn_ext_vecILi256ELi1EL9ggml_type6ELS0_6ELb1EEvPKcS2_S2_S2_S2_PKiPfP15HIP_vector_typeIfLj2EEffffjfiS6_IjLj3EEiiiiiiiiiiiliiliiiiil.has_dyn_sized_stack, 0
	.set _ZL18flash_attn_ext_vecILi256ELi1EL9ggml_type6ELS0_6ELb1EEvPKcS2_S2_S2_S2_PKiPfP15HIP_vector_typeIfLj2EEffffjfiS6_IjLj3EEiiiiiiiiiiiliiliiiiil.has_recursion, 0
	.set _ZL18flash_attn_ext_vecILi256ELi1EL9ggml_type6ELS0_6ELb1EEvPKcS2_S2_S2_S2_PKiPfP15HIP_vector_typeIfLj2EEffffjfiS6_IjLj3EEiiiiiiiiiiiliiliiiiil.has_indirect_call, 0
	.section	.AMDGPU.csdata,"",@progbits
; Kernel info:
; codeLenInByte = 47064
; TotalNumSgprs: 61
; NumVgprs: 213
; ScratchSize: 0
; MemoryBound: 0
; FloatMode: 240
; IeeeMode: 1
; LDSByteSize: 2304 bytes/workgroup (compile time only)
; SGPRBlocks: 0
; VGPRBlocks: 13
; NumSGPRsForWavesPerEU: 61
; NumVGPRsForWavesPerEU: 213
; NamedBarCnt: 0
; Occupancy: 4
; WaveLimiterHint : 0
; COMPUTE_PGM_RSRC2:SCRATCH_EN: 0
; COMPUTE_PGM_RSRC2:USER_SGPR: 2
; COMPUTE_PGM_RSRC2:TRAP_HANDLER: 0
; COMPUTE_PGM_RSRC2:TGID_X_EN: 1
; COMPUTE_PGM_RSRC2:TGID_Y_EN: 1
; COMPUTE_PGM_RSRC2:TGID_Z_EN: 1
; COMPUTE_PGM_RSRC2:TIDIG_COMP_CNT: 1
	.section	.text._ZL18flash_attn_ext_vecILi256ELi2EL9ggml_type6ELS0_6ELb0EEvPKcS2_S2_S2_S2_PKiPfP15HIP_vector_typeIfLj2EEffffjfiS6_IjLj3EEiiiiiiiiiiiliiliiiiil,"axG",@progbits,_ZL18flash_attn_ext_vecILi256ELi2EL9ggml_type6ELS0_6ELb0EEvPKcS2_S2_S2_S2_PKiPfP15HIP_vector_typeIfLj2EEffffjfiS6_IjLj3EEiiiiiiiiiiiliiliiiiil,comdat
	.globl	_ZL18flash_attn_ext_vecILi256ELi2EL9ggml_type6ELS0_6ELb0EEvPKcS2_S2_S2_S2_PKiPfP15HIP_vector_typeIfLj2EEffffjfiS6_IjLj3EEiiiiiiiiiiiliiliiiiil ; -- Begin function _ZL18flash_attn_ext_vecILi256ELi2EL9ggml_type6ELS0_6ELb0EEvPKcS2_S2_S2_S2_PKiPfP15HIP_vector_typeIfLj2EEffffjfiS6_IjLj3EEiiiiiiiiiiiliiliiiiil
	.p2align	8
	.type	_ZL18flash_attn_ext_vecILi256ELi2EL9ggml_type6ELS0_6ELb0EEvPKcS2_S2_S2_S2_PKiPfP15HIP_vector_typeIfLj2EEffffjfiS6_IjLj3EEiiiiiiiiiiiliiliiiiil,@function
_ZL18flash_attn_ext_vecILi256ELi2EL9ggml_type6ELS0_6ELb0EEvPKcS2_S2_S2_S2_PKiPfP15HIP_vector_typeIfLj2EEffffjfiS6_IjLj3EEiiiiiiiiiiiliiliiiiil: ; @_ZL18flash_attn_ext_vecILi256ELi2EL9ggml_type6ELS0_6ELb0EEvPKcS2_S2_S2_S2_PKiPfP15HIP_vector_typeIfLj2EEffffjfiS6_IjLj3EEiiiiiiiiiiiliiliiiiil
; %bb.0:
	s_clause 0x2
	s_load_b64 s[28:29], s[2:3], 0x64
	s_load_b64 s[36:37], s[2:3], 0x80
	s_load_b64 s[38:39], s[2:3], 0xb8
	s_bfe_u32 s6, ttmp6, 0x40014
	s_lshr_b32 s5, ttmp7, 16
	s_add_co_i32 s6, s6, 1
	s_bfe_u32 s8, ttmp6, 0x40008
	s_mul_i32 s6, s5, s6
	s_getreg_b32 s7, hwreg(HW_REG_IB_STS2, 6, 4)
	s_add_co_i32 s8, s8, s6
	s_load_b128 s[24:27], s[2:3], 0x40
	v_mov_b32_e32 v237, 1.0
	s_mov_b32 s41, 0
	s_wait_kmcnt 0x0
	s_cvt_f32_u32 s4, s29
	s_sub_co_i32 s9, 0, s29
	s_delay_alu instid0(SALU_CYCLE_2) | instskip(SKIP_1) | instid1(TRANS32_DEP_1)
	v_rcp_iflag_f32_e32 v1, s4
	v_nop
	v_readfirstlane_b32 s4, v1
	s_mul_f32 s4, s4, 0x4f7ffffe
	s_delay_alu instid0(SALU_CYCLE_3) | instskip(NEXT) | instid1(SALU_CYCLE_3)
	s_cvt_u32_f32 s4, s4
	s_mul_i32 s9, s9, s4
	s_delay_alu instid0(SALU_CYCLE_1) | instskip(NEXT) | instid1(SALU_CYCLE_1)
	s_mul_hi_u32 s9, s4, s9
	s_add_co_i32 s4, s4, s9
	s_cmp_eq_u32 s7, 0
	s_cselect_b32 s5, s5, s8
	s_delay_alu instid0(SALU_CYCLE_1) | instskip(NEXT) | instid1(SALU_CYCLE_1)
	s_mul_hi_u32 s4, s5, s4
	s_mul_i32 s6, s4, s29
	s_add_co_i32 s8, s4, 1
	s_sub_co_i32 s6, s5, s6
	s_delay_alu instid0(SALU_CYCLE_1)
	s_sub_co_i32 s9, s6, s29
	s_cmp_ge_u32 s6, s29
	s_cselect_b32 s4, s8, s4
	s_cselect_b32 s6, s9, s6
	s_add_co_i32 s8, s4, 1
	s_cmp_ge_u32 s6, s29
	s_cselect_b32 s30, s8, s4
	s_abs_i32 s4, s37
	s_abs_i32 s10, s29
	s_cvt_f32_u32 s6, s4
	s_sub_co_i32 s8, 0, s4
	s_xor_b32 s9, s29, s37
	s_delay_alu instid0(SALU_CYCLE_1) | instskip(SKIP_2) | instid1(TRANS32_DEP_1)
	v_rcp_iflag_f32_e32 v1, s6
	s_ashr_i32 s9, s9, 31
	v_nop
	v_readfirstlane_b32 s6, v1
	s_mul_f32 s6, s6, 0x4f7ffffe
	s_delay_alu instid0(SALU_CYCLE_3) | instskip(NEXT) | instid1(SALU_CYCLE_3)
	s_cvt_u32_f32 s6, s6
	s_mul_i32 s8, s8, s6
	s_delay_alu instid0(SALU_CYCLE_1) | instskip(NEXT) | instid1(SALU_CYCLE_1)
	s_mul_hi_u32 s8, s6, s8
	s_add_co_i32 s6, s6, s8
	s_mul_i32 s8, s30, s29
	s_mul_hi_u32 s6, s10, s6
	s_sub_co_i32 s34, s5, s8
	s_mul_i32 s11, s6, s4
	s_add_co_i32 s8, s6, 1
	s_sub_co_i32 s5, s10, s11
	s_delay_alu instid0(SALU_CYCLE_1)
	s_sub_co_i32 s10, s5, s4
	s_cmp_ge_u32 s5, s4
	s_cselect_b32 s6, s8, s6
	s_cselect_b32 s5, s10, s5
	s_add_co_i32 s8, s6, 1
	s_cmp_ge_u32 s5, s4
	s_cselect_b32 s4, s8, s6
	s_load_b32 s6, s[2:3], 0x50
	s_xor_b32 s4, s4, s9
	s_abs_i32 s37, s38
	s_sub_co_i32 s31, s4, s9
	s_cvt_f32_u32 s4, s37
	s_abs_i32 s43, s31
	s_cmp_le_f32 s25, 0
	s_cvt_f32_u32 s5, s43
	v_rcp_iflag_f32_e32 v1, s4
	s_mov_b32 s4, s24
	s_delay_alu instid0(SALU_CYCLE_1) | instskip(SKIP_1) | instid1(TRANS32_DEP_2)
	v_rcp_iflag_f32_e32 v2, s5
	s_mov_b32 s5, s25
	v_readfirstlane_b32 s40, v1
	s_delay_alu instid0(TRANS32_DEP_1)
	v_readfirstlane_b32 s44, v2
	s_cbranch_scc1 .LBB28_2
; %bb.1:
	s_wait_kmcnt 0x0
	v_sub_co_u32 v1, s6, s34, s6
	s_and_b32 s9, s6, exec_lo
	s_cselect_b32 s9, s26, s27
	s_add_co_i32 s10, s34, 1
	v_readfirstlane_b32 s8, v1
	s_lshl_b32 s8, s8, 1
	s_delay_alu instid0(SALU_CYCLE_1) | instskip(SKIP_4) | instid1(SALU_CYCLE_3)
	s_or_b32 s8, s8, 1
	s_and_b32 s6, s6, exec_lo
	s_cselect_b32 s6, s10, s8
	s_cmp_neq_f32 s9, 1.0
	s_cvt_f32_i32 s6, s6
	s_cselect_b32 s8, s6, 1.0
	s_delay_alu instid0(SALU_CYCLE_1) | instskip(SKIP_1) | instid1(SALU_CYCLE_1)
	s_cmp_neq_f32 s8, 0
	s_cselect_b32 s6, s9, 1.0
	v_cvt_f64_f32_e64 v[2:3], |s6|
	s_delay_alu instid0(VALU_DEP_1) | instskip(SKIP_1) | instid1(VALU_DEP_1)
	v_frexp_exp_i32_f64_e32 v1, v[2:3]
	v_frexp_mant_f32_e64 v2, |s6|
	v_readfirstlane_b32 s9, v2
	s_cmp_lt_f32 s9, 0x3f2aaaab
	s_cselect_b32 vcc_lo, -1, 0
	s_delay_alu instid0(SALU_CYCLE_1) | instskip(SKIP_1) | instid1(SALU_CYCLE_1)
	s_and_b32 s10, vcc_lo, exec_lo
	s_cselect_b32 s10, 2.0, 1.0
	s_mul_f32 s9, s9, s10
	s_delay_alu instid0(SALU_CYCLE_3) | instskip(SKIP_1) | instid1(SALU_CYCLE_2)
	s_add_f32 s10, s9, 1.0
	s_add_f32 s12, s9, -1.0
	v_s_rcp_f32 s11, s10
	s_add_f32 s15, s10, -1.0
	v_subrev_co_ci_u32_e64 v1, null, 0, v1, vcc_lo
	s_delay_alu instid0(SALU_CYCLE_2) | instskip(NEXT) | instid1(TRANS32_DEP_1)
	s_sub_f32 s9, s9, s15
	s_mul_f32 s13, s12, s11
	v_cvt_f32_i32_e32 v1, v1
	s_delay_alu instid0(SALU_CYCLE_2) | instskip(NEXT) | instid1(SALU_CYCLE_3)
	s_mul_f32 s14, s10, s13
	v_dual_mov_b32 v3, s12 :: v_dual_mov_b32 v4, s14
	s_xor_b32 s16, s14, 0x80000000
	s_delay_alu instid0(SALU_CYCLE_1) | instskip(NEXT) | instid1(SALU_CYCLE_3)
	s_fmac_f32 s16, s13, s10
	s_fmac_f32 s16, s13, s9
	s_delay_alu instid0(SALU_CYCLE_3) | instskip(SKIP_2) | instid1(SALU_CYCLE_1)
	s_add_f32 s9, s14, s16
	v_mov_b32_e32 v6, s16
	s_mov_b32 s14, 0x3e76c4e1
	s_sub_f32 s10, s12, s9
	v_dual_mov_b32 v2, s9 :: v_dual_mov_b32 v7, s9
	s_delay_alu instid0(SALU_CYCLE_2) | instskip(NEXT) | instid1(VALU_DEP_1)
	v_mov_b32_e32 v5, s10
	v_pk_add_f32 v[2:3], v[2:3], v[4:5] neg_lo:[0,1] neg_hi:[0,1]
	s_delay_alu instid0(VALU_DEP_1) | instskip(NEXT) | instid1(VALU_DEP_1)
	v_pk_add_f32 v[2:3], v[2:3], v[6:7] neg_lo:[0,1] neg_hi:[0,1]
	v_readfirstlane_b32 s9, v3
	s_delay_alu instid0(VALU_DEP_2) | instskip(SKIP_1) | instid1(SALU_CYCLE_3)
	v_readfirstlane_b32 s12, v2
	s_add_f32 s9, s12, s9
	s_add_f32 s9, s10, s9
	s_delay_alu instid0(SALU_CYCLE_3) | instskip(NEXT) | instid1(SALU_CYCLE_3)
	s_mul_f32 s9, s11, s9
	s_add_f32 s10, s13, s9
	s_delay_alu instid0(SALU_CYCLE_3) | instskip(SKIP_1) | instid1(SALU_CYCLE_2)
	s_sub_f32 s11, s10, s13
	s_mul_f32 s13, s10, s10
	s_sub_f32 s9, s9, s11
	s_delay_alu instid0(SALU_CYCLE_2) | instskip(NEXT) | instid1(SALU_CYCLE_1)
	s_xor_b32 s11, s13, 0x80000000
	s_fmac_f32 s11, s10, s10
	s_delay_alu instid0(SALU_CYCLE_1) | instskip(NEXT) | instid1(SALU_CYCLE_3)
	s_add_f32 s12, s9, s9
	s_fmac_f32 s11, s10, s12
	s_delay_alu instid0(SALU_CYCLE_3) | instskip(NEXT) | instid1(SALU_CYCLE_3)
	s_add_f32 s12, s13, s11
	s_fmaak_f32 s14, s12, s14, 0x3e91f4c4
	s_sub_f32 s13, s12, s13
	s_delay_alu instid0(SALU_CYCLE_2) | instskip(NEXT) | instid1(SALU_CYCLE_2)
	s_fmaak_f32 s14, s12, s14, 0x3ecccdef
	s_sub_f32 s17, s11, s13
	s_delay_alu instid0(SALU_CYCLE_2) | instskip(NEXT) | instid1(SALU_CYCLE_3)
	s_mul_f32 s15, s12, s14
	s_xor_b32 s16, s15, 0x80000000
	s_delay_alu instid0(SALU_CYCLE_1) | instskip(NEXT) | instid1(SALU_CYCLE_3)
	s_fmac_f32 s16, s12, s14
	s_fmac_f32 s16, s17, s14
	s_delay_alu instid0(SALU_CYCLE_3) | instskip(NEXT) | instid1(SALU_CYCLE_3)
	s_add_f32 s13, s15, s16
	s_sub_f32 s11, s13, s15
	s_add_f32 s14, s13, 0x3f2aaaaa
	s_delay_alu instid0(SALU_CYCLE_2) | instskip(NEXT) | instid1(SALU_CYCLE_2)
	s_sub_f32 s11, s16, s11
	s_add_f32 s15, s14, 0xbf2aaaaa
	s_delay_alu instid0(SALU_CYCLE_2) | instskip(NEXT) | instid1(SALU_CYCLE_2)
	s_add_f32 s11, s11, 0x31739010
	s_sub_f32 s13, s13, s15
	s_delay_alu instid0(SALU_CYCLE_2) | instskip(NEXT) | instid1(SALU_CYCLE_2)
	v_mov_b64_e32 v[2:3], s[10:11]
	v_mov_b64_e32 v[4:5], s[12:13]
	s_delay_alu instid0(VALU_DEP_1) | instskip(SKIP_2) | instid1(VALU_DEP_3)
	v_pk_mul_f32 v[6:7], v[2:3], v[4:5]
	v_pk_add_f32 v[2:3], v[2:3], v[4:5]
	v_mov_b32_e32 v9, s14
	v_xor_b32_e32 v8, 0x80000000, v6
	s_delay_alu instid0(VALU_DEP_3) | instskip(NEXT) | instid1(VALU_DEP_2)
	v_mov_b32_e32 v7, v3
	v_fmac_f32_e64 v8, s12, s10
	s_delay_alu instid0(VALU_DEP_1) | instskip(NEXT) | instid1(VALU_DEP_1)
	v_fmac_f32_e64 v8, s12, s9
	v_fmac_f32_e64 v8, s17, s10
	s_delay_alu instid0(VALU_DEP_1) | instskip(NEXT) | instid1(VALU_DEP_1)
	v_pk_add_f32 v[4:5], v[6:7], v[8:9]
	v_dual_mov_b32 v2, v5 :: v_dual_sub_f32 v7, s14, v5
	v_mul_f32_e32 v12, 0x3f317218, v1
	s_delay_alu instid0(VALU_DEP_2) | instskip(NEXT) | instid1(VALU_DEP_3)
	v_pk_mul_f32 v[10:11], v[4:5], v[2:3]
	v_add_f32_e32 v3, v3, v7
	s_delay_alu instid0(VALU_DEP_3) | instskip(NEXT) | instid1(VALU_DEP_3)
	v_xor_b32_e32 v7, 0x80000000, v12
	v_xor_b32_e32 v2, 0x80000000, v10
	s_delay_alu instid0(VALU_DEP_2) | instskip(NEXT) | instid1(VALU_DEP_2)
	v_dual_sub_f32 v6, v4, v6 :: v_dual_fmac_f32 v7, 0x3f317218, v1
	v_fmac_f32_e32 v2, v4, v5
	s_delay_alu instid0(VALU_DEP_2) | instskip(NEXT) | instid1(VALU_DEP_2)
	v_sub_f32_e32 v6, v8, v6
	v_fmac_f32_e32 v2, v4, v3
	s_delay_alu instid0(VALU_DEP_1) | instskip(SKIP_3) | instid1(VALU_DEP_2)
	v_fmac_f32_e32 v2, v6, v5
	v_fmamk_f32 v4, v1, 0xb102e308, v7
	v_ldexp_f32 v5, s10, 1
	v_ldexp_f32 v1, s9, 1
	v_dual_add_f32 v13, v10, v2 :: v_dual_mov_b32 v11, v5
	s_delay_alu instid0(VALU_DEP_1) | instskip(SKIP_1) | instid1(VALU_DEP_2)
	v_pk_add_f32 v[6:7], v[12:13], v[4:5]
	v_dual_mov_b32 v8, v13 :: v_dual_mov_b32 v3, v13
	v_dual_mov_b32 v9, v7 :: v_dual_mov_b32 v5, v6
	v_mov_b32_e32 v14, v7
	s_delay_alu instid0(VALU_DEP_2) | instskip(NEXT) | instid1(VALU_DEP_1)
	v_pk_add_f32 v[8:9], v[8:9], v[10:11] neg_lo:[0,1] neg_hi:[0,1]
	v_pk_add_f32 v[2:3], v[2:3], v[8:9] neg_lo:[0,1] neg_hi:[0,1]
	s_delay_alu instid0(VALU_DEP_1) | instskip(NEXT) | instid1(VALU_DEP_1)
	v_add_f32_e32 v1, v1, v2
	v_add_f32_e32 v13, v1, v3
	s_delay_alu instid0(VALU_DEP_1) | instskip(SKIP_1) | instid1(VALU_DEP_2)
	v_pk_add_f32 v[2:3], v[6:7], v[12:13]
	v_pk_add_f32 v[8:9], v[6:7], v[12:13] neg_lo:[0,1] neg_hi:[0,1]
	v_mov_b32_e32 v9, v3
	s_delay_alu instid0(VALU_DEP_1) | instskip(SKIP_2) | instid1(VALU_DEP_3)
	v_pk_add_f32 v[10:11], v[4:5], v[8:9]
	v_pk_add_f32 v[4:5], v[4:5], v[8:9] neg_lo:[0,1] neg_hi:[0,1]
	v_dual_mov_b32 v16, v3 :: v_dual_mov_b32 v5, v6
	v_dual_mov_b32 v12, v11 :: v_dual_mov_b32 v17, v11
	s_delay_alu instid0(VALU_DEP_3) | instskip(NEXT) | instid1(VALU_DEP_2)
	v_readfirstlane_b32 s9, v4
	v_pk_add_f32 v[8:9], v[12:13], v[6:7] neg_lo:[0,1] neg_hi:[0,1]
	s_delay_alu instid0(VALU_DEP_2) | instskip(NEXT) | instid1(VALU_DEP_2)
	v_dual_mov_b32 v4, v13 :: v_dual_mov_b32 v10, s9
	v_dual_mov_b32 v15, v8 :: v_dual_mov_b32 v1, v8
	s_delay_alu instid0(VALU_DEP_1) | instskip(NEXT) | instid1(VALU_DEP_2)
	v_pk_add_f32 v[6:7], v[16:17], v[14:15] neg_lo:[0,1] neg_hi:[0,1]
	v_pk_add_f32 v[2:3], v[2:3], v[0:1] neg_lo:[0,1] neg_hi:[0,1]
	v_mov_b32_e32 v2, s9
	s_delay_alu instid0(VALU_DEP_3) | instskip(NEXT) | instid1(VALU_DEP_1)
	v_pk_add_f32 v[4:5], v[4:5], v[6:7] neg_lo:[0,1] neg_hi:[0,1]
	v_pk_add_f32 v[2:3], v[2:3], v[4:5]
	s_delay_alu instid0(VALU_DEP_1) | instskip(NEXT) | instid1(VALU_DEP_2)
	v_readfirstlane_b32 s10, v2
	v_mov_b32_e32 v6, v3
	s_delay_alu instid0(VALU_DEP_1) | instskip(NEXT) | instid1(VALU_DEP_3)
	v_pk_add_f32 v[6:7], v[2:3], v[6:7]
	v_mov_b32_e32 v2, s10
	s_delay_alu instid0(VALU_DEP_2) | instskip(SKIP_1) | instid1(VALU_DEP_2)
	v_pk_add_f32 v[8:9], v[12:13], v[6:7]
	v_mov_b32_e32 v5, v6
	v_readfirstlane_b32 s11, v8
	s_delay_alu instid0(VALU_DEP_1) | instskip(NEXT) | instid1(VALU_DEP_1)
	v_mov_b32_e32 v3, s11
	v_pk_add_f32 v[2:3], v[2:3], v[10:11] neg_lo:[0,1] neg_hi:[0,1]
	s_delay_alu instid0(VALU_DEP_1) | instskip(NEXT) | instid1(VALU_DEP_2)
	v_readfirstlane_b32 s12, v2
	v_pk_add_f32 v[2:3], v[4:5], v[2:3] neg_lo:[0,1] neg_hi:[0,1]
	s_sub_f32 s10, s10, s12
	s_delay_alu instid0(VALU_DEP_1) | instskip(NEXT) | instid1(SALU_CYCLE_2)
	v_readfirstlane_b32 s12, v2
	s_sub_f32 s9, s9, s10
	v_readfirstlane_b32 s10, v3
	s_delay_alu instid0(SALU_CYCLE_2) | instskip(NEXT) | instid1(SALU_CYCLE_3)
	s_add_f32 s9, s12, s9
	s_add_f32 s9, s9, s10
	s_delay_alu instid0(SALU_CYCLE_3) | instskip(NEXT) | instid1(SALU_CYCLE_3)
	s_add_f32 s10, s11, s9
	s_mul_f32 s12, s8, s10
	s_sub_f32 s11, s10, s11
	s_delay_alu instid0(SALU_CYCLE_2) | instskip(NEXT) | instid1(SALU_CYCLE_2)
	s_xor_b32 s13, s12, 0x80000000
	s_sub_f32 s9, s9, s11
	s_fmac_f32 s13, s8, s10
	s_delay_alu instid0(SALU_CYCLE_3) | instskip(SKIP_1) | instid1(SALU_CYCLE_2)
	s_fmac_f32 s13, s8, s9
	v_cmp_class_f32_e64 s9, s12, 0x204
	s_add_f32 s10, s12, s13
	s_and_b32 s9, s9, exec_lo
	s_delay_alu instid0(SALU_CYCLE_2) | instskip(SKIP_1) | instid1(SALU_CYCLE_1)
	s_sub_f32 s9, s10, s12
	s_cselect_b32 s10, s12, s10
	s_and_b32 s11, s10, 0x7fffffff
	s_delay_alu instid0(SALU_CYCLE_1) | instskip(SKIP_1) | instid1(SALU_CYCLE_2)
	s_sub_f32 s9, s13, s9
	s_cmp_neq_f32 s11, 0x7f800000
	s_cselect_b32 s9, s9, 0
	s_cmp_eq_f32 s10, 0x42b17218
	s_cselect_b32 s11, 0x37000000, 0
	s_delay_alu instid0(SALU_CYCLE_1) | instskip(SKIP_1) | instid1(SALU_CYCLE_2)
	s_sub_f32 s10, s10, s11
	s_add_f32 s9, s11, s9
	s_mul_f32 s12, s10, 0x3fb8aa3b
	s_delay_alu instid0(SALU_CYCLE_3) | instskip(SKIP_3) | instid1(SALU_CYCLE_1)
	s_xor_b32 s13, s12, 0x80000000
	s_rndne_f32 s14, s12
	s_fmamk_f32 s13, s10, 0x3fb8aa3b, s13
	s_cmp_nlt_f32 s10, 0xc2ce8ed0
	s_sub_f32 s12, s12, s14
	s_delay_alu instid0(SALU_CYCLE_1)
	s_fmamk_f32 s13, s10, 0x32a5705f, s13
	s_cselect_b32 vcc_lo, -1, 0
	s_cmp_ngt_f32 s10, 0x42b17218
	s_trunc_f32 s10, s8
	s_add_f32 s12, s12, s13
	s_cvt_i32_f32 s13, s14
	s_delay_alu instid0(SALU_CYCLE_2)
	v_s_exp_f32 s12, s12
	v_nop
	s_delay_alu instid0(TRANS32_DEP_1) | instid1(SALU_CYCLE_1)
	v_ldexp_f32 v1, s12, s13
	s_mul_f32 s12, s8, 0.5
	s_delay_alu instid0(VALU_DEP_1) | instskip(SKIP_3) | instid1(VALU_DEP_1)
	v_cndmask_b32_e32 v1, 0, v1, vcc_lo
	s_cselect_b32 vcc_lo, -1, 0
	s_cmp_eq_f32 s10, s8
	s_trunc_f32 s13, s12
	v_cndmask_b32_e32 v1, 0x7f800000, v1, vcc_lo
	s_cselect_b32 s14, -1, 0
	s_delay_alu instid0(SALU_CYCLE_1) | instskip(NEXT) | instid1(VALU_DEP_1)
	s_cmp_neq_f32 s13, s12
	v_fma_f32 v2, s9, v1, v1
	v_cmp_class_f32_e64 vcc_lo, v1, 0x204
	s_cselect_b32 s11, -1, 0
	s_delay_alu instid0(SALU_CYCLE_1)
	s_and_b32 s9, s14, s11
	v_cndmask_b32_e32 v1, v2, v1, vcc_lo
	s_and_b32 s11, s9, exec_lo
	s_cselect_b32 s11, s6, 1.0
	s_cmp_eq_f32 s10, s8
	v_cmp_class_f32_e64 s10, s6, 0x204
	v_bfi_b32 v1, 0x7fffffff, v1, s11
	s_cselect_b32 vcc_lo, -1, 0
	s_cmp_lt_f32 s6, 0
	s_delay_alu instid0(VALU_DEP_1) | instskip(SKIP_2) | instid1(VALU_DEP_1)
	v_cndmask_b32_e32 v2, 0x7fc00000, v1, vcc_lo
	s_cselect_b32 vcc_lo, -1, 0
	s_cmp_eq_f32 s6, 0
	v_cndmask_b32_e32 v1, v1, v2, vcc_lo
	s_cselect_b32 s11, -1, 0
	s_delay_alu instid0(SALU_CYCLE_1) | instskip(SKIP_2) | instid1(SALU_CYCLE_1)
	s_or_b32 vcc_lo, s11, s10
	s_cmp_lt_f32 s8, 0
	s_cselect_b32 s8, -1, 0
	s_xor_b32 s8, s8, s11
	s_delay_alu instid0(SALU_CYCLE_1)
	s_and_b32 s8, s8, exec_lo
	s_cselect_b32 s8, 0, 0x7f800000
	s_and_b32 s9, s9, exec_lo
	s_cselect_b32 s9, s6, 0
	s_cmp_o_f32 s6, s6
	v_mov_b32_e32 v2, s9
	s_delay_alu instid0(VALU_DEP_1) | instskip(NEXT) | instid1(VALU_DEP_1)
	v_bfi_b32 v2, 0x7fffffff, s8, v2
	v_cndmask_b32_e32 v1, v1, v2, vcc_lo
	s_cselect_b32 vcc_lo, -1, 0
	s_delay_alu instid0(VALU_DEP_1)
	v_cndmask_b32_e32 v237, 0x7fc00000, v1, vcc_lo
.LBB28_2:
	s_load_b64 s[26:27], s[0:1], 0x4
	s_load_b512 s[8:23], s[2:3], 0x0
	v_bfe_u32 v225, v0, 10, 10
	v_and_b32_e32 v221, 0x3ff, v0
	v_bfe_u32 v0, v0, 20, 10
	s_wait_xcnt 0x0
	s_bfe_u32 s0, ttmp6, 0x4000c
	s_and_b32 s1, ttmp6, 15
	s_add_co_i32 s0, s0, 1
	v_dual_mov_b32 v28, 0 :: v_dual_lshlrev_b32 v234, 9, v225
	v_lshlrev_b32_e32 v235, 2, v221
	s_wait_kmcnt 0x0
	v_mul_u32_u24_e32 v1, s27, v225
	s_lshr_b32 s6, s26, 16
	s_delay_alu instid0(SALU_CYCLE_1) | instskip(SKIP_1) | instid1(VALU_DEP_1)
	s_mul_i32 s6, s6, s27
	s_mov_b32 s27, exec_lo
	v_mad_u32_u24 v1, s6, v221, v1
	s_mul_i32 s6, ttmp9, s0
	v_cmp_lt_u32_e64 s0, 1, v225
	s_add_co_i32 s1, s1, s6
	s_cmp_eq_u32 s7, 0
	v_add_lshl_u32 v32, v1, v0, 5
	s_cselect_b32 s26, ttmp9, s1
	s_delay_alu instid0(SALU_CYCLE_1) | instskip(NEXT) | instid1(VALU_DEP_1)
	s_lshl_b32 s33, s26, 1
	v_add_nc_u32_e32 v0, 0xa04, v32
	v_add_nc_u32_e32 v1, 0xa0c, v32
	;; [unrolled: 1-line block ×4, first 2 shown]
	ds_store_2addr_b32 v0, v28, v28 offset1:1
	ds_store_2addr_b32 v1, v28, v28 offset1:1
	;; [unrolled: 1-line block ×3, first 2 shown]
	ds_store_2addr_b32 v3, v28, v28 offset0:128 offset1:135
	v_cmpx_gt_u32_e32 2, v225
	s_cbranch_execz .LBB28_17
; %bb.3:
	v_dual_sub_nc_u32 v2, 0, v235 :: v_dual_bitop2_b32 v1, s33, v225 bitop3:0x54
	v_lshl_add_u32 v0, v221, 3, v234
	v_add_nc_u32_e32 v6, v234, v221
	s_mov_b32 s1, exec_lo
	s_delay_alu instid0(VALU_DEP_2)
	v_add_nc_u32_e32 v7, v0, v2
	v_cmpx_le_i32_e64 s28, v1
	s_xor_b32 s1, exec_lo, s1
	s_cbranch_execz .LBB28_7
; %bb.4:
	v_mov_b32_e32 v1, 0
	v_mad_u32_u24 v2, v221, 3, v6
	s_mov_b32 s6, exec_lo
	ds_store_b32 v7, v1
	ds_store_b32 v2, v1 offset:128
	v_cmpx_gt_u32_e32 8, v221
; %bb.5:
	v_mov_b64_e32 v[2:3], 0
	ds_store_b64 v0, v[2:3] offset:256
; %bb.6:
	s_or_b32 exec_lo, exec_lo, s6
                                        ; implicit-def: $vgpr7
                                        ; implicit-def: $vgpr6
.LBB28_7:
	s_and_not1_saveexec_b32 s1, s1
	s_cbranch_execz .LBB28_17
; %bb.8:
	s_load_b96 s[48:50], s[2:3], 0x70
	v_dual_mov_b32 v3, 0 :: v_dual_lshlrev_b32 v2, 2, v235
	s_wait_kmcnt 0x0
	v_mul_lo_u32 v0, s48, v225
	s_mul_i32 s1, s30, s50
	s_mul_i32 s6, s48, s33
	;; [unrolled: 1-line block ×3, first 2 shown]
	s_add_co_i32 s1, s1, s6
	s_mov_b32 s6, exec_lo
	s_add_co_i32 s46, s1, s25
	s_mov_b32 s25, s24
	s_ashr_i32 s47, s46, 31
	s_delay_alu instid0(SALU_CYCLE_1) | instskip(NEXT) | instid1(VALU_DEP_1)
	s_add_nc_u64 s[8:9], s[8:9], s[46:47]
	v_ashrrev_i32_e32 v1, 31, v0
	s_delay_alu instid0(VALU_DEP_1) | instskip(NEXT) | instid1(VALU_DEP_1)
	v_add_nc_u64_e32 v[0:1], s[8:9], v[0:1]
	v_add_nc_u64_e32 v[0:1], v[0:1], v[2:3]
	v_mbcnt_lo_u32_b32 v2, -1, 0
	s_delay_alu instid0(VALU_DEP_1) | instskip(SKIP_4) | instid1(VALU_DEP_3)
	v_xor_b32_e32 v8, 4, v2
	global_load_b128 v[16:19], v[0:1], off
	v_xor_b32_e32 v11, 2, v2
	v_cmp_gt_i32_e32 vcc_lo, 32, v8
	v_cndmask_b32_e32 v8, v2, v8, vcc_lo
	v_cmp_gt_i32_e32 vcc_lo, 32, v11
	s_delay_alu instid0(VALU_DEP_2) | instskip(SKIP_3) | instid1(VALU_DEP_2)
	v_dual_cndmask_b32 v11, v2, v11 :: v_dual_lshlrev_b32 v8, 2, v8
	s_wait_loadcnt 0x0
	v_dual_mov_b32 v4, v19 :: v_dual_mov_b32 v5, v17
	v_dual_mul_f32 v12, s24, v16 :: v_dual_mul_f32 v14, s24, v18
	v_pk_mul_f32 v[4:5], s[4:5], v[4:5] op_sel_hi:[0,1]
	s_delay_alu instid0(VALU_DEP_1) | instskip(NEXT) | instid1(VALU_DEP_1)
	v_max_num_f32_e64 v9, |v12|, |v5|
	v_max3_num_f32 v9, v9, |v14|, |v4|
	ds_bpermute_b32 v10, v8, v9
	s_wait_dscnt 0x0
	v_dual_max_num_f32 v13, v10, v10 :: v_dual_lshlrev_b32 v10, 2, v11
	s_delay_alu instid0(VALU_DEP_1) | instskip(SKIP_4) | instid1(VALU_DEP_1)
	v_dual_max_num_f32 v11, v9, v13 :: v_dual_bitop2_b32 v13, 1, v2 bitop3:0x14
	ds_bpermute_b32 v9, v10, v11
	v_cmp_gt_i32_e32 vcc_lo, 32, v13
	v_cndmask_b32_e32 v2, v2, v13, vcc_lo
	s_wait_dscnt 0x0
	v_dual_max_num_f32 v13, v9, v9 :: v_dual_lshlrev_b32 v9, 2, v2
	s_delay_alu instid0(VALU_DEP_1) | instskip(NEXT) | instid1(VALU_DEP_1)
	v_dual_max_num_f32 v2, v11, v13 :: v_dual_fma_f32 v13, s24, v16, v5
	v_fmac_f32_e32 v13, s24, v18
	ds_bpermute_b32 v11, v9, v2
	s_wait_dscnt 0x0
	v_dual_add_f32 v13, v13, v4 :: v_dual_max_num_f32 v11, v11, v11
	ds_bpermute_b32 v15, v8, v13
	v_max_num_f32_e32 v2, v2, v11
	s_delay_alu instid0(VALU_DEP_1) | instskip(NEXT) | instid1(VALU_DEP_1)
	v_div_scale_f32 v16, null, 0x42fe0000, 0x42fe0000, v2
	v_rcp_f32_e32 v17, v16
	s_wait_dscnt 0x0
	v_add_f32_e32 v11, v13, v15
	s_delay_alu instid0(TRANS32_DEP_1) | instskip(NEXT) | instid1(VALU_DEP_1)
	v_fma_f32 v13, -v16, v17, 1.0
	v_fmac_f32_e32 v17, v13, v17
	v_div_scale_f32 v18, vcc_lo, v2, 0x42fe0000, v2
	s_delay_alu instid0(VALU_DEP_1) | instskip(SKIP_3) | instid1(VALU_DEP_1)
	v_mul_f32_e32 v19, v18, v17
	ds_bpermute_b32 v15, v10, v11
	v_fma_f32 v13, -v16, v19, v18
	s_wait_dscnt 0x0
	v_dual_fmac_f32 v19, v13, v17 :: v_dual_add_f32 v11, v11, v15
	s_delay_alu instid0(VALU_DEP_1) | instskip(SKIP_2) | instid1(VALU_DEP_1)
	v_fma_f32 v15, -v16, v19, v18
	ds_bpermute_b32 v13, v9, v11
	v_div_fmas_f32 v15, v15, v17, v19
	v_div_fixup_f32 v2, v15, 0x42fe0000, v2
	s_delay_alu instid0(VALU_DEP_1)
	v_cmpx_neq_f32_e32 0, v2
	s_cbranch_execz .LBB28_10
; %bb.9:
	v_div_scale_f32 v3, null, v2, v2, v12
	v_div_scale_f32 v15, null, v2, v2, v4
	v_div_scale_f32 v17, null, v2, v2, v5
	s_delay_alu instid0(VALU_DEP_3) | instskip(NEXT) | instid1(VALU_DEP_2)
	v_rcp_f32_e32 v16, v3
	v_rcp_f32_e32 v18, v15
	v_div_scale_f32 v19, null, v2, v2, v14
	s_delay_alu instid0(VALU_DEP_2) | instskip(SKIP_1) | instid1(TRANS32_DEP_3)
	v_rcp_f32_e32 v22, v17
	v_div_scale_f32 v21, vcc_lo, v12, v2, v12
	v_fma_f32 v20, -v3, v16, 1.0
	s_delay_alu instid0(TRANS32_DEP_2) | instskip(SKIP_2) | instid1(VALU_DEP_2)
	v_fma_f32 v23, -v15, v18, 1.0
	v_rcp_f32_e32 v24, v19
	v_div_scale_f32 v29, s4, v5, v2, v5
	v_dual_fmac_f32 v16, v20, v16 :: v_dual_fmac_f32 v18, v23, v18
	v_div_scale_f32 v20, s1, v4, v2, v4
	v_fma_f32 v23, -v17, v22, 1.0
	s_delay_alu instid0(VALU_DEP_3) | instskip(NEXT) | instid1(TRANS32_DEP_1)
	v_mul_f32_e32 v26, v21, v16
	v_fma_f32 v25, -v19, v24, 1.0
	s_delay_alu instid0(VALU_DEP_4) | instskip(NEXT) | instid1(VALU_DEP_4)
	v_mul_f32_e32 v27, v20, v18
	v_fmac_f32_e32 v22, v23, v22
	s_delay_alu instid0(VALU_DEP_3) | instskip(NEXT) | instid1(VALU_DEP_3)
	v_dual_fma_f32 v23, -v3, v26, v21 :: v_dual_fmac_f32 v24, v25, v24
	v_fma_f32 v30, -v15, v27, v20
	v_div_scale_f32 v25, s5, v14, v2, v14
	s_delay_alu instid0(VALU_DEP_3) | instskip(NEXT) | instid1(VALU_DEP_2)
	v_dual_mul_f32 v31, v29, v22 :: v_dual_fmac_f32 v26, v23, v16
	v_dual_fmac_f32 v27, v30, v18 :: v_dual_mul_f32 v23, v25, v24
	s_delay_alu instid0(VALU_DEP_2) | instskip(NEXT) | instid1(VALU_DEP_2)
	v_fma_f32 v3, -v3, v26, v21
	v_fma_f32 v15, -v15, v27, v20
	s_delay_alu instid0(VALU_DEP_3) | instskip(SKIP_1) | instid1(VALU_DEP_4)
	v_fma_f32 v20, -v19, v23, v25
	v_fma_f32 v30, -v17, v31, v29
	v_div_fmas_f32 v3, v3, v16, v26
	s_mov_b32 vcc_lo, s1
	s_delay_alu instid0(VALU_DEP_3) | instskip(SKIP_4) | instid1(VALU_DEP_3)
	v_fmac_f32_e32 v23, v20, v24
	v_div_fmas_f32 v15, v15, v18, v27
	v_fmac_f32_e32 v31, v30, v22
	v_div_fixup_f32 v3, v3, v2, v12
	s_mov_b32 vcc_lo, s4
	v_div_fixup_f32 v4, v15, v2, v4
	s_delay_alu instid0(VALU_DEP_1) | instskip(SKIP_3) | instid1(VALU_DEP_4)
	v_trunc_f32_e32 v12, v4
	v_fma_f32 v16, -v17, v31, v29
	v_fma_f32 v17, -v19, v23, v25
	v_trunc_f32_e32 v19, v3
	v_sub_f32_e32 v20, v4, v12
	s_delay_alu instid0(VALU_DEP_4) | instskip(SKIP_2) | instid1(VALU_DEP_2)
	v_div_fmas_f32 v16, v16, v22, v31
	s_mov_b32 vcc_lo, s5
	v_div_fmas_f32 v17, v17, v24, v23
	v_div_fixup_f32 v5, v16, v2, v5
	s_delay_alu instid0(VALU_DEP_2) | instskip(NEXT) | instid1(VALU_DEP_2)
	v_div_fixup_f32 v14, v17, v2, v14
	v_trunc_f32_e32 v15, v5
	s_delay_alu instid0(VALU_DEP_2) | instskip(NEXT) | instid1(VALU_DEP_1)
	v_trunc_f32_e32 v16, v14
	v_dual_sub_f32 v18, v5, v15 :: v_dual_sub_f32 v17, v14, v16
	s_delay_alu instid0(VALU_DEP_1) | instskip(NEXT) | instid1(VALU_DEP_1)
	v_cmp_ge_f32_e64 s1, |v17|, 0.5
	v_cndmask_b32_e64 v17, 0, 1.0, s1
	s_delay_alu instid0(VALU_DEP_3) | instskip(NEXT) | instid1(VALU_DEP_2)
	v_cmp_ge_f32_e64 s1, |v18|, 0.5
	v_bfi_b32 v14, 0x7fffffff, v17, v14
	s_delay_alu instid0(VALU_DEP_2) | instskip(SKIP_1) | instid1(VALU_DEP_3)
	v_cndmask_b32_e64 v18, 0, 1.0, s1
	v_cmp_ge_f32_e64 s1, |v20|, 0.5
	v_add_f32_e32 v14, v16, v14
	s_delay_alu instid0(VALU_DEP_3) | instskip(NEXT) | instid1(VALU_DEP_3)
	v_bfi_b32 v5, 0x7fffffff, v18, v5
	v_cndmask_b32_e64 v20, 0, 1.0, s1
	s_delay_alu instid0(VALU_DEP_3) | instskip(NEXT) | instid1(VALU_DEP_2)
	v_cvt_i32_f32_e32 v14, v14
	v_bfi_b32 v4, 0x7fffffff, v20, v4
	s_delay_alu instid0(VALU_DEP_1) | instskip(NEXT) | instid1(VALU_DEP_1)
	v_dual_sub_f32 v17, v3, v19 :: v_dual_add_f32 v4, v12, v4
	v_cmp_ge_f32_e64 s1, |v17|, 0.5
	s_delay_alu instid0(VALU_DEP_4) | instskip(SKIP_1) | instid1(VALU_DEP_4)
	v_and_b32_e32 v12, 0xff, v14
	v_add_f32_e32 v5, v15, v5
	v_cvt_i32_f32_e32 v4, v4
	s_delay_alu instid0(VALU_DEP_4) | instskip(NEXT) | instid1(VALU_DEP_4)
	v_cndmask_b32_e64 v16, 0, 1.0, s1
	v_lshlrev_b32_e32 v12, 16, v12
	s_delay_alu instid0(VALU_DEP_4) | instskip(NEXT) | instid1(VALU_DEP_3)
	v_cvt_i32_f32_e32 v5, v5
	v_bfi_b32 v3, 0x7fffffff, v16, v3
	s_delay_alu instid0(VALU_DEP_3) | instskip(NEXT) | instid1(VALU_DEP_3)
	v_lshl_or_b32 v4, v4, 24, v12
	v_and_b32_e32 v5, 0xff, v5
	s_delay_alu instid0(VALU_DEP_1) | instskip(NEXT) | instid1(VALU_DEP_1)
	v_dual_add_f32 v3, v19, v3 :: v_dual_lshlrev_b32 v5, 8, v5
	v_cvt_i32_f32_e32 v3, v3
	s_delay_alu instid0(VALU_DEP_1) | instskip(NEXT) | instid1(VALU_DEP_1)
	v_and_b32_e32 v3, 0xff, v3
	v_or3_b32 v3, v4, v5, v3
.LBB28_10:
	s_or_b32 exec_lo, exec_lo, s6
	v_and_b32_e32 v4, 7, v221
	ds_store_b32 v7, v3
	v_cmp_eq_u32_e64 s1, 0, v4
	s_and_saveexec_b32 s4, s1
	s_cbranch_execz .LBB28_12
; %bb.11:
	s_wait_dscnt 0x1
	v_add_f32_e32 v3, v11, v13
	ds_store_b64 v6, v[2:3] offset:256
.LBB28_12:
	s_or_b32 exec_lo, exec_lo, s4
	s_wait_dscnt 0x1
	global_load_b128 v[12:15], v[0:1], off offset:512
	s_wait_xcnt 0x0
	v_mov_b64_e32 v[0:1], s[24:25]
	s_mov_b32 s8, exec_lo
	s_wait_loadcnt 0x0
	v_dual_mov_b32 v2, v15 :: v_dual_mov_b32 v3, v13
	v_dual_mul_f32 v5, s24, v12 :: v_dual_mul_f32 v11, s24, v14
	s_delay_alu instid0(VALU_DEP_2) | instskip(NEXT) | instid1(VALU_DEP_1)
	v_pk_mul_f32 v[2:3], v[0:1], v[2:3]
	v_max_num_f32_e64 v0, |v5|, |v3|
	v_fma_f32 v4, s24, v12, v3
	s_delay_alu instid0(VALU_DEP_2) | instskip(NEXT) | instid1(VALU_DEP_2)
	v_max3_num_f32 v0, v0, |v11|, |v2|
	v_fmac_f32_e32 v4, s24, v14
	ds_bpermute_b32 v1, v8, v0
	s_wait_dscnt 0x0
	v_max_num_f32_e32 v1, v1, v1
	s_delay_alu instid0(VALU_DEP_1) | instskip(SKIP_3) | instid1(VALU_DEP_1)
	v_max_num_f32_e32 v0, v0, v1
	ds_bpermute_b32 v1, v10, v0
	s_wait_dscnt 0x0
	v_max_num_f32_e32 v1, v1, v1
	v_max_num_f32_e32 v0, v0, v1
	ds_bpermute_b32 v1, v9, v0
	s_wait_dscnt 0x0
	v_dual_add_f32 v4, v4, v2 :: v_dual_max_num_f32 v1, v1, v1
	ds_bpermute_b32 v8, v8, v4
	v_max_num_f32_e32 v0, v0, v1
	s_wait_dscnt 0x0
	v_add_f32_e32 v1, v4, v8
	ds_bpermute_b32 v8, v10, v1
	s_wait_dscnt 0x0
	v_add_f32_e32 v1, v1, v8
	v_div_scale_f32 v12, null, 0x42fe0000, 0x42fe0000, v0
	v_div_scale_f32 v10, vcc_lo, v0, 0x42fe0000, v0
	s_delay_alu instid0(VALU_DEP_2) | instskip(SKIP_1) | instid1(TRANS32_DEP_1)
	v_rcp_f32_e32 v13, v12
	v_nop
	v_fma_f32 v4, -v12, v13, 1.0
	s_delay_alu instid0(VALU_DEP_1) | instskip(NEXT) | instid1(VALU_DEP_1)
	v_fmac_f32_e32 v13, v4, v13
	v_mul_f32_e32 v14, v10, v13
	s_delay_alu instid0(VALU_DEP_1) | instskip(NEXT) | instid1(VALU_DEP_1)
	v_fma_f32 v4, -v12, v14, v10
	v_fmac_f32_e32 v14, v4, v13
	ds_bpermute_b32 v4, v9, v1
	v_fma_f32 v8, -v12, v14, v10
	s_delay_alu instid0(VALU_DEP_1) | instskip(NEXT) | instid1(VALU_DEP_1)
	v_div_fmas_f32 v8, v8, v13, v14
	v_div_fixup_f32 v0, v8, 0x42fe0000, v0
	v_mov_b32_e32 v8, 0
	s_delay_alu instid0(VALU_DEP_2)
	v_cmpx_neq_f32_e32 0, v0
	s_cbranch_execz .LBB28_14
; %bb.13:
	v_div_scale_f32 v8, null, v0, v0, v5
	v_div_scale_f32 v9, null, v0, v0, v2
	;; [unrolled: 1-line block ×3, first 2 shown]
	s_delay_alu instid0(VALU_DEP_3) | instskip(NEXT) | instid1(VALU_DEP_2)
	v_rcp_f32_e32 v10, v8
	v_rcp_f32_e32 v13, v9
	v_div_scale_f32 v14, null, v0, v0, v11
	s_delay_alu instid0(VALU_DEP_2) | instskip(SKIP_1) | instid1(TRANS32_DEP_3)
	v_rcp_f32_e32 v17, v12
	v_div_scale_f32 v16, vcc_lo, v5, v0, v5
	v_fma_f32 v15, -v8, v10, 1.0
	s_delay_alu instid0(TRANS32_DEP_2) | instskip(SKIP_2) | instid1(VALU_DEP_2)
	v_fma_f32 v18, -v9, v13, 1.0
	v_rcp_f32_e32 v19, v14
	v_div_scale_f32 v23, s5, v3, v0, v3
	v_dual_fmac_f32 v10, v15, v10 :: v_dual_fmac_f32 v13, v18, v13
	v_div_scale_f32 v15, s4, v2, v0, v2
	v_fma_f32 v18, -v12, v17, 1.0
	s_delay_alu instid0(TRANS32_DEP_1) | instskip(NEXT) | instid1(VALU_DEP_3)
	v_fma_f32 v20, -v14, v19, 1.0
	v_dual_mul_f32 v21, v16, v10 :: v_dual_mul_f32 v22, v15, v13
	s_delay_alu instid0(VALU_DEP_3) | instskip(NEXT) | instid1(VALU_DEP_2)
	v_fmac_f32_e32 v17, v18, v17
	v_dual_fma_f32 v18, -v8, v21, v16 :: v_dual_fma_f32 v24, -v9, v22, v15
	s_delay_alu instid0(VALU_DEP_2) | instskip(SKIP_1) | instid1(VALU_DEP_3)
	v_dual_fmac_f32 v19, v20, v19 :: v_dual_mul_f32 v25, v23, v17
	v_div_scale_f32 v20, s6, v11, v0, v11
	v_dual_fmac_f32 v21, v18, v10 :: v_dual_fmac_f32 v22, v24, v13
	s_delay_alu instid0(VALU_DEP_2) | instskip(NEXT) | instid1(VALU_DEP_4)
	v_mul_f32_e32 v18, v20, v19
	v_fma_f32 v24, -v12, v25, v23
	s_delay_alu instid0(VALU_DEP_3) | instskip(NEXT) | instid1(VALU_DEP_2)
	v_dual_fma_f32 v8, -v8, v21, v16 :: v_dual_fma_f32 v9, -v9, v22, v15
	v_dual_fma_f32 v15, -v14, v18, v20 :: v_dual_fmac_f32 v25, v24, v17
	s_delay_alu instid0(VALU_DEP_2) | instskip(SKIP_1) | instid1(VALU_DEP_2)
	v_div_fmas_f32 v8, v8, v10, v21
	s_mov_b32 vcc_lo, s4
	v_dual_fmac_f32 v18, v15, v19 :: v_dual_fma_f32 v10, -v12, v25, v23
	v_div_fmas_f32 v9, v9, v13, v22
	s_mov_b32 vcc_lo, s5
	v_div_fixup_f32 v5, v8, v0, v5
	s_delay_alu instid0(VALU_DEP_3)
	v_fma_f32 v12, -v14, v18, v20
	v_div_fmas_f32 v10, v10, v17, v25
	s_mov_b32 vcc_lo, s6
	v_div_fixup_f32 v2, v9, v0, v2
	v_trunc_f32_e32 v14, v5
	v_div_fmas_f32 v12, v12, v19, v18
	v_div_fixup_f32 v3, v10, v0, v3
	s_delay_alu instid0(VALU_DEP_4) | instskip(NEXT) | instid1(VALU_DEP_3)
	v_trunc_f32_e32 v8, v2
	v_div_fixup_f32 v11, v12, v0, v11
	s_delay_alu instid0(VALU_DEP_3) | instskip(NEXT) | instid1(VALU_DEP_3)
	v_trunc_f32_e32 v9, v3
	v_sub_f32_e32 v15, v2, v8
	s_delay_alu instid0(VALU_DEP_3) | instskip(NEXT) | instid1(VALU_DEP_3)
	v_trunc_f32_e32 v10, v11
	v_sub_f32_e32 v13, v3, v9
	s_delay_alu instid0(VALU_DEP_2) | instskip(NEXT) | instid1(VALU_DEP_1)
	v_sub_f32_e32 v12, v11, v10
	v_cmp_ge_f32_e64 s4, |v12|, 0.5
	s_delay_alu instid0(VALU_DEP_1) | instskip(NEXT) | instid1(VALU_DEP_1)
	v_cndmask_b32_e64 v12, 0, 1.0, s4
	v_bfi_b32 v11, 0x7fffffff, v12, v11
	v_sub_f32_e32 v12, v5, v14
	v_cmp_ge_f32_e64 s4, |v13|, 0.5
	s_delay_alu instid0(VALU_DEP_1) | instskip(SKIP_1) | instid1(VALU_DEP_2)
	v_cndmask_b32_e64 v13, 0, 1.0, s4
	v_cmp_ge_f32_e64 s4, |v15|, 0.5
	v_bfi_b32 v3, 0x7fffffff, v13, v3
	s_delay_alu instid0(VALU_DEP_2) | instskip(SKIP_1) | instid1(VALU_DEP_2)
	v_cndmask_b32_e64 v15, 0, 1.0, s4
	v_cmp_ge_f32_e64 s4, |v12|, 0.5
	v_bfi_b32 v2, 0x7fffffff, v15, v2
	v_add_f32_e32 v10, v10, v11
	s_delay_alu instid0(VALU_DEP_3) | instskip(NEXT) | instid1(VALU_DEP_3)
	v_cndmask_b32_e64 v11, 0, 1.0, s4
	v_add_f32_e32 v2, v8, v2
	s_delay_alu instid0(VALU_DEP_2) | instskip(SKIP_2) | instid1(VALU_DEP_4)
	v_bfi_b32 v5, 0x7fffffff, v11, v5
	v_add_f32_e32 v3, v9, v3
	v_cvt_i32_f32_e32 v9, v10
	v_cvt_i32_f32_e32 v2, v2
	s_delay_alu instid0(VALU_DEP_4) | instskip(NEXT) | instid1(VALU_DEP_4)
	v_add_f32_e32 v5, v14, v5
	v_cvt_i32_f32_e32 v3, v3
	s_delay_alu instid0(VALU_DEP_4) | instskip(NEXT) | instid1(VALU_DEP_3)
	v_and_b32_e32 v8, 0xff, v9
	v_cvt_i32_f32_e32 v5, v5
	s_delay_alu instid0(VALU_DEP_3) | instskip(NEXT) | instid1(VALU_DEP_3)
	v_and_b32_e32 v3, 0xff, v3
	v_lshlrev_b32_e32 v8, 16, v8
	s_delay_alu instid0(VALU_DEP_3) | instskip(NEXT) | instid1(VALU_DEP_3)
	v_and_b32_e32 v5, 0xff, v5
	v_lshlrev_b32_e32 v3, 8, v3
	s_delay_alu instid0(VALU_DEP_3) | instskip(NEXT) | instid1(VALU_DEP_1)
	v_lshl_or_b32 v2, v2, 24, v8
	v_or3_b32 v8, v2, v3, v5
.LBB28_14:
	s_or_b32 exec_lo, exec_lo, s8
	ds_store_b32 v7, v8 offset:128
	s_and_saveexec_b32 s4, s1
	s_cbranch_execz .LBB28_16
; %bb.15:
	s_wait_dscnt 0x1
	v_add_f32_e32 v1, v1, v4
	ds_store_b64 v6, v[0:1] offset:288
.LBB28_16:
	s_or_b32 exec_lo, exec_lo, s4
.LBB28_17:
	s_delay_alu instid0(SALU_CYCLE_1) | instskip(SKIP_4) | instid1(VALU_DEP_1)
	s_or_b32 exec_lo, exec_lo, s27
	v_and_b32_e32 v33, 1, v221
	s_wait_dscnt 0x0
	s_barrier_signal -1
	s_barrier_wait -1
	v_lshlrev_b32_e32 v48, 2, v33
	s_cmp_eq_u64 s[18:19], 0
	s_mov_b32 s35, s36
	ds_load_2addr_b32 v[50:51], v48 offset1:2
	ds_load_2addr_b32 v[54:55], v48 offset0:4 offset1:6
	ds_load_2addr_b32 v[56:57], v48 offset0:8 offset1:10
	;; [unrolled: 1-line block ×31, first 2 shown]
	ds_load_b128 v[0:3], v28 offset:256
	ds_load_b128 v[4:7], v28 offset:272
	;; [unrolled: 1-line block ×8, first 2 shown]
	s_wait_dscnt 0x0
	s_barrier_signal -1
	s_barrier_wait -1
	s_cbranch_scc1 .LBB28_19
; %bb.18:
	s_load_b32 s1, s[2:3], 0xd0
	s_wait_kmcnt 0x0
	s_mul_i32 s1, s1, s30
	s_delay_alu instid0(SALU_CYCLE_1)
	s_add_co_i32 s1, s1, s26
	s_load_b32 s35, s[18:19], s1 offset:0x0 scale_offset
.LBB28_19:
	v_lshlrev_b32_e32 v34, 5, v225
	s_wait_xcnt 0x0
	s_bfe_u32 s1, ttmp6, 0x40010
	s_and_b32 s4, ttmp7, 0xffff
	s_add_co_i32 s1, s1, 1
	s_bfe_u32 s5, ttmp6, 0x40004
	s_mul_i32 s1, s4, s1
	v_add_nc_u32_e32 v236, v34, v221
	s_add_co_i32 s5, s5, s1
	s_cmp_eq_u32 s7, 0
	v_add_nc_u32_e32 v239, 0xa00, v32
	s_cselect_b32 s38, s4, s5
	v_mbcnt_lo_u32_b32 v240, -1, 0
	v_lshlrev_b32_e32 v238, 1, v236
	s_lshl_b32 s42, s38, 7
	s_mov_b32 s9, 0
	s_wait_kmcnt 0x0
	s_cmp_ge_i32 s42, s35
	s_cbranch_scc1 .LBB28_31
; %bb.20:
	s_mul_f32 s1, s44, 0x4f7ffffe
	s_mul_f32 s4, s40, 0x4f7ffffe
	s_sub_co_i32 s5, 0, s43
	s_sub_co_i32 s6, 0, s37
	s_cvt_u32_f32 s1, s1
	s_cvt_u32_f32 s7, s4
	s_abs_i32 s40, s34
	v_and_b32_e32 v32, 0x7e, v221
	s_mul_i32 s5, s5, s1
	s_mul_i32 s6, s6, s7
	s_mul_hi_u32 s4, s1, s5
	s_mul_hi_u32 s5, s7, s6
	s_add_co_i32 s4, s1, s4
	s_add_co_i32 s18, s7, s5
	s_mov_b32 s5, s41
	s_ashr_i32 s1, s34, 31
	s_mul_u64 s[44:45], s[40:41], s[4:5]
	s_clause 0x1
	s_load_b64 s[24:25], s[2:3], 0x8c
	s_load_b128 s[4:7], s[2:3], 0x98
	s_ashr_i32 s8, s31, 31
	s_mul_i32 s19, s45, s43
	s_xor_b32 s1, s1, s8
	s_sub_co_i32 s8, s40, s19
	s_abs_i32 s26, s30
	s_ashr_i32 s31, s30, 31
	s_add_co_i32 s19, s45, 1
	s_sub_co_i32 s27, s8, s43
	s_cmp_ge_u32 s8, s43
	v_add_f32_e32 v212, v27, v27
	s_cselect_b32 s19, s19, s45
	s_cselect_b32 s8, s27, s8
	s_add_co_i32 s27, s19, 1
	s_cmp_ge_u32 s8, s43
	s_clause 0x1
	s_load_b64 s[44:45], s[2:3], 0xa8
	s_load_b64 s[46:47], s[2:3], 0xc8
	s_cselect_b32 s8, s27, s19
	s_mov_b32 s27, s41
	s_mov_b32 s19, s41
	s_xor_b32 s8, s8, s1
	s_wait_kmcnt 0x0
	v_mul_lo_u32 v116, v34, s6
	s_mul_u64 s[40:41], s[26:27], s[18:19]
	s_sub_co_i32 s1, s8, s1
	s_mul_i32 s8, s41, s37
	s_mul_i32 s18, s1, s25
	;; [unrolled: 1-line block ×3, first 2 shown]
	s_sub_co_i32 s1, s26, s8
	s_ashr_i32 s19, s18, 31
	s_ashr_i32 s41, s40, 31
	s_sub_co_i32 s7, s1, s37
	s_cmp_ge_u32 s1, s37
	v_add_nc_u32_e32 v118, s6, v116
	s_cselect_b32 s1, s7, s1
	s_mul_u64 s[4:5], s[4:5], s[30:31]
	s_sub_co_i32 s7, s1, s37
	s_cmp_ge_u32 s1, s37
	v_add_nc_u32_e32 v120, s6, v118
	s_cselect_b32 s1, s7, s1
	s_add_nc_u64 s[10:11], s[10:11], s[4:5]
	s_xor_b32 s1, s1, s31
	s_mul_u64 s[4:5], s[44:45], s[30:31]
	v_add_nc_u32_e32 v122, s6, v120
	s_sub_co_i32 s26, s1, s31
	s_load_b32 s1, s[2:3], 0xd4
	s_mul_i32 s44, s39, s33
	s_ashr_i32 s27, s26, 31
	v_add_nc_u32_e32 v124, s6, v122
	s_ashr_i32 s45, s44, 31
	s_lshl_b32 s8, s42, 1
	s_mul_u64 s[26:27], s[46:47], s[26:27]
	s_cmp_lg_u64 s[14:15], 0
	v_add_nc_u32_e32 v126, s6, v124
	s_add_nc_u64 s[26:27], s[14:15], s[26:27]
	s_cselect_b32 s7, -1, 0
	s_add_nc_u64 s[4:5], s[12:13], s[4:5]
	s_add_nc_u64 s[12:13], s[26:27], s[44:45]
	v_add_nc_u32_e32 v128, s6, v126
	s_add_nc_u64 s[26:27], s[4:5], s[40:41]
	v_dual_mov_b32 v49, 0 :: v_dual_bitop2_b32 v35, 1, v240 bitop3:0x14
	s_add_nc_u64 s[4:5], s[12:13], s[8:9]
	s_delay_alu instid0(VALU_DEP_2) | instskip(NEXT) | instid1(VALU_DEP_2)
	v_add_nc_u32_e32 v130, s6, v128
	v_dual_mov_b32 v149, v49 :: v_dual_add_nc_u32 v132, v34, v32
	v_dual_mov_b32 v155, v49 :: v_dual_bitop2_b32 v32, 30, v240 bitop3:0x40
	s_delay_alu instid0(VALU_DEP_3) | instskip(NEXT) | instid1(VALU_DEP_3)
	v_add_nc_u32_e32 v134, s6, v130
	v_mul_lo_u32 v162, v132, s24
	s_delay_alu instid0(VALU_DEP_3) | instskip(NEXT) | instid1(VALU_DEP_3)
	v_dual_mov_b32 v143, v49 :: v_dual_add_nc_u32 v32, 2, v32
	v_dual_mov_b32 v159, v49 :: v_dual_add_nc_u32 v140, s6, v134
	v_mov_b32_e32 v145, v49
	s_wait_kmcnt 0x0
	s_lshl_b32 s14, s1, 7
	v_cmp_lt_i32_e32 vcc_lo, v35, v32
	v_cmp_eq_u32_e64 s1, 0, v33
	v_add_nc_u32_e32 v146, s6, v140
	s_cmp_lt_i32 s33, s28
	v_mov_b32_e32 v151, v49
	s_cselect_b32 s15, -1, 0
	s_mul_i32 s8, s6, s42
	v_add_nc_u32_e32 v152, s6, v146
	s_and_b32 s25, s7, s15
	v_dual_cndmask_b32 v32, v240, v35, vcc_lo :: v_dual_bitop2_b32 v35, 8, v240 bitop3:0x14
	s_delay_alu instid0(VALU_DEP_2) | instskip(SKIP_1) | instid1(VALU_DEP_3)
	v_dual_lshlrev_b32 v246, 1, v34 :: v_dual_add_nc_u32 v156, s6, v152
	v_dual_ashrrev_i32 v163, 31, v162 :: v_dual_bitop2_b32 v33, 4, v240 bitop3:0x14
	v_dual_lshlrev_b32 v241, 2, v32 :: v_dual_mov_b32 v133, v49
	s_delay_alu instid0(VALU_DEP_3)
	v_add_nc_u32_e32 v160, s6, v156
	s_or_b32 s15, s33, 1
	s_add_nc_u64 s[12:13], s[10:11], s[18:19]
	s_add_nc_u64 s[10:11], s[26:27], s[8:9]
	s_mul_i32 s8, s24, s42
	v_add_nc_u32_e32 v164, s6, v160
	s_cmp_lt_i32 s15, s28
	v_dual_add_nc_u32 v174, s24, v162 :: v_dual_add_f32 v216, v13, v13
	v_dual_add_f32 v9, v9, v9 :: v_dual_bitop2_b32 v254, 28, v235 bitop3:0x40
	s_delay_alu instid0(VALU_DEP_3)
	v_add_nc_u32_e32 v166, s6, v164
	s_add_nc_u64 s[12:13], s[12:13], s[8:9]
	s_mul_i32 s8, s14, s24
	s_cselect_b32 s24, -1, 0
	s_ashr_i32 s37, s36, 31
	v_add_nc_u32_e32 v168, s6, v166
	v_ashrrev_i32_e32 v175, 31, v174
	v_add_nc_u64_e32 v[222:223], s[36:37], v[132:133]
	v_bitop3_b32 v136, v48, 12, 24 bitop3:0xc8
	v_dual_mov_b32 v137, v49 :: v_dual_mov_b32 v139, v49
	v_add_nc_u32_e32 v170, s6, v168
	v_add_nc_u32_e32 v172, s36, v132
	v_bitop3_b32 v138, v48, 12, 56 bitop3:0xc8
	v_bitop3_b32 v142, v48, 12, 0x58 bitop3:0xc8
	;; [unrolled: 1-line block ×3, first 2 shown]
	v_add_nc_u32_e32 v176, s6, v170
	v_bitop3_b32 v148, v48, 12, 0x98 bitop3:0xc8
	v_bitop3_b32 v150, v48, 12, 0xb8 bitop3:0xc8
	;; [unrolled: 1-line block ×4, first 2 shown]
	v_add_nc_u32_e32 v178, s6, v176
	v_xor_b32_e32 v32, 2, v240
	v_dual_ashrrev_i32 v117, 31, v116 :: v_dual_ashrrev_i32 v123, 31, v122
	v_dual_ashrrev_i32 v121, 31, v120 :: v_dual_ashrrev_i32 v127, 31, v126
	s_delay_alu instid0(VALU_DEP_4) | instskip(NEXT) | instid1(VALU_DEP_4)
	v_add_nc_u32_e32 v180, s6, v178
	v_cmp_gt_i32_e32 vcc_lo, 32, v32
	v_dual_ashrrev_i32 v129, 31, v128 :: v_dual_bitop2_b32 v188, 12, v235 bitop3:0x40
	s_delay_alu instid0(VALU_DEP_3) | instskip(SKIP_3) | instid1(VALU_DEP_3)
	v_dual_ashrrev_i32 v135, 31, v134 :: v_dual_add_nc_u32 v182, s6, v180
	v_cndmask_b32_e32 v32, v240, v32, vcc_lo
	v_cmp_gt_i32_e32 vcc_lo, 32, v33
	v_dual_ashrrev_i32 v173, 31, v172 :: v_dual_ashrrev_i32 v119, 31, v118
	v_dual_add_nc_u32 v184, s6, v182 :: v_dual_lshlrev_b32 v242, 2, v32
	v_cndmask_b32_e32 v33, v240, v33, vcc_lo
	v_cmp_gt_i32_e32 vcc_lo, 32, v35
	v_dual_mov_b32 v191, v49 :: v_dual_add_nc_u32 v32, 0x80, v235
	s_delay_alu instid0(VALU_DEP_3) | instskip(SKIP_1) | instid1(VALU_DEP_3)
	v_dual_add_nc_u32 v186, s6, v184 :: v_dual_lshlrev_b32 v243, 2, v33
	v_dual_cndmask_b32 v35, v240, v35, vcc_lo :: v_dual_bitop2_b32 v36, 16, v240 bitop3:0x14
	v_dual_mov_b32 v189, v49 :: v_dual_bitop2_b32 v190, 12, v32 bitop3:0x40
	v_dual_ashrrev_i32 v141, 31, v140 :: v_dual_ashrrev_i32 v147, 31, v146
	s_delay_alu instid0(VALU_DEP_3) | instskip(NEXT) | instid1(VALU_DEP_4)
	v_lshlrev_b32_e32 v244, 2, v35
	v_cmp_gt_i32_e32 vcc_lo, 32, v36
	v_dual_add_nc_u32 v192, s6, v186 :: v_dual_ashrrev_i32 v153, 31, v152
	v_ashrrev_i32_e32 v167, 31, v166
	v_dual_cndmask_b32 v36, v240, v36 :: v_dual_ashrrev_i32 v131, 31, v130
	s_delay_alu instid0(VALU_DEP_3) | instskip(SKIP_2) | instid1(VALU_DEP_3)
	v_add_nc_u32_e32 v194, s6, v192
	v_ashrrev_i32_e32 v125, 31, v124
	v_dual_add_f32 v208, v31, v31 :: v_dual_ashrrev_i32 v193, 31, v192
	v_dual_lshlrev_b32 v245, 2, v36 :: v_dual_add_nc_u32 v196, s6, v194
	v_dual_ashrrev_i32 v161, 31, v160 :: v_dual_ashrrev_i32 v179, 31, v178
	v_dual_ashrrev_i32 v171, 31, v170 :: v_dual_ashrrev_i32 v165, 31, v164
	s_delay_alu instid0(VALU_DEP_3) | instskip(SKIP_2) | instid1(VALU_DEP_3)
	v_dual_ashrrev_i32 v183, 31, v182 :: v_dual_add_nc_u32 v198, s6, v196
	v_ashrrev_i32_e32 v157, 31, v156
	v_dual_ashrrev_i32 v169, 31, v168 :: v_dual_ashrrev_i32 v187, 31, v186
	v_dual_ashrrev_i32 v181, 31, v180 :: v_dual_ashrrev_i32 v199, 31, v198
	v_add_nc_u32_e32 v200, s6, v198
	v_dual_add_f32 v210, v29, v29 :: v_dual_ashrrev_i32 v195, 31, v194
	v_dual_mov_b32 v29, v28 :: v_dual_add_f32 v214, v15, v15
	s_delay_alu instid0(VALU_DEP_3) | instskip(SKIP_2) | instid1(VALU_DEP_3)
	v_dual_mov_b32 v213, v212 :: v_dual_add_nc_u32 v202, s6, v200
	v_ashrrev_i32_e32 v177, 31, v176
	v_dual_add_f32 v218, v11, v11 :: v_dual_ashrrev_i32 v201, 31, v200
	v_dual_mov_b32 v215, v214 :: v_dual_add_nc_u32 v204, s6, v202
	v_dual_ashrrev_i32 v185, 31, v184 :: v_dual_ashrrev_i32 v203, 31, v202
	v_dual_mov_b32 v31, v30 :: v_dual_mov_b32 v209, v208
	s_delay_alu instid0(VALU_DEP_3) | instskip(SKIP_1) | instid1(VALU_DEP_2)
	v_dual_add_nc_u32 v206, s6, v204 :: v_dual_ashrrev_i32 v205, 31, v204
	v_dual_ashrrev_i32 v197, 31, v196 :: v_dual_mov_b32 v211, v210
	v_dual_mov_b32 v27, v26 :: v_dual_ashrrev_i32 v207, 31, v206
	v_dual_mov_b32 v15, v14 :: v_dual_mov_b32 v13, v12
	v_dual_mov_b32 v217, v216 :: v_dual_mov_b32 v11, v10
	;; [unrolled: 1-line block ×3, first 2 shown]
	v_dual_mov_b32 v53, v49 :: v_dual_bitop2_b32 v247, 8, v48 bitop3:0x54
	v_dual_add_f32 v1, v1, v1 :: v_dual_bitop2_b32 v248, 16, v48 bitop3:0x54
	v_dual_add_f32 v3, v3, v3 :: v_dual_bitop2_b32 v249, 24, v48 bitop3:0x54
	v_add_f32_e32 v5, v5, v5
	v_bitop3_b32 v250, v48, 28, 56 bitop3:0xc8
	v_bitop3_b32 v251, v48, 28, 0x58 bitop3:0xc8
	;; [unrolled: 1-line block ×5, first 2 shown]
	s_set_vgpr_msb 64                       ;  msbs: dst=1 src0=0 src1=0 src2=0
	v_bitop3_b32 v0 /*v256*/, v48, 28, 0xd8 bitop3:0xc8
	v_bitop3_b32 v1 /*v257*/, v48, 28, 0xf8 bitop3:0xc8
	v_and_b32_e32 v2 /*v258*/, 4, v221
	v_or_b32_e32 v3 /*v259*/, 1, v254
	v_or_b32_e32 v4 /*v260*/, 2, v254
	;; [unrolled: 1-line block ×3, first 2 shown]
	s_set_vgpr_msb 0                        ;  msbs: dst=0 src0=0 src1=0 src2=0
	v_dual_add_f32 v7, v7, v7 :: v_dual_add_f32 v17, v17, v17
	v_dual_add_f32 v19, v19, v19 :: v_dual_add_f32 v21, v21, v21
	;; [unrolled: 1-line block ×3, first 2 shown]
	v_dual_mov_b32 v43, 0xfeffffff :: v_dual_lshrrev_b32 v220, 5, v32
	v_mov_b32_e32 v42, 0xfeffffff
	v_bfe_u32 v224, v221, 3, 27
	v_mov_b32_e32 v226, v49
	s_mov_b32 s15, s9
	s_mul_i32 s18, s14, s6
	s_mov_b32 s19, s9
	s_and_b32 s24, s7, s24
	s_lshl_b64 s[6:7], s[14:15], 1
.LBB28_21:                              ; =>This Inner Loop Header: Depth=1
	v_add_nc_u64_e32 v[38:39], s[12:13], v[162:163]
	s_and_b32 vcc_lo, exec_lo, s25
	s_delay_alu instid0(VALU_DEP_1)
	v_add_nc_u64_e32 v[40:41], v[38:39], v[48:49]
	s_clause 0x1
	global_load_b32 v32, v[40:41], off offset:6
	global_load_b32 v36, v[38:39], off offset:2
	s_wait_loadcnt 0x1
	v_and_b32_e32 v35, 0xf0f0f0f, v32
	s_wait_loadcnt 0x0
	v_ashrrev_i32_e32 v33, v48, v36
	s_delay_alu instid0(VALU_DEP_1) | instskip(NEXT) | instid1(VALU_DEP_1)
	v_lshlrev_b32_e32 v34, 4, v33
	v_dual_lshlrev_b32 v37, 11, v33 :: v_dual_bitop2_b32 v34, 16, v34 bitop3:0x40
	v_dual_lshlrev_b32 v44, 18, v33 :: v_dual_lshlrev_b32 v33, 25, v33
	s_delay_alu instid0(VALU_DEP_2) | instskip(NEXT) | instid1(VALU_DEP_2)
	v_and_b32_e32 v37, 0x1000, v37
	v_and_b32_e32 v44, 0x100000, v44
	s_delay_alu instid0(VALU_DEP_3) | instskip(NEXT) | instid1(VALU_DEP_1)
	v_and_b32_e32 v33, 0x10000000, v33
	v_or3_b32 v33, v33, v35, v44
	v_ashrrev_i32_e32 v35, v247, v36
	s_delay_alu instid0(VALU_DEP_2) | instskip(SKIP_4) | instid1(VALU_DEP_1)
	v_or3_b32 v45, v33, v34, v37
	s_clause 0x1
	global_load_u16 v33, v[38:39], off
	global_load_b32 v34, v[40:41], off offset:14
	v_lshlrev_b32_e32 v37, 4, v35
	v_dual_lshlrev_b32 v46, 11, v35 :: v_dual_bitop2_b32 v37, 16, v37 bitop3:0x40
	v_dual_lshlrev_b32 v47, 18, v35 :: v_dual_lshlrev_b32 v35, 25, v35
	s_delay_alu instid0(VALU_DEP_2) | instskip(NEXT) | instid1(VALU_DEP_2)
	v_and_b32_e32 v46, 0x1000, v46
	v_and_b32_e32 v47, 0x100000, v47
	s_delay_alu instid0(VALU_DEP_3) | instskip(NEXT) | instid1(VALU_DEP_1)
	v_and_b32_e32 v35, 0x10000000, v35
	v_or3_b32 v35, v47, v35, v37
	s_wait_loadcnt 0x0
	v_and_b32_e32 v34, 0xf0f0f0f, v34
	s_delay_alu instid0(VALU_DEP_1) | instskip(SKIP_1) | instid1(VALU_DEP_1)
	v_or3_b32 v46, v35, v46, v34
	v_ashrrev_i32_e32 v34, v248, v36
	v_dual_lshrrev_b32 v32, 4, v32 :: v_dual_lshlrev_b32 v35, 4, v34
	s_delay_alu instid0(VALU_DEP_1) | instskip(NEXT) | instid1(VALU_DEP_2)
	v_and_b32_e32 v32, 0xf0f0f0f, v32
	v_dual_lshlrev_b32 v37, 11, v34 :: v_dual_bitop2_b32 v35, 16, v35 bitop3:0x40
	v_dual_lshlrev_b32 v47, 18, v34 :: v_dual_lshlrev_b32 v34, 25, v34
	s_delay_alu instid0(VALU_DEP_2) | instskip(NEXT) | instid1(VALU_DEP_2)
	v_and_b32_e32 v37, 0x1000, v37
	v_and_b32_e32 v47, 0x100000, v47
	s_delay_alu instid0(VALU_DEP_3) | instskip(NEXT) | instid1(VALU_DEP_1)
	v_and_b32_e32 v34, 0x10000000, v34
	v_or3_b32 v32, v34, v32, v47
	s_delay_alu instid0(VALU_DEP_1)
	v_or3_b32 v47, v32, v35, v37
	v_add_nc_u64_e32 v[34:35], v[38:39], v[136:137]
	global_load_b32 v32, v[34:35], off offset:6
	s_wait_xcnt 0x0
	v_ashrrev_i32_e32 v34, v249, v36
	v_cvt_f32_f16_e32 v44, v33
	s_delay_alu instid0(VALU_DEP_2) | instskip(NEXT) | instid1(VALU_DEP_1)
	v_lshlrev_b32_e32 v35, 4, v34
	v_dual_lshlrev_b32 v36, 11, v34 :: v_dual_bitop2_b32 v35, 16, v35 bitop3:0x40
	v_dual_lshlrev_b32 v37, 18, v34 :: v_dual_lshlrev_b32 v34, 25, v34
	s_delay_alu instid0(VALU_DEP_2) | instskip(NEXT) | instid1(VALU_DEP_2)
	v_and_b32_e32 v36, 0x1000, v36
	v_and_b32_e32 v37, 0x100000, v37
	s_delay_alu instid0(VALU_DEP_3) | instskip(NEXT) | instid1(VALU_DEP_1)
	v_and_b32_e32 v34, 0x10000000, v34
	v_or3_b32 v34, v37, v34, v35
	s_wait_loadcnt 0x0
	v_lshrrev_b32_e32 v32, 4, v32
	s_delay_alu instid0(VALU_DEP_1) | instskip(NEXT) | instid1(VALU_DEP_1)
	v_and_b32_e32 v32, 0xf0f0f0f, v32
	v_or3_b32 v133, v34, v36, v32
	s_clause 0x1
	global_load_b32 v32, v[40:41], off offset:28
	global_load_b32 v34, v[38:39], off offset:24
	s_wait_loadcnt 0x1
	v_and_b32_e32 v37, 0xf0f0f0f, v32
	s_wait_loadcnt 0x0
	v_dual_ashrrev_i32 v35, v48, v34 :: v_dual_lshrrev_b32 v32, 4, v32
	s_delay_alu instid0(VALU_DEP_1) | instskip(NEXT) | instid1(VALU_DEP_1)
	v_lshlrev_b32_e32 v36, 4, v35
	v_dual_lshlrev_b32 v227, 11, v35 :: v_dual_bitop2_b32 v36, 16, v36 bitop3:0x40
	v_dual_lshlrev_b32 v228, 18, v35 :: v_dual_lshlrev_b32 v35, 25, v35
	s_delay_alu instid0(VALU_DEP_2) | instskip(NEXT) | instid1(VALU_DEP_2)
	v_and_b32_e32 v227, 0x1000, v227
	v_and_b32_e32 v228, 0x100000, v228
	s_delay_alu instid0(VALU_DEP_3) | instskip(NEXT) | instid1(VALU_DEP_1)
	v_and_b32_e32 v35, 0x10000000, v35
	v_or3_b32 v35, v35, v37, v228
	v_ashrrev_i32_e32 v37, v247, v34
	s_delay_alu instid0(VALU_DEP_2) | instskip(SKIP_4) | instid1(VALU_DEP_1)
	v_or3_b32 v228, v35, v36, v227
	s_clause 0x1
	global_load_u16 v35, v[38:39], off offset:22
	global_load_b32 v36, v[40:41], off offset:36
	v_lshlrev_b32_e32 v229, 4, v37
	v_and_b32_e32 v229, 16, v229
	v_dual_lshlrev_b32 v230, 11, v37 :: v_dual_lshlrev_b32 v231, 18, v37
	v_lshlrev_b32_e32 v37, 25, v37
	s_delay_alu instid0(VALU_DEP_2) | instskip(NEXT) | instid1(VALU_DEP_3)
	v_and_b32_e32 v230, 0x1000, v230
	v_and_b32_e32 v231, 0x100000, v231
	s_delay_alu instid0(VALU_DEP_3) | instskip(NEXT) | instid1(VALU_DEP_1)
	v_and_b32_e32 v37, 0x10000000, v37
	v_or3_b32 v37, v231, v37, v229
	s_wait_loadcnt 0x0
	v_and_b32_e32 v36, 0xf0f0f0f, v36
	s_delay_alu instid0(VALU_DEP_1) | instskip(SKIP_2) | instid1(VALU_DEP_2)
	v_or3_b32 v229, v37, v230, v36
	v_ashrrev_i32_e32 v36, v248, v34
	v_and_b32_e32 v32, 0xf0f0f0f, v32
	v_dual_ashrrev_i32 v34, v250, v34 :: v_dual_lshlrev_b32 v37, 4, v36
	v_dual_lshlrev_b32 v230, 11, v36 :: v_dual_lshlrev_b32 v231, 18, v36
	s_delay_alu instid0(VALU_DEP_2) | instskip(NEXT) | instid1(VALU_DEP_2)
	v_dual_lshlrev_b32 v36, 25, v36 :: v_dual_bitop2_b32 v37, 16, v37 bitop3:0x40
	v_and_b32_e32 v230, 0x1000, v230
	s_delay_alu instid0(VALU_DEP_3) | instskip(NEXT) | instid1(VALU_DEP_3)
	v_and_b32_e32 v231, 0x100000, v231
	v_and_b32_e32 v36, 0x10000000, v36
	s_delay_alu instid0(VALU_DEP_1) | instskip(SKIP_1) | instid1(VALU_DEP_2)
	v_or3_b32 v32, v36, v32, v231
	v_lshlrev_b32_e32 v231, 18, v34
	v_or3_b32 v230, v32, v37, v230
	v_add_nc_u64_e32 v[36:37], v[38:39], v[138:139]
	global_load_b32 v32, v[36:37], off offset:28
	v_cvt_f32_f16_e64 v227, v35
	s_wait_xcnt 0x0
	v_dual_lshlrev_b32 v36, 4, v34 :: v_dual_lshlrev_b32 v37, 11, v34
	v_lshlrev_b32_e32 v34, 25, v34
	v_and_b32_e32 v231, 0x100000, v231
	s_delay_alu instid0(VALU_DEP_3) | instskip(NEXT) | instid1(VALU_DEP_4)
	v_and_b32_e32 v36, 16, v36
	v_and_b32_e32 v37, 0x1000, v37
	s_delay_alu instid0(VALU_DEP_4) | instskip(NEXT) | instid1(VALU_DEP_1)
	v_and_b32_e32 v34, 0x10000000, v34
	v_or3_b32 v34, v231, v34, v36
	s_wait_loadcnt 0x0
	v_lshrrev_b32_e32 v32, 4, v32
	s_delay_alu instid0(VALU_DEP_1) | instskip(NEXT) | instid1(VALU_DEP_1)
	v_and_b32_e32 v32, 0xf0f0f0f, v32
	v_or3_b32 v231, v34, v37, v32
	s_clause 0x3
	global_load_b32 v32, v[40:41], off offset:50
	global_load_b32 v34, v[38:39], off offset:46
	s_set_vgpr_msb 64                       ;  msbs: dst=1 src0=0 src1=0 src2=0
	global_load_u16 v28 /*v284*/, v[38:39], off offset:44
	s_wait_loadcnt 0x2
	s_set_vgpr_msb 0                        ;  msbs: dst=0 src0=0 src1=0 src2=0
	v_and_b32_e32 v232, 0xf0f0f0f, v32
	s_wait_loadcnt 0x1
	v_dual_ashrrev_i32 v36, v48, v34 :: v_dual_lshrrev_b32 v32, 4, v32
	s_delay_alu instid0(VALU_DEP_1) | instskip(NEXT) | instid1(VALU_DEP_2)
	v_lshlrev_b32_e32 v37, 4, v36
	v_and_b32_e32 v32, 0xf0f0f0f, v32
	s_delay_alu instid0(VALU_DEP_2)
	v_dual_lshlrev_b32 v233, 11, v36 :: v_dual_bitop2_b32 v37, 16, v37 bitop3:0x40
	s_set_vgpr_msb 64                       ;  msbs: dst=1 src0=0 src1=0 src2=0
	v_lshlrev_b32_e32 v6 /*v262*/, 18, v36
	s_set_vgpr_msb 0                        ;  msbs: dst=0 src0=0 src1=0 src2=0
	v_lshlrev_b32_e32 v36, 25, v36
	v_and_b32_e32 v233, 0x1000, v233
	s_set_vgpr_msb 0x44                     ;  msbs: dst=1 src0=0 src1=1 src2=0
	v_and_b32_e32 v6 /*v262*/, 0x100000, v6 /*v262*/
	s_set_vgpr_msb 16                       ;  msbs: dst=0 src0=0 src1=0 src2=1
	v_and_b32_e32 v36, 0x10000000, v36
	s_delay_alu instid0(VALU_DEP_1) | instskip(SKIP_1) | instid1(VALU_DEP_1)
	v_or3_b32 v36, v36, v232, v6 /*v262*/
	s_set_vgpr_msb 0                        ;  msbs: dst=0 src0=0 src1=0 src2=0
	v_or3_b32 v233, v36, v37, v233
	global_load_b32 v36, v[40:41], off offset:58
	v_ashrrev_i32_e32 v37, v247, v34
	s_set_vgpr_msb 64                       ;  msbs: dst=1 src0=0 src1=0 src2=0
	s_delay_alu instid0(VALU_DEP_1)
	v_dual_lshlrev_b32 v6 /*v262*/, 4, v37 :: v_dual_lshlrev_b32 v8 /*v264*/, 18, v37
	v_lshlrev_b32_e32 v7 /*v263*/, 11, v37
	s_set_vgpr_msb 0                        ;  msbs: dst=0 src0=0 src1=0 src2=0
	v_lshlrev_b32_e32 v37, 25, v37
	s_set_vgpr_msb 0x44                     ;  msbs: dst=1 src0=0 src1=1 src2=0
	v_and_b32_e32 v6 /*v262*/, 16, v6 /*v262*/
	v_and_b32_e32 v8 /*v264*/, 0x100000, v8 /*v264*/
	;; [unrolled: 1-line block ×3, first 2 shown]
	s_set_vgpr_msb 17                       ;  msbs: dst=0 src0=1 src1=0 src2=1
	v_and_b32_e32 v37, 0x10000000, v37
	s_delay_alu instid0(VALU_DEP_1) | instskip(SKIP_3) | instid1(VALU_DEP_1)
	v_or3_b32 v37, v8 /*v264*/, v37, v6 /*v262*/
	s_wait_loadcnt 0x0
	v_and_b32_e32 v36, 0xf0f0f0f, v36
	s_set_vgpr_msb 0x44                     ;  msbs: dst=1 src0=0 src1=1 src2=0
	v_or3_b32 v6 /*v262*/, v37, v7 /*v263*/, v36
	s_set_vgpr_msb 0                        ;  msbs: dst=0 src0=0 src1=0 src2=0
	v_dual_ashrrev_i32 v36, v248, v34 :: v_dual_ashrrev_i32 v34, v251, v34
	s_delay_alu instid0(VALU_DEP_1) | instskip(NEXT) | instid1(VALU_DEP_1)
	v_lshlrev_b32_e32 v37, 4, v36
	v_and_b32_e32 v37, 16, v37
	s_set_vgpr_msb 64                       ;  msbs: dst=1 src0=0 src1=0 src2=0
	v_dual_lshlrev_b32 v7 /*v263*/, 11, v36 :: v_dual_lshlrev_b32 v8 /*v264*/, 18, v36
	s_set_vgpr_msb 0                        ;  msbs: dst=0 src0=0 src1=0 src2=0
	v_lshlrev_b32_e32 v36, 25, v36
	s_set_vgpr_msb 0x44                     ;  msbs: dst=1 src0=0 src1=1 src2=0
	s_delay_alu instid0(VALU_DEP_2) | instskip(SKIP_3) | instid1(VALU_DEP_1)
	v_and_b32_e32 v7 /*v263*/, 0x1000, v7 /*v263*/
	v_and_b32_e32 v8 /*v264*/, 0x100000, v8 /*v264*/
	s_set_vgpr_msb 16                       ;  msbs: dst=0 src0=0 src1=0 src2=1
	v_and_b32_e32 v36, 0x10000000, v36
	v_or3_b32 v32, v36, v32, v8 /*v264*/
	s_set_vgpr_msb 0x50                     ;  msbs: dst=1 src0=0 src1=0 src2=1
	v_lshlrev_b32_e32 v8 /*v264*/, 18, v34
	s_delay_alu instid0(VALU_DEP_2)
	v_or3_b32 v7 /*v263*/, v32, v37, v7 /*v263*/
	s_set_vgpr_msb 0                        ;  msbs: dst=0 src0=0 src1=0 src2=0
	v_add_nc_u64_e32 v[36:37], v[38:39], v[142:143]
	s_set_vgpr_msb 0x44                     ;  msbs: dst=1 src0=0 src1=1 src2=0
	v_and_b32_e32 v8 /*v264*/, 0x100000, v8 /*v264*/
	s_set_vgpr_msb 0                        ;  msbs: dst=0 src0=0 src1=0 src2=0
	global_load_b32 v32, v[36:37], off offset:50
	s_wait_xcnt 0x0
	v_dual_lshlrev_b32 v36, 4, v34 :: v_dual_lshlrev_b32 v37, 11, v34
	v_lshlrev_b32_e32 v34, 25, v34
	s_set_vgpr_msb 1                        ;  msbs: dst=0 src0=1 src1=0 src2=0
	v_cvt_f32_f16_e64 v232, v28 /*v284*/
	s_delay_alu instid0(VALU_DEP_3) | instskip(SKIP_2) | instid1(VALU_DEP_1)
	v_and_b32_e32 v36, 16, v36
	v_and_b32_e32 v37, 0x1000, v37
	;; [unrolled: 1-line block ×3, first 2 shown]
	v_or3_b32 v34, v8 /*v264*/, v34, v36
	s_wait_loadcnt 0x0
	v_lshrrev_b32_e32 v32, 4, v32
	s_delay_alu instid0(VALU_DEP_1) | instskip(SKIP_1) | instid1(VALU_DEP_1)
	v_and_b32_e32 v32, 0xf0f0f0f, v32
	s_set_vgpr_msb 64                       ;  msbs: dst=1 src0=0 src1=0 src2=0
	v_or3_b32 v8 /*v264*/, v34, v37, v32
	s_set_vgpr_msb 0                        ;  msbs: dst=0 src0=0 src1=0 src2=0
	s_clause 0x3
	global_load_b32 v32, v[40:41], off offset:72
	global_load_b32 v34, v[38:39], off offset:68
	s_set_vgpr_msb 64                       ;  msbs: dst=1 src0=0 src1=0 src2=0
	global_load_u16 v29 /*v285*/, v[38:39], off offset:66
	s_wait_loadcnt 0x2
	v_and_b32_e32 v9 /*v265*/, 0xf0f0f0f, v32
	s_wait_loadcnt 0x1
	s_set_vgpr_msb 0                        ;  msbs: dst=0 src0=0 src1=0 src2=0
	v_dual_ashrrev_i32 v36, v48, v34 :: v_dual_lshrrev_b32 v32, 4, v32
	s_delay_alu instid0(VALU_DEP_1) | instskip(NEXT) | instid1(VALU_DEP_2)
	v_lshlrev_b32_e32 v37, 4, v36
	v_and_b32_e32 v32, 0xf0f0f0f, v32
	s_delay_alu instid0(VALU_DEP_2)
	v_and_b32_e32 v37, 16, v37
	s_set_vgpr_msb 64                       ;  msbs: dst=1 src0=0 src1=0 src2=0
	v_dual_lshlrev_b32 v10 /*v266*/, 11, v36 :: v_dual_lshlrev_b32 v11 /*v267*/, 18, v36
	s_set_vgpr_msb 0                        ;  msbs: dst=0 src0=0 src1=0 src2=0
	v_lshlrev_b32_e32 v36, 25, v36
	s_set_vgpr_msb 0x44                     ;  msbs: dst=1 src0=0 src1=1 src2=0
	s_delay_alu instid0(VALU_DEP_2) | instskip(SKIP_4) | instid1(VALU_DEP_1)
	v_and_b32_e32 v10 /*v266*/, 0x1000, v10 /*v266*/
	v_and_b32_e32 v11 /*v267*/, 0x100000, v11 /*v267*/
	s_set_vgpr_msb 0                        ;  msbs: dst=0 src0=0 src1=0 src2=0
	v_and_b32_e32 v36, 0x10000000, v36
	s_set_vgpr_msb 20                       ;  msbs: dst=0 src0=0 src1=1 src2=1
	v_or3_b32 v36, v36, v9 /*v265*/, v11 /*v267*/
	s_set_vgpr_msb 0x50                     ;  msbs: dst=1 src0=0 src1=0 src2=1
	s_delay_alu instid0(VALU_DEP_1) | instskip(SKIP_4) | instid1(VALU_DEP_1)
	v_or3_b32 v10 /*v266*/, v36, v37, v10 /*v266*/
	s_set_vgpr_msb 0                        ;  msbs: dst=0 src0=0 src1=0 src2=0
	global_load_b32 v36, v[40:41], off offset:80
	v_ashrrev_i32_e32 v37, v247, v34
	s_set_vgpr_msb 64                       ;  msbs: dst=1 src0=0 src1=0 src2=0
	v_dual_lshlrev_b32 v11 /*v267*/, 4, v37 :: v_dual_lshlrev_b32 v13 /*v269*/, 18, v37
	v_lshlrev_b32_e32 v12 /*v268*/, 11, v37
	s_set_vgpr_msb 0                        ;  msbs: dst=0 src0=0 src1=0 src2=0
	v_lshlrev_b32_e32 v37, 25, v37
	s_set_vgpr_msb 0x44                     ;  msbs: dst=1 src0=0 src1=1 src2=0
	v_and_b32_e32 v11 /*v267*/, 16, v11 /*v267*/
	v_and_b32_e32 v13 /*v269*/, 0x100000, v13 /*v269*/
	;; [unrolled: 1-line block ×3, first 2 shown]
	s_set_vgpr_msb 17                       ;  msbs: dst=0 src0=1 src1=0 src2=1
	v_and_b32_e32 v37, 0x10000000, v37
	s_delay_alu instid0(VALU_DEP_1) | instskip(SKIP_3) | instid1(VALU_DEP_1)
	v_or3_b32 v37, v13 /*v269*/, v37, v11 /*v267*/
	s_wait_loadcnt 0x0
	v_and_b32_e32 v36, 0xf0f0f0f, v36
	s_set_vgpr_msb 0x44                     ;  msbs: dst=1 src0=0 src1=1 src2=0
	v_or3_b32 v11 /*v267*/, v37, v12 /*v268*/, v36
	s_set_vgpr_msb 0                        ;  msbs: dst=0 src0=0 src1=0 src2=0
	v_ashrrev_i32_e32 v36, v248, v34
	s_delay_alu instid0(VALU_DEP_1) | instskip(SKIP_3) | instid1(VALU_DEP_2)
	v_dual_ashrrev_i32 v34, v252, v34 :: v_dual_lshlrev_b32 v37, 4, v36
	s_set_vgpr_msb 64                       ;  msbs: dst=1 src0=0 src1=0 src2=0
	v_dual_lshlrev_b32 v12 /*v268*/, 11, v36 :: v_dual_lshlrev_b32 v13 /*v269*/, 18, v36
	s_set_vgpr_msb 0                        ;  msbs: dst=0 src0=0 src1=0 src2=0
	v_dual_lshlrev_b32 v36, 25, v36 :: v_dual_bitop2_b32 v37, 16, v37 bitop3:0x40
	s_set_vgpr_msb 0x44                     ;  msbs: dst=1 src0=0 src1=1 src2=0
	s_delay_alu instid0(VALU_DEP_2) | instskip(SKIP_3) | instid1(VALU_DEP_1)
	v_and_b32_e32 v12 /*v268*/, 0x1000, v12 /*v268*/
	v_and_b32_e32 v13 /*v269*/, 0x100000, v13 /*v269*/
	s_set_vgpr_msb 16                       ;  msbs: dst=0 src0=0 src1=0 src2=1
	v_and_b32_e32 v36, 0x10000000, v36
	v_or3_b32 v32, v36, v32, v13 /*v269*/
	s_set_vgpr_msb 0x50                     ;  msbs: dst=1 src0=0 src1=0 src2=1
	s_delay_alu instid0(VALU_DEP_1)
	v_or3_b32 v12 /*v268*/, v32, v37, v12 /*v268*/
	s_set_vgpr_msb 0                        ;  msbs: dst=0 src0=0 src1=0 src2=0
	v_add_nc_u64_e32 v[36:37], v[38:39], v[144:145]
	global_load_b32 v32, v[36:37], off offset:72
	s_wait_xcnt 0x0
	v_lshlrev_b32_e32 v36, 4, v34
	s_set_vgpr_msb 0x41                     ;  msbs: dst=1 src0=1 src1=0 src2=0
	v_cvt_f32_f16_e64 v9 /*v265*/, v29 /*v285*/
	s_set_vgpr_msb 0                        ;  msbs: dst=0 src0=0 src1=0 src2=0
	s_delay_alu instid0(VALU_DEP_2)
	v_dual_lshlrev_b32 v37, 11, v34 :: v_dual_bitop2_b32 v36, 16, v36 bitop3:0x40
	s_set_vgpr_msb 64                       ;  msbs: dst=1 src0=0 src1=0 src2=0
	v_lshlrev_b32_e32 v13 /*v269*/, 18, v34
	s_set_vgpr_msb 0                        ;  msbs: dst=0 src0=0 src1=0 src2=0
	v_lshlrev_b32_e32 v34, 25, v34
	v_and_b32_e32 v37, 0x1000, v37
	s_set_vgpr_msb 0x44                     ;  msbs: dst=1 src0=0 src1=1 src2=0
	v_and_b32_e32 v13 /*v269*/, 0x100000, v13 /*v269*/
	s_set_vgpr_msb 1                        ;  msbs: dst=0 src0=1 src1=0 src2=0
	v_and_b32_e32 v34, 0x10000000, v34
	s_delay_alu instid0(VALU_DEP_1) | instskip(SKIP_2) | instid1(VALU_DEP_1)
	v_or3_b32 v34, v13 /*v269*/, v34, v36
	s_wait_loadcnt 0x0
	v_lshrrev_b32_e32 v32, 4, v32
	v_and_b32_e32 v32, 0xf0f0f0f, v32
	s_set_vgpr_msb 64                       ;  msbs: dst=1 src0=0 src1=0 src2=0
	s_delay_alu instid0(VALU_DEP_1)
	v_or3_b32 v13 /*v269*/, v34, v37, v32
	s_set_vgpr_msb 0                        ;  msbs: dst=0 src0=0 src1=0 src2=0
	s_clause 0x3
	global_load_b32 v32, v[40:41], off offset:94
	global_load_b32 v34, v[38:39], off offset:90
	s_set_vgpr_msb 64                       ;  msbs: dst=1 src0=0 src1=0 src2=0
	global_load_u16 v30 /*v286*/, v[38:39], off offset:88
	s_wait_loadcnt 0x2
	v_and_b32_e32 v14 /*v270*/, 0xf0f0f0f, v32
	s_wait_loadcnt 0x1
	s_set_vgpr_msb 0                        ;  msbs: dst=0 src0=0 src1=0 src2=0
	v_dual_ashrrev_i32 v36, v48, v34 :: v_dual_lshrrev_b32 v32, 4, v32
	s_delay_alu instid0(VALU_DEP_1) | instskip(NEXT) | instid1(VALU_DEP_2)
	v_lshlrev_b32_e32 v37, 4, v36
	v_and_b32_e32 v32, 0xf0f0f0f, v32
	s_delay_alu instid0(VALU_DEP_2)
	v_and_b32_e32 v37, 16, v37
	s_set_vgpr_msb 64                       ;  msbs: dst=1 src0=0 src1=0 src2=0
	v_dual_lshlrev_b32 v15 /*v271*/, 11, v36 :: v_dual_lshlrev_b32 v16 /*v272*/, 18, v36
	s_set_vgpr_msb 0                        ;  msbs: dst=0 src0=0 src1=0 src2=0
	v_lshlrev_b32_e32 v36, 25, v36
	s_set_vgpr_msb 0x44                     ;  msbs: dst=1 src0=0 src1=1 src2=0
	s_delay_alu instid0(VALU_DEP_2) | instskip(SKIP_4) | instid1(VALU_DEP_1)
	v_and_b32_e32 v15 /*v271*/, 0x1000, v15 /*v271*/
	v_and_b32_e32 v16 /*v272*/, 0x100000, v16 /*v272*/
	s_set_vgpr_msb 0                        ;  msbs: dst=0 src0=0 src1=0 src2=0
	v_and_b32_e32 v36, 0x10000000, v36
	s_set_vgpr_msb 20                       ;  msbs: dst=0 src0=0 src1=1 src2=1
	v_or3_b32 v36, v36, v14 /*v270*/, v16 /*v272*/
	s_set_vgpr_msb 0x50                     ;  msbs: dst=1 src0=0 src1=0 src2=1
	s_delay_alu instid0(VALU_DEP_1) | instskip(SKIP_4) | instid1(VALU_DEP_1)
	v_or3_b32 v15 /*v271*/, v36, v37, v15 /*v271*/
	s_set_vgpr_msb 0                        ;  msbs: dst=0 src0=0 src1=0 src2=0
	global_load_b32 v36, v[40:41], off offset:102
	v_ashrrev_i32_e32 v37, v247, v34
	s_set_vgpr_msb 64                       ;  msbs: dst=1 src0=0 src1=0 src2=0
	v_dual_lshlrev_b32 v16 /*v272*/, 4, v37 :: v_dual_lshlrev_b32 v18 /*v274*/, 18, v37
	v_lshlrev_b32_e32 v17 /*v273*/, 11, v37
	s_set_vgpr_msb 0                        ;  msbs: dst=0 src0=0 src1=0 src2=0
	v_lshlrev_b32_e32 v37, 25, v37
	s_set_vgpr_msb 0x44                     ;  msbs: dst=1 src0=0 src1=1 src2=0
	v_and_b32_e32 v16 /*v272*/, 16, v16 /*v272*/
	v_and_b32_e32 v18 /*v274*/, 0x100000, v18 /*v274*/
	;; [unrolled: 1-line block ×3, first 2 shown]
	s_set_vgpr_msb 17                       ;  msbs: dst=0 src0=1 src1=0 src2=1
	v_and_b32_e32 v37, 0x10000000, v37
	s_delay_alu instid0(VALU_DEP_1) | instskip(SKIP_3) | instid1(VALU_DEP_1)
	v_or3_b32 v37, v18 /*v274*/, v37, v16 /*v272*/
	s_wait_loadcnt 0x0
	v_and_b32_e32 v36, 0xf0f0f0f, v36
	s_set_vgpr_msb 0x44                     ;  msbs: dst=1 src0=0 src1=1 src2=0
	v_or3_b32 v16 /*v272*/, v37, v17 /*v273*/, v36
	s_set_vgpr_msb 0                        ;  msbs: dst=0 src0=0 src1=0 src2=0
	v_dual_ashrrev_i32 v36, v248, v34 :: v_dual_ashrrev_i32 v34, v253, v34
	s_delay_alu instid0(VALU_DEP_1) | instskip(NEXT) | instid1(VALU_DEP_1)
	v_lshlrev_b32_e32 v37, 4, v36
	v_and_b32_e32 v37, 16, v37
	s_set_vgpr_msb 64                       ;  msbs: dst=1 src0=0 src1=0 src2=0
	v_dual_lshlrev_b32 v17 /*v273*/, 11, v36 :: v_dual_lshlrev_b32 v18 /*v274*/, 18, v36
	s_set_vgpr_msb 0                        ;  msbs: dst=0 src0=0 src1=0 src2=0
	v_lshlrev_b32_e32 v36, 25, v36
	s_set_vgpr_msb 0x44                     ;  msbs: dst=1 src0=0 src1=1 src2=0
	s_delay_alu instid0(VALU_DEP_2) | instskip(SKIP_3) | instid1(VALU_DEP_1)
	v_and_b32_e32 v17 /*v273*/, 0x1000, v17 /*v273*/
	v_and_b32_e32 v18 /*v274*/, 0x100000, v18 /*v274*/
	s_set_vgpr_msb 16                       ;  msbs: dst=0 src0=0 src1=0 src2=1
	v_and_b32_e32 v36, 0x10000000, v36
	v_or3_b32 v32, v36, v32, v18 /*v274*/
	s_set_vgpr_msb 0x50                     ;  msbs: dst=1 src0=0 src1=0 src2=1
	v_lshlrev_b32_e32 v18 /*v274*/, 18, v34
	s_delay_alu instid0(VALU_DEP_2)
	v_or3_b32 v17 /*v273*/, v32, v37, v17 /*v273*/
	s_set_vgpr_msb 0                        ;  msbs: dst=0 src0=0 src1=0 src2=0
	v_add_nc_u64_e32 v[36:37], v[38:39], v[148:149]
	s_set_vgpr_msb 0x44                     ;  msbs: dst=1 src0=0 src1=1 src2=0
	v_and_b32_e32 v18 /*v274*/, 0x100000, v18 /*v274*/
	s_set_vgpr_msb 0                        ;  msbs: dst=0 src0=0 src1=0 src2=0
	global_load_b32 v32, v[36:37], off offset:94
	s_wait_xcnt 0x0
	v_dual_lshlrev_b32 v36, 4, v34 :: v_dual_lshlrev_b32 v37, 11, v34
	v_lshlrev_b32_e32 v34, 25, v34
	s_set_vgpr_msb 0x41                     ;  msbs: dst=1 src0=1 src1=0 src2=0
	v_cvt_f32_f16_e64 v14 /*v270*/, v30 /*v286*/
	s_set_vgpr_msb 1                        ;  msbs: dst=0 src0=1 src1=0 src2=0
	v_and_b32_e32 v36, 16, v36
	v_and_b32_e32 v37, 0x1000, v37
	;; [unrolled: 1-line block ×3, first 2 shown]
	s_delay_alu instid0(VALU_DEP_1) | instskip(SKIP_2) | instid1(VALU_DEP_1)
	v_or3_b32 v34, v18 /*v274*/, v34, v36
	s_wait_loadcnt 0x0
	v_lshrrev_b32_e32 v32, 4, v32
	v_and_b32_e32 v32, 0xf0f0f0f, v32
	s_set_vgpr_msb 64                       ;  msbs: dst=1 src0=0 src1=0 src2=0
	s_delay_alu instid0(VALU_DEP_1)
	v_or3_b32 v18 /*v274*/, v34, v37, v32
	s_set_vgpr_msb 0                        ;  msbs: dst=0 src0=0 src1=0 src2=0
	s_clause 0x2
	global_load_b32 v34, v[40:41], off offset:116
	s_set_vgpr_msb 64                       ;  msbs: dst=1 src0=0 src1=0 src2=0
	global_load_b32 v22 /*v278*/, v[38:39], off offset:112
	s_wait_loadcnt 0x1
	s_set_vgpr_msb 0                        ;  msbs: dst=0 src0=0 src1=0 src2=0
	v_and_b32_e32 v37, 0xf0f0f0f, v34
	s_wait_loadcnt 0x0
	s_set_vgpr_msb 4                        ;  msbs: dst=0 src0=0 src1=1 src2=0
	v_ashrrev_i32_e32 v32, v48, v22 /*v278*/
	s_set_vgpr_msb 0                        ;  msbs: dst=0 src0=0 src1=0 src2=0
	s_delay_alu instid0(VALU_DEP_1)
	v_lshlrev_b32_e32 v36, 4, v32
	s_set_vgpr_msb 64                       ;  msbs: dst=1 src0=0 src1=0 src2=0
	v_dual_lshlrev_b32 v19 /*v275*/, 11, v32 :: v_dual_lshlrev_b32 v20 /*v276*/, 18, v32
	s_set_vgpr_msb 0                        ;  msbs: dst=0 src0=0 src1=0 src2=0
	v_lshlrev_b32_e32 v32, 25, v32
	s_set_vgpr_msb 0x44                     ;  msbs: dst=1 src0=0 src1=1 src2=0
	s_delay_alu instid0(VALU_DEP_2) | instskip(SKIP_3) | instid1(VALU_DEP_1)
	v_and_b32_e32 v19 /*v275*/, 0x1000, v19 /*v275*/
	v_and_b32_e32 v20 /*v276*/, 0x100000, v20 /*v276*/
	s_set_vgpr_msb 16                       ;  msbs: dst=0 src0=0 src1=0 src2=1
	v_and_b32_e32 v32, 0x10000000, v32
	v_or3_b32 v32, v32, v37, v20 /*v276*/
	s_set_vgpr_msb 4                        ;  msbs: dst=0 src0=0 src1=1 src2=0
	v_ashrrev_i32_e32 v37, v247, v22 /*v278*/
	s_set_vgpr_msb 0                        ;  msbs: dst=0 src0=0 src1=0 src2=0
	v_and_b32_e32 v36, 16, v36
	s_set_vgpr_msb 64                       ;  msbs: dst=1 src0=0 src1=0 src2=0
	s_delay_alu instid0(VALU_DEP_2)
	v_dual_lshlrev_b32 v20 /*v276*/, 4, v37 :: v_dual_lshlrev_b32 v23 /*v279*/, 18, v37
	v_lshlrev_b32_e32 v21 /*v277*/, 11, v37
	s_set_vgpr_msb 0                        ;  msbs: dst=0 src0=0 src1=0 src2=0
	v_lshlrev_b32_e32 v37, 25, v37
	s_set_vgpr_msb 0x50                     ;  msbs: dst=1 src0=0 src1=0 src2=1
	v_or3_b32 v19 /*v275*/, v32, v36, v19 /*v275*/
	s_set_vgpr_msb 0                        ;  msbs: dst=0 src0=0 src1=0 src2=0
	s_clause 0x1
	global_load_u16 v32, v[38:39], off offset:110
	global_load_b32 v36, v[40:41], off offset:124
	s_set_vgpr_msb 0x44                     ;  msbs: dst=1 src0=0 src1=1 src2=0
	v_and_b32_e32 v20 /*v276*/, 16, v20 /*v276*/
	v_and_b32_e32 v23 /*v279*/, 0x100000, v23 /*v279*/
	s_set_vgpr_msb 0                        ;  msbs: dst=0 src0=0 src1=0 src2=0
	v_and_b32_e32 v37, 0x10000000, v37
	s_set_vgpr_msb 0x44                     ;  msbs: dst=1 src0=0 src1=1 src2=0
	v_and_b32_e32 v21 /*v277*/, 0x1000, v21 /*v277*/
	s_set_vgpr_msb 17                       ;  msbs: dst=0 src0=1 src1=0 src2=1
	s_delay_alu instid0(VALU_DEP_2) | instskip(SKIP_3) | instid1(VALU_DEP_1)
	v_or3_b32 v37, v23 /*v279*/, v37, v20 /*v276*/
	s_wait_loadcnt 0x0
	v_and_b32_e32 v36, 0xf0f0f0f, v36
	s_set_vgpr_msb 0x44                     ;  msbs: dst=1 src0=0 src1=1 src2=0
	v_or3_b32 v21 /*v277*/, v37, v21 /*v277*/, v36
	s_set_vgpr_msb 4                        ;  msbs: dst=0 src0=0 src1=1 src2=0
	v_ashrrev_i32_e32 v36, v248, v22 /*v278*/
	s_set_vgpr_msb 0                        ;  msbs: dst=0 src0=0 src1=0 src2=0
	s_delay_alu instid0(VALU_DEP_1)
	v_dual_lshrrev_b32 v34, 4, v34 :: v_dual_lshlrev_b32 v37, 4, v36
	s_set_vgpr_msb 64                       ;  msbs: dst=1 src0=0 src1=0 src2=0
	v_dual_lshlrev_b32 v20 /*v276*/, 11, v36 :: v_dual_lshlrev_b32 v23 /*v279*/, 18, v36
	s_set_vgpr_msb 0                        ;  msbs: dst=0 src0=0 src1=0 src2=0
	v_lshlrev_b32_e32 v36, 25, v36
	v_and_b32_e32 v34, 0xf0f0f0f, v34
	v_and_b32_e32 v37, 16, v37
	s_set_vgpr_msb 0x44                     ;  msbs: dst=1 src0=0 src1=1 src2=0
	v_and_b32_e32 v20 /*v276*/, 0x1000, v20 /*v276*/
	v_and_b32_e32 v23 /*v279*/, 0x100000, v23 /*v279*/
	s_set_vgpr_msb 16                       ;  msbs: dst=0 src0=0 src1=0 src2=1
	v_and_b32_e32 v36, 0x10000000, v36
	s_delay_alu instid0(VALU_DEP_1) | instskip(SKIP_1) | instid1(VALU_DEP_1)
	v_or3_b32 v34, v36, v34, v23 /*v279*/
	s_set_vgpr_msb 0x50                     ;  msbs: dst=1 src0=0 src1=0 src2=1
	v_or3_b32 v20 /*v276*/, v34, v37, v20 /*v276*/
	s_set_vgpr_msb 0                        ;  msbs: dst=0 src0=0 src1=0 src2=0
	v_add_nc_u64_e32 v[36:37], v[38:39], v[150:151]
	global_load_b32 v34, v[36:37], off offset:116
	s_wait_xcnt 0x0
	s_set_vgpr_msb 4                        ;  msbs: dst=0 src0=0 src1=1 src2=0
	v_ashrrev_i32_e32 v36, v255, v22 /*v278*/
	v_cvt_f32_f16_e32 v32, v32
	s_set_vgpr_msb 64                       ;  msbs: dst=1 src0=0 src1=0 src2=0
	s_delay_alu instid0(VALU_DEP_2) | instskip(SKIP_3) | instid1(VALU_DEP_2)
	v_dual_lshlrev_b32 v22 /*v278*/, 11, v36 :: v_dual_lshlrev_b32 v23 /*v279*/, 18, v36
	s_set_vgpr_msb 0                        ;  msbs: dst=0 src0=0 src1=0 src2=0
	v_dual_lshlrev_b32 v37, 4, v36 :: v_dual_lshlrev_b32 v36, 25, v36
	s_set_vgpr_msb 0x44                     ;  msbs: dst=1 src0=0 src1=1 src2=0
	v_and_b32_e32 v22 /*v278*/, 0x1000, v22 /*v278*/
	v_and_b32_e32 v23 /*v279*/, 0x100000, v23 /*v279*/
	s_set_vgpr_msb 1                        ;  msbs: dst=0 src0=1 src1=0 src2=0
	v_and_b32_e32 v37, 16, v37
	v_and_b32_e32 v36, 0x10000000, v36
	s_delay_alu instid0(VALU_DEP_1) | instskip(SKIP_2) | instid1(VALU_DEP_1)
	v_or3_b32 v36, v23 /*v279*/, v36, v37
	s_wait_loadcnt 0x0
	v_lshrrev_b32_e32 v34, 4, v34
	v_and_b32_e32 v34, 0xf0f0f0f, v34
	s_set_vgpr_msb 0x44                     ;  msbs: dst=1 src0=0 src1=1 src2=0
	s_delay_alu instid0(VALU_DEP_1)
	v_or3_b32 v22 /*v278*/, v36, v22 /*v278*/, v34
	s_set_vgpr_msb 0                        ;  msbs: dst=0 src0=0 src1=0 src2=0
	s_clause 0x2
	global_load_b32 v36, v[40:41], off offset:138
	s_set_vgpr_msb 64                       ;  msbs: dst=1 src0=0 src1=0 src2=0
	global_load_b32 v26 /*v282*/, v[38:39], off offset:134
	s_wait_loadcnt 0x1
	v_and_b32_e32 v23 /*v279*/, 0xf0f0f0f, v36
	s_wait_loadcnt 0x0
	s_set_vgpr_msb 4                        ;  msbs: dst=0 src0=0 src1=1 src2=0
	v_ashrrev_i32_e32 v34, v48, v26 /*v282*/
	s_set_vgpr_msb 0                        ;  msbs: dst=0 src0=0 src1=0 src2=0
	s_delay_alu instid0(VALU_DEP_1)
	v_dual_lshrrev_b32 v36, 4, v36 :: v_dual_lshlrev_b32 v37, 4, v34
	s_set_vgpr_msb 64                       ;  msbs: dst=1 src0=0 src1=0 src2=0
	v_dual_lshlrev_b32 v24 /*v280*/, 11, v34 :: v_dual_lshlrev_b32 v25 /*v281*/, 18, v34
	s_set_vgpr_msb 0                        ;  msbs: dst=0 src0=0 src1=0 src2=0
	v_lshlrev_b32_e32 v34, 25, v34
	v_and_b32_e32 v36, 0xf0f0f0f, v36
	v_and_b32_e32 v37, 16, v37
	s_set_vgpr_msb 0x44                     ;  msbs: dst=1 src0=0 src1=1 src2=0
	v_and_b32_e32 v24 /*v280*/, 0x1000, v24 /*v280*/
	v_and_b32_e32 v25 /*v281*/, 0x100000, v25 /*v281*/
	s_set_vgpr_msb 0                        ;  msbs: dst=0 src0=0 src1=0 src2=0
	v_and_b32_e32 v34, 0x10000000, v34
	s_set_vgpr_msb 20                       ;  msbs: dst=0 src0=0 src1=1 src2=1
	s_delay_alu instid0(VALU_DEP_1) | instskip(SKIP_1) | instid1(VALU_DEP_1)
	v_or3_b32 v34, v34, v23 /*v279*/, v25 /*v281*/
	s_set_vgpr_msb 0x50                     ;  msbs: dst=1 src0=0 src1=0 src2=1
	v_or3_b32 v23 /*v279*/, v34, v37, v24 /*v280*/
	s_set_vgpr_msb 0                        ;  msbs: dst=0 src0=0 src1=0 src2=0
	s_clause 0x1
	global_load_u16 v34, v[38:39], off offset:132
	global_load_b32 v37, v[40:41], off offset:146
	s_set_vgpr_msb 0x44                     ;  msbs: dst=1 src0=0 src1=1 src2=0
	v_ashrrev_i32_e32 v24 /*v280*/, v247, v26 /*v282*/
	s_delay_alu instid0(VALU_DEP_1) | instskip(SKIP_1) | instid1(VALU_DEP_2)
	v_dual_lshlrev_b32 v25 /*v281*/, 4, v24 /*v280*/ :: v_dual_lshlrev_b32 v27 /*v283*/, 11, v24 /*v280*/
	v_dual_lshlrev_b32 v31 /*v287*/, 18, v24 /*v280*/ :: v_dual_lshlrev_b32 v24 /*v280*/, 25, v24 /*v280*/
	v_and_b32_e32 v25 /*v281*/, 16, v25 /*v281*/
	s_delay_alu instid0(VALU_DEP_3) | instskip(NEXT) | instid1(VALU_DEP_3)
	v_and_b32_e32 v27 /*v283*/, 0x1000, v27 /*v283*/
	v_and_b32_e32 v31 /*v287*/, 0x100000, v31 /*v287*/
	s_delay_alu instid0(VALU_DEP_4) | instskip(SKIP_1) | instid1(VALU_DEP_1)
	v_and_b32_e32 v24 /*v280*/, 0x10000000, v24 /*v280*/
	s_set_vgpr_msb 0x55                     ;  msbs: dst=1 src0=1 src1=1 src2=1
	v_or3_b32 v24 /*v280*/, v31 /*v287*/, v24 /*v280*/, v25 /*v281*/
	s_wait_loadcnt 0x0
	s_set_vgpr_msb 0                        ;  msbs: dst=0 src0=0 src1=0 src2=0
	v_and_b32_e32 v37, 0xf0f0f0f, v37
	s_set_vgpr_msb 0x45                     ;  msbs: dst=1 src0=1 src1=1 src2=0
	s_delay_alu instid0(VALU_DEP_1) | instskip(SKIP_3) | instid1(VALU_DEP_1)
	v_or3_b32 v25 /*v281*/, v24 /*v280*/, v27 /*v283*/, v37
	s_set_vgpr_msb 4                        ;  msbs: dst=0 src0=0 src1=1 src2=0
	v_ashrrev_i32_e32 v37, v248, v26 /*v282*/
	s_set_vgpr_msb 64                       ;  msbs: dst=1 src0=0 src1=0 src2=0
	v_dual_lshlrev_b32 v24 /*v280*/, 4, v37 :: v_dual_lshlrev_b32 v27 /*v283*/, 11, v37
	v_lshlrev_b32_e32 v31 /*v287*/, 18, v37
	s_set_vgpr_msb 0                        ;  msbs: dst=0 src0=0 src1=0 src2=0
	v_lshlrev_b32_e32 v37, 25, v37
	s_set_vgpr_msb 0x44                     ;  msbs: dst=1 src0=0 src1=1 src2=0
	v_and_b32_e32 v24 /*v280*/, 16, v24 /*v280*/
	v_and_b32_e32 v27 /*v283*/, 0x1000, v27 /*v283*/
	v_and_b32_e32 v31 /*v287*/, 0x100000, v31 /*v287*/
	s_set_vgpr_msb 16                       ;  msbs: dst=0 src0=0 src1=0 src2=1
	v_and_b32_e32 v37, 0x10000000, v37
	s_delay_alu instid0(VALU_DEP_1) | instskip(SKIP_1) | instid1(VALU_DEP_1)
	v_or3_b32 v36, v37, v36, v31 /*v287*/
	s_set_vgpr_msb 0x54                     ;  msbs: dst=1 src0=0 src1=1 src2=1
	v_or3_b32 v24 /*v280*/, v36, v24 /*v280*/, v27 /*v283*/
	s_set_vgpr_msb 0                        ;  msbs: dst=0 src0=0 src1=0 src2=0
	v_add_nc_u64_e32 v[36:37], v[38:39], v[154:155]
	global_load_b32 v36, v[36:37], off offset:138
	s_wait_xcnt 0x0
	s_set_vgpr_msb 5                        ;  msbs: dst=0 src0=1 src1=1 src2=0
	v_ashrrev_i32_e32 v37, v0 /*v256*/, v26 /*v282*/
	s_set_vgpr_msb 0                        ;  msbs: dst=0 src0=0 src1=0 src2=0
	v_cvt_f32_f16_e32 v34, v34
	s_set_vgpr_msb 64                       ;  msbs: dst=1 src0=0 src1=0 src2=0
	s_delay_alu instid0(VALU_DEP_2)
	v_dual_lshlrev_b32 v26 /*v282*/, 4, v37 :: v_dual_lshlrev_b32 v27 /*v283*/, 11, v37
	v_lshlrev_b32_e32 v31 /*v287*/, 18, v37
	s_set_vgpr_msb 0                        ;  msbs: dst=0 src0=0 src1=0 src2=0
	v_lshlrev_b32_e32 v37, 25, v37
	s_set_vgpr_msb 0x44                     ;  msbs: dst=1 src0=0 src1=1 src2=0
	v_and_b32_e32 v26 /*v282*/, 16, v26 /*v282*/
	v_and_b32_e32 v27 /*v283*/, 0x1000, v27 /*v283*/
	;; [unrolled: 1-line block ×3, first 2 shown]
	s_set_vgpr_msb 17                       ;  msbs: dst=0 src0=1 src1=0 src2=1
	v_and_b32_e32 v37, 0x10000000, v37
	s_delay_alu instid0(VALU_DEP_1) | instskip(SKIP_2) | instid1(VALU_DEP_1)
	v_or3_b32 v37, v31 /*v287*/, v37, v26 /*v282*/
	s_wait_loadcnt 0x0
	v_lshrrev_b32_e32 v36, 4, v36
	v_and_b32_e32 v36, 0xf0f0f0f, v36
	s_set_vgpr_msb 0x44                     ;  msbs: dst=1 src0=0 src1=1 src2=0
	s_delay_alu instid0(VALU_DEP_1)
	v_or3_b32 v27 /*v283*/, v37, v27 /*v283*/, v36
	s_set_vgpr_msb 0                        ;  msbs: dst=0 src0=0 src1=0 src2=0
	s_clause 0x4
	global_load_b32 v37, v[40:41], off offset:160
	s_set_vgpr_msb 64                       ;  msbs: dst=1 src0=0 src1=0 src2=0
	global_load_b32 v31 /*v287*/, v[38:39], off offset:156
	s_set_vgpr_msb 0                        ;  msbs: dst=0 src0=0 src1=0 src2=0
	global_load_b32 v40, v[40:41], off offset:168
	s_wait_loadcnt 0x2
	s_set_vgpr_msb 64                       ;  msbs: dst=1 src0=0 src1=0 src2=0
	v_and_b32_e32 v32 /*v288*/, 0xf0f0f0f, v37
	s_wait_loadcnt 0x1
	s_wait_xcnt 0x0
	s_set_vgpr_msb 4                        ;  msbs: dst=0 src0=0 src1=1 src2=0
	v_dual_ashrrev_i32 v36, v48, v31 /*v287*/ :: v_dual_ashrrev_i32 v41, v247, v31 /*v287*/
	s_set_vgpr_msb 0                        ;  msbs: dst=0 src0=0 src1=0 src2=0
	v_lshrrev_b32_e32 v37, 4, v37
	s_wait_loadcnt 0x0
	v_and_b32_e32 v40, 0xf0f0f0f, v40
	s_set_vgpr_msb 64                       ;  msbs: dst=1 src0=0 src1=0 src2=0
	v_dual_lshlrev_b32 v26 /*v282*/, 4, v36 :: v_dual_lshlrev_b32 v33 /*v289*/, 11, v36
	v_lshlrev_b32_e32 v34 /*v290*/, 18, v36
	s_set_vgpr_msb 0                        ;  msbs: dst=0 src0=0 src1=0 src2=0
	v_lshlrev_b32_e32 v36, 25, v36
	v_and_b32_e32 v37, 0xf0f0f0f, v37
	s_set_vgpr_msb 0x44                     ;  msbs: dst=1 src0=0 src1=1 src2=0
	v_and_b32_e32 v26 /*v282*/, 16, v26 /*v282*/
	v_and_b32_e32 v33 /*v289*/, 0x1000, v33 /*v289*/
	;; [unrolled: 1-line block ×3, first 2 shown]
	s_set_vgpr_msb 0                        ;  msbs: dst=0 src0=0 src1=0 src2=0
	v_and_b32_e32 v36, 0x10000000, v36
	s_set_vgpr_msb 20                       ;  msbs: dst=0 src0=0 src1=1 src2=1
	s_delay_alu instid0(VALU_DEP_1) | instskip(SKIP_3) | instid1(VALU_DEP_2)
	v_or3_b32 v36, v36, v32 /*v288*/, v34 /*v290*/
	s_set_vgpr_msb 64                       ;  msbs: dst=1 src0=0 src1=0 src2=0
	v_dual_lshlrev_b32 v32 /*v288*/, 4, v41 :: v_dual_lshlrev_b32 v34 /*v290*/, 18, v41
	s_set_vgpr_msb 0x54                     ;  msbs: dst=1 src0=0 src1=1 src2=1
	v_or3_b32 v26 /*v282*/, v36, v26 /*v282*/, v33 /*v289*/
	s_set_vgpr_msb 0                        ;  msbs: dst=0 src0=0 src1=0 src2=0
	global_load_u16 v36, v[38:39], off offset:154
	s_set_vgpr_msb 64                       ;  msbs: dst=1 src0=0 src1=0 src2=0
	v_lshlrev_b32_e32 v33 /*v289*/, 11, v41
	s_set_vgpr_msb 0                        ;  msbs: dst=0 src0=0 src1=0 src2=0
	v_lshlrev_b32_e32 v41, 25, v41
	s_set_vgpr_msb 0x44                     ;  msbs: dst=1 src0=0 src1=1 src2=0
	v_and_b32_e32 v32 /*v288*/, 16, v32 /*v288*/
	v_and_b32_e32 v34 /*v290*/, 0x100000, v34 /*v290*/
	s_wait_xcnt 0x0
	s_set_vgpr_msb 0                        ;  msbs: dst=0 src0=0 src1=0 src2=0
	v_add_nc_u64_e32 v[38:39], v[38:39], v[158:159]
	s_set_vgpr_msb 0x44                     ;  msbs: dst=1 src0=0 src1=1 src2=0
	v_and_b32_e32 v33 /*v289*/, 0x1000, v33 /*v289*/
	s_set_vgpr_msb 17                       ;  msbs: dst=0 src0=1 src1=0 src2=1
	v_and_b32_e32 v41, 0x10000000, v41
	s_delay_alu instid0(VALU_DEP_1) | instskip(SKIP_1) | instid1(VALU_DEP_1)
	v_or3_b32 v41, v34 /*v290*/, v41, v32 /*v288*/
	s_set_vgpr_msb 4                        ;  msbs: dst=0 src0=0 src1=1 src2=0
	v_or3_b32 v41, v41, v33 /*v289*/, v40
	v_ashrrev_i32_e32 v40, v248, v31 /*v287*/
	s_set_vgpr_msb 64                       ;  msbs: dst=1 src0=0 src1=0 src2=0
	s_delay_alu instid0(VALU_DEP_1)
	v_dual_lshlrev_b32 v32 /*v288*/, 4, v40 :: v_dual_lshlrev_b32 v33 /*v289*/, 11, v40
	v_lshlrev_b32_e32 v34 /*v290*/, 18, v40
	s_set_vgpr_msb 0                        ;  msbs: dst=0 src0=0 src1=0 src2=0
	v_lshlrev_b32_e32 v40, 25, v40
	s_set_vgpr_msb 0x44                     ;  msbs: dst=1 src0=0 src1=1 src2=0
	v_and_b32_e32 v32 /*v288*/, 16, v32 /*v288*/
	v_and_b32_e32 v33 /*v289*/, 0x1000, v33 /*v289*/
	;; [unrolled: 1-line block ×3, first 2 shown]
	s_set_vgpr_msb 16                       ;  msbs: dst=0 src0=0 src1=0 src2=1
	v_and_b32_e32 v40, 0x10000000, v40
	s_delay_alu instid0(VALU_DEP_1) | instskip(SKIP_1) | instid1(VALU_DEP_1)
	v_or3_b32 v37, v40, v37, v34 /*v290*/
	s_set_vgpr_msb 20                       ;  msbs: dst=0 src0=0 src1=1 src2=1
	v_or3_b32 v40, v37, v32 /*v288*/, v33 /*v289*/
	global_load_b32 v37, v[38:39], off offset:160
	s_wait_xcnt 0x0
	s_set_vgpr_msb 5                        ;  msbs: dst=0 src0=1 src1=1 src2=0
	v_ashrrev_i32_e32 v38, v1 /*v257*/, v31 /*v287*/
	s_set_vgpr_msb 0                        ;  msbs: dst=0 src0=0 src1=0 src2=0
	s_delay_alu instid0(VALU_DEP_1) | instskip(SKIP_3) | instid1(VALU_DEP_2)
	v_lshlrev_b32_e32 v39, 4, v38
	s_set_vgpr_msb 64                       ;  msbs: dst=1 src0=0 src1=0 src2=0
	v_dual_lshlrev_b32 v31 /*v287*/, 11, v38 :: v_dual_lshlrev_b32 v32 /*v288*/, 18, v38
	s_set_vgpr_msb 0                        ;  msbs: dst=0 src0=0 src1=0 src2=0
	v_dual_lshlrev_b32 v38, 25, v38 :: v_dual_bitop2_b32 v39, 16, v39 bitop3:0x40
	s_set_vgpr_msb 0x44                     ;  msbs: dst=1 src0=0 src1=1 src2=0
	s_delay_alu instid0(VALU_DEP_2) | instskip(SKIP_3) | instid1(VALU_DEP_1)
	v_and_b32_e32 v31 /*v287*/, 0x1000, v31 /*v287*/
	v_and_b32_e32 v32 /*v288*/, 0x100000, v32 /*v288*/
	s_set_vgpr_msb 1                        ;  msbs: dst=0 src0=1 src1=0 src2=0
	v_and_b32_e32 v38, 0x10000000, v38
	v_or3_b32 v38, v32 /*v288*/, v38, v39
	s_wait_loadcnt 0x1
	s_set_vgpr_msb 0                        ;  msbs: dst=0 src0=0 src1=0 src2=0
	v_cvt_f32_f16_e32 v36, v36
	s_wait_loadcnt 0x0
	v_lshrrev_b32_e32 v37, 4, v37
	s_delay_alu instid0(VALU_DEP_1) | instskip(SKIP_1) | instid1(VALU_DEP_1)
	v_and_b32_e32 v37, 0xf0f0f0f, v37
	s_set_vgpr_msb 4                        ;  msbs: dst=0 src0=0 src1=1 src2=0
	v_or3_b32 v39, v38, v31 /*v287*/, v37
	s_set_vgpr_msb 0                        ;  msbs: dst=0 src0=0 src1=0 src2=0
	v_dot4_i32_iu8 v37, v45, v50, 0 neg_lo:[1,1,0]
	v_dot4_i32_iu8 v38, v46, v51, 0 neg_lo:[1,1,0]
	s_delay_alu instid0(VALU_DEP_2) | instskip(NEXT) | instid1(VALU_DEP_2)
	v_cvt_f32_i32_e32 v37, v37
	v_cvt_f32_i32_e32 v38, v38
	s_delay_alu instid0(VALU_DEP_1) | instskip(NEXT) | instid1(VALU_DEP_1)
	v_dual_fma_f32 v37, v0, v37, -v1 :: v_dual_fma_f32 v38, v0, v38, -v1
	v_fma_mix_f32 v37, v37, v33, 0 op_sel_hi:[0,1,0]
	s_delay_alu instid0(VALU_DEP_1) | instskip(SKIP_1) | instid1(VALU_DEP_1)
	v_fma_mix_f32 v37, v38, v33, v37 op_sel_hi:[0,1,0]
	v_dot4_i32_iu8 v38, v47, v54, 0 neg_lo:[1,1,0]
	v_cvt_f32_i32_e32 v38, v38
	s_delay_alu instid0(VALU_DEP_1) | instskip(NEXT) | instid1(VALU_DEP_1)
	v_fma_f32 v38, v0, v38, -v1
	v_fma_mix_f32 v37, v38, v33, v37 op_sel_hi:[0,1,0]
	v_dot4_i32_iu8 v38, v133, v55, 0 neg_lo:[1,1,0]
	s_delay_alu instid0(VALU_DEP_1) | instskip(NEXT) | instid1(VALU_DEP_1)
	v_cvt_f32_i32_e32 v38, v38
	v_fma_f32 v38, v0, v38, -v1
	s_delay_alu instid0(VALU_DEP_1) | instskip(SKIP_4) | instid1(VALU_DEP_2)
	v_fma_mix_f32 v33, v38, v33, v37 op_sel_hi:[0,1,0]
	v_dot4_i32_iu8 v37, v228, v56, 0 neg_lo:[1,1,0]
	s_set_vgpr_msb 1                        ;  msbs: dst=0 src0=1 src1=0 src2=0
	v_dot4_i32_iu8 v38, v22 /*v278*/, v75, 0 neg_lo:[1,1,0]
	s_set_vgpr_msb 0                        ;  msbs: dst=0 src0=0 src1=0 src2=0
	v_cvt_f32_i32_e32 v37, v37
	s_delay_alu instid0(VALU_DEP_1) | instskip(NEXT) | instid1(VALU_DEP_1)
	v_fma_f32 v37, v2, v37, -v3
	v_fma_mix_f32 v33, v37, v35, v33 op_sel_hi:[0,1,0]
	v_dot4_i32_iu8 v37, v229, v57, 0 neg_lo:[1,1,0]
	s_delay_alu instid0(VALU_DEP_1) | instskip(NEXT) | instid1(VALU_DEP_1)
	v_cvt_f32_i32_e32 v37, v37
	v_fma_f32 v37, v2, v37, -v3
	s_delay_alu instid0(VALU_DEP_1) | instskip(SKIP_1) | instid1(VALU_DEP_1)
	v_fma_mix_f32 v33, v37, v35, v33 op_sel_hi:[0,1,0]
	v_dot4_i32_iu8 v37, v230, v58, 0 neg_lo:[1,1,0]
	v_cvt_f32_i32_e32 v37, v37
	s_delay_alu instid0(VALU_DEP_1) | instskip(NEXT) | instid1(VALU_DEP_1)
	v_fma_f32 v37, v2, v37, -v3
	v_fma_mix_f32 v33, v37, v35, v33 op_sel_hi:[0,1,0]
	v_dot4_i32_iu8 v37, v231, v59, 0 neg_lo:[1,1,0]
	s_delay_alu instid0(VALU_DEP_1) | instskip(NEXT) | instid1(VALU_DEP_1)
	v_cvt_f32_i32_e32 v37, v37
	v_fma_f32 v37, v2, v37, -v3
	s_delay_alu instid0(VALU_DEP_1) | instskip(SKIP_4) | instid1(VALU_DEP_2)
	v_fma_mix_f32 v33, v37, v35, v33 op_sel_hi:[0,1,0]
	v_dot4_i32_iu8 v35, v233, v60, 0 neg_lo:[1,1,0]
	s_set_vgpr_msb 1                        ;  msbs: dst=0 src0=1 src1=0 src2=0
	v_dot4_i32_iu8 v37, v21 /*v277*/, v73, 0 neg_lo:[1,1,0]
	s_set_vgpr_msb 0                        ;  msbs: dst=0 src0=0 src1=0 src2=0
	v_cvt_f32_i32_e32 v35, v35
	s_delay_alu instid0(VALU_DEP_1) | instskip(SKIP_1) | instid1(VALU_DEP_1)
	v_fma_f32 v35, v4, v35, -v5
	s_set_vgpr_msb 4                        ;  msbs: dst=0 src0=0 src1=1 src2=0
	v_fma_mix_f32 v33, v35, v28 /*v284*/, v33 op_sel_hi:[0,1,0]
	s_set_vgpr_msb 1                        ;  msbs: dst=0 src0=1 src1=0 src2=0
	v_dot4_i32_iu8 v35, v6 /*v262*/, v61, 0 neg_lo:[1,1,0]
	s_set_vgpr_msb 0                        ;  msbs: dst=0 src0=0 src1=0 src2=0
	s_delay_alu instid0(VALU_DEP_1) | instskip(NEXT) | instid1(VALU_DEP_1)
	v_cvt_f32_i32_e32 v35, v35
	v_fma_f32 v35, v4, v35, -v5
	s_set_vgpr_msb 4                        ;  msbs: dst=0 src0=0 src1=1 src2=0
	s_delay_alu instid0(VALU_DEP_1) | instskip(SKIP_3) | instid1(VALU_DEP_1)
	v_fma_mix_f32 v33, v35, v28 /*v284*/, v33 op_sel_hi:[0,1,0]
	s_set_vgpr_msb 1                        ;  msbs: dst=0 src0=1 src1=0 src2=0
	v_dot4_i32_iu8 v35, v7 /*v263*/, v62, 0 neg_lo:[1,1,0]
	s_set_vgpr_msb 0                        ;  msbs: dst=0 src0=0 src1=0 src2=0
	v_cvt_f32_i32_e32 v35, v35
	s_delay_alu instid0(VALU_DEP_1) | instskip(SKIP_1) | instid1(VALU_DEP_1)
	v_fma_f32 v35, v4, v35, -v5
	s_set_vgpr_msb 4                        ;  msbs: dst=0 src0=0 src1=1 src2=0
	v_fma_mix_f32 v33, v35, v28 /*v284*/, v33 op_sel_hi:[0,1,0]
	s_set_vgpr_msb 1                        ;  msbs: dst=0 src0=1 src1=0 src2=0
	v_dot4_i32_iu8 v35, v8 /*v264*/, v63, 0 neg_lo:[1,1,0]
	s_set_vgpr_msb 0                        ;  msbs: dst=0 src0=0 src1=0 src2=0
	s_delay_alu instid0(VALU_DEP_1) | instskip(NEXT) | instid1(VALU_DEP_1)
	v_cvt_f32_i32_e32 v35, v35
	v_fma_f32 v35, v4, v35, -v5
	s_set_vgpr_msb 4                        ;  msbs: dst=0 src0=0 src1=1 src2=0
	s_delay_alu instid0(VALU_DEP_1) | instskip(SKIP_3) | instid1(VALU_DEP_1)
	v_fma_mix_f32 v33, v35, v28 /*v284*/, v33 op_sel_hi:[0,1,0]
	;; [unrolled: 17-line block ×3, first 2 shown]
	s_set_vgpr_msb 1                        ;  msbs: dst=0 src0=1 src1=0 src2=0
	v_dot4_i32_iu8 v35, v12 /*v268*/, v66, 0 neg_lo:[1,1,0]
	s_set_vgpr_msb 0                        ;  msbs: dst=0 src0=0 src1=0 src2=0
	v_cvt_f32_i32_e32 v35, v35
	s_delay_alu instid0(VALU_DEP_1) | instskip(SKIP_1) | instid1(VALU_DEP_1)
	v_fma_f32 v35, v6, v35, -v7
	s_set_vgpr_msb 4                        ;  msbs: dst=0 src0=0 src1=1 src2=0
	v_fma_mix_f32 v33, v35, v29 /*v285*/, v33 op_sel_hi:[0,1,0]
	s_set_vgpr_msb 1                        ;  msbs: dst=0 src0=1 src1=0 src2=0
	v_dot4_i32_iu8 v35, v13 /*v269*/, v67, 0 neg_lo:[1,1,0]
	s_set_vgpr_msb 0                        ;  msbs: dst=0 src0=0 src1=0 src2=0
	s_delay_alu instid0(VALU_DEP_1) | instskip(NEXT) | instid1(VALU_DEP_1)
	v_cvt_f32_i32_e32 v35, v35
	v_fma_f32 v35, v6, v35, -v7
	s_set_vgpr_msb 4                        ;  msbs: dst=0 src0=0 src1=1 src2=0
	s_delay_alu instid0(VALU_DEP_1)
	v_fma_mix_f32 v33, v35, v29 /*v285*/, v33 op_sel_hi:[0,1,0]
	s_set_vgpr_msb 1                        ;  msbs: dst=0 src0=1 src1=0 src2=0
	v_dot4_i32_iu8 v35, v15 /*v271*/, v68, 0 neg_lo:[1,1,0]
	s_set_vgpr_msb 64                       ;  msbs: dst=1 src0=0 src1=0 src2=0
	v_cvt_f32_i32_e32 v29 /*v285*/, v37
	s_set_vgpr_msb 1                        ;  msbs: dst=0 src0=1 src1=0 src2=0
	v_dot4_i32_iu8 v37, v20 /*v276*/, v74, 0 neg_lo:[1,1,0]
	s_set_vgpr_msb 0                        ;  msbs: dst=0 src0=0 src1=0 src2=0
	v_cvt_f32_i32_e32 v35, v35
	s_delay_alu instid0(VALU_DEP_1) | instskip(SKIP_1) | instid1(VALU_DEP_1)
	v_fma_f32 v35, v8, v35, -v9
	s_set_vgpr_msb 4                        ;  msbs: dst=0 src0=0 src1=1 src2=0
	v_fma_mix_f32 v33, v35, v30 /*v286*/, v33 op_sel_hi:[0,1,0]
	s_set_vgpr_msb 1                        ;  msbs: dst=0 src0=1 src1=0 src2=0
	v_dot4_i32_iu8 v35, v16 /*v272*/, v69, 0 neg_lo:[1,1,0]
	s_set_vgpr_msb 0                        ;  msbs: dst=0 src0=0 src1=0 src2=0
	s_delay_alu instid0(VALU_DEP_1) | instskip(NEXT) | instid1(VALU_DEP_1)
	v_cvt_f32_i32_e32 v35, v35
	v_fma_f32 v35, v8, v35, -v9
	s_set_vgpr_msb 4                        ;  msbs: dst=0 src0=0 src1=1 src2=0
	s_delay_alu instid0(VALU_DEP_1) | instskip(SKIP_3) | instid1(VALU_DEP_1)
	v_fma_mix_f32 v33, v35, v30 /*v286*/, v33 op_sel_hi:[0,1,0]
	s_set_vgpr_msb 1                        ;  msbs: dst=0 src0=1 src1=0 src2=0
	v_dot4_i32_iu8 v35, v17 /*v273*/, v70, 0 neg_lo:[1,1,0]
	s_set_vgpr_msb 0                        ;  msbs: dst=0 src0=0 src1=0 src2=0
	v_cvt_f32_i32_e32 v35, v35
	s_delay_alu instid0(VALU_DEP_1) | instskip(SKIP_1) | instid1(VALU_DEP_1)
	v_fma_f32 v35, v8, v35, -v9
	s_set_vgpr_msb 4                        ;  msbs: dst=0 src0=0 src1=1 src2=0
	v_fma_mix_f32 v33, v35, v30 /*v286*/, v33 op_sel_hi:[0,1,0]
	s_set_vgpr_msb 1                        ;  msbs: dst=0 src0=1 src1=0 src2=0
	v_dot4_i32_iu8 v35, v18 /*v274*/, v71, 0 neg_lo:[1,1,0]
	s_set_vgpr_msb 0                        ;  msbs: dst=0 src0=0 src1=0 src2=0
	s_delay_alu instid0(VALU_DEP_1) | instskip(NEXT) | instid1(VALU_DEP_1)
	v_cvt_f32_i32_e32 v35, v35
	v_fma_f32 v35, v8, v35, -v9
	s_set_vgpr_msb 4                        ;  msbs: dst=0 src0=0 src1=1 src2=0
	s_delay_alu instid0(VALU_DEP_1) | instskip(SKIP_3) | instid1(VALU_DEP_1)
	v_fma_mix_f32 v35, v35, v30 /*v286*/, v33 op_sel_hi:[0,1,0]
	s_set_vgpr_msb 1                        ;  msbs: dst=0 src0=1 src1=0 src2=0
	v_dot4_i32_iu8 v33, v19 /*v275*/, v72, 0 neg_lo:[1,1,0]
	s_set_vgpr_msb 64                       ;  msbs: dst=1 src0=0 src1=0 src2=0
	v_cvt_f32_i32_e32 v28 /*v284*/, v33
	s_set_vgpr_msb 0                        ;  msbs: dst=0 src0=0 src1=0 src2=0
	v_mov_b32_e32 v33, v32
	s_set_vgpr_msb 0x44                     ;  msbs: dst=1 src0=0 src1=1 src2=0
	s_delay_alu instid0(VALU_DEP_2) | instskip(SKIP_1) | instid1(VALU_DEP_1)
	v_pk_fma_f32 v[28:29] /*v[284:285]*/, v[10:11], v[28:29] /*v[284:285]*/, v[218:219] neg_lo:[0,0,1] neg_hi:[0,0,1]
	s_set_vgpr_msb 0x41                     ;  msbs: dst=1 src0=1 src1=0 src2=0
	v_pk_mul_f32 v[28:29] /*v[284:285]*/, v[28:29] /*v[284:285]*/, v[32:33] op_sel_hi:[1,0]
	s_set_vgpr_msb 4                        ;  msbs: dst=0 src0=0 src1=1 src2=0
	s_delay_alu instid0(VALU_DEP_1) | instskip(SKIP_3) | instid1(VALU_DEP_2)
	v_add_f32_e32 v35, v35, v28 /*v284*/
	s_set_vgpr_msb 64                       ;  msbs: dst=1 src0=0 src1=0 src2=0
	v_cvt_f32_i32_e32 v28 /*v284*/, v37
	s_set_vgpr_msb 4                        ;  msbs: dst=0 src0=0 src1=1 src2=0
	v_add_f32_e32 v35, v35, v29 /*v285*/
	s_set_vgpr_msb 64                       ;  msbs: dst=1 src0=0 src1=0 src2=0
	v_cvt_f32_i32_e32 v29 /*v285*/, v38
	s_set_vgpr_msb 1                        ;  msbs: dst=0 src0=1 src1=0 src2=0
	v_dot4_i32_iu8 v38, v25 /*v281*/, v77, 0 neg_lo:[1,1,0]
	s_set_vgpr_msb 0x44                     ;  msbs: dst=1 src0=0 src1=1 src2=0
	s_delay_alu instid0(VALU_DEP_2) | instskip(SKIP_1) | instid1(VALU_DEP_1)
	v_pk_fma_f32 v[28:29] /*v[284:285]*/, v[10:11], v[28:29] /*v[284:285]*/, v[218:219] neg_lo:[0,0,1] neg_hi:[0,0,1]
	s_set_vgpr_msb 0x41                     ;  msbs: dst=1 src0=1 src1=0 src2=0
	v_pk_mul_f32 v[28:29] /*v[284:285]*/, v[28:29] /*v[284:285]*/, v[32:33] op_sel_hi:[1,0]
	s_set_vgpr_msb 1                        ;  msbs: dst=0 src0=1 src1=0 src2=0
	s_delay_alu instid0(VALU_DEP_1) | instskip(SKIP_1) | instid1(VALU_DEP_1)
	v_add_f32_e32 v35, v28 /*v284*/, v35
	s_set_vgpr_msb 4                        ;  msbs: dst=0 src0=0 src1=1 src2=0
	v_add_f32_e32 v37, v35, v29 /*v285*/
	s_set_vgpr_msb 1                        ;  msbs: dst=0 src0=1 src1=0 src2=0
	v_dot4_i32_iu8 v35, v23 /*v279*/, v76, 0 neg_lo:[1,1,0]
	s_set_vgpr_msb 64                       ;  msbs: dst=1 src0=0 src1=0 src2=0
	v_cvt_f32_i32_e32 v29 /*v285*/, v38
	s_set_vgpr_msb 1                        ;  msbs: dst=0 src0=1 src1=0 src2=0
	v_dot4_i32_iu8 v38, v24 /*v280*/, v78, 0 neg_lo:[1,1,0]
	s_set_vgpr_msb 64                       ;  msbs: dst=1 src0=0 src1=0 src2=0
	v_cvt_f32_i32_e32 v28 /*v284*/, v35
	s_set_vgpr_msb 0                        ;  msbs: dst=0 src0=0 src1=0 src2=0
	v_mov_b32_e32 v35, v34
	s_set_vgpr_msb 0x44                     ;  msbs: dst=1 src0=0 src1=1 src2=0
	s_delay_alu instid0(VALU_DEP_2) | instskip(SKIP_1) | instid1(VALU_DEP_1)
	v_pk_fma_f32 v[28:29] /*v[284:285]*/, v[12:13], v[28:29] /*v[284:285]*/, v[216:217] neg_lo:[0,0,1] neg_hi:[0,0,1]
	s_set_vgpr_msb 0x41                     ;  msbs: dst=1 src0=1 src1=0 src2=0
	v_pk_mul_f32 v[28:29] /*v[284:285]*/, v[28:29] /*v[284:285]*/, v[34:35] op_sel_hi:[1,0]
	s_set_vgpr_msb 4                        ;  msbs: dst=0 src0=0 src1=1 src2=0
	s_delay_alu instid0(VALU_DEP_1) | instskip(SKIP_3) | instid1(VALU_DEP_2)
	v_add_f32_e32 v37, v37, v28 /*v284*/
	s_set_vgpr_msb 0x41                     ;  msbs: dst=1 src0=1 src1=0 src2=0
	v_dot4_i32_iu8 v28 /*v284*/, v27 /*v283*/, v79, 0 neg_lo:[1,1,0]
	s_set_vgpr_msb 4                        ;  msbs: dst=0 src0=0 src1=1 src2=0
	v_add_f32_e32 v37, v37, v29 /*v285*/
	s_set_vgpr_msb 0x41                     ;  msbs: dst=1 src0=1 src1=0 src2=0
	s_delay_alu instid0(VALU_DEP_2) | instskip(SKIP_2) | instid1(VALU_DEP_1)
	v_cvt_f32_i32_e32 v29 /*v285*/, v28 /*v284*/
	s_set_vgpr_msb 0x44                     ;  msbs: dst=1 src0=0 src1=1 src2=0
	v_cvt_f32_i32_e32 v28 /*v284*/, v38
	v_pk_fma_f32 v[28:29] /*v[284:285]*/, v[12:13], v[28:29] /*v[284:285]*/, v[216:217] neg_lo:[0,0,1] neg_hi:[0,0,1]
	s_set_vgpr_msb 0x41                     ;  msbs: dst=1 src0=1 src1=0 src2=0
	s_delay_alu instid0(VALU_DEP_1) | instskip(SKIP_1) | instid1(VALU_DEP_1)
	v_pk_mul_f32 v[28:29] /*v[284:285]*/, v[28:29] /*v[284:285]*/, v[34:35] op_sel_hi:[1,0]
	s_set_vgpr_msb 1                        ;  msbs: dst=0 src0=1 src1=0 src2=0
	v_add_f32_e32 v37, v28 /*v284*/, v37
	s_set_vgpr_msb 64                       ;  msbs: dst=1 src0=0 src1=0 src2=0
	v_dot4_i32_iu8 v28 /*v284*/, v41, v81, 0 neg_lo:[1,1,0]
	s_set_vgpr_msb 4                        ;  msbs: dst=0 src0=0 src1=1 src2=0
	s_delay_alu instid0(VALU_DEP_2)
	v_add_f32_e32 v38, v37, v29 /*v285*/
	s_set_vgpr_msb 1                        ;  msbs: dst=0 src0=1 src1=0 src2=0
	v_dot4_i32_iu8 v37, v26 /*v282*/, v80, 0 neg_lo:[1,1,0]
	s_set_vgpr_msb 0x41                     ;  msbs: dst=1 src0=1 src1=0 src2=0
	v_cvt_f32_i32_e32 v29 /*v285*/, v28 /*v284*/
	s_set_vgpr_msb 64                       ;  msbs: dst=1 src0=0 src1=0 src2=0
	s_delay_alu instid0(VALU_DEP_2) | instskip(SKIP_3) | instid1(VALU_DEP_2)
	v_cvt_f32_i32_e32 v28 /*v284*/, v37
	s_set_vgpr_msb 0                        ;  msbs: dst=0 src0=0 src1=0 src2=0
	v_mov_b32_e32 v37, v36
	s_set_vgpr_msb 0x44                     ;  msbs: dst=1 src0=0 src1=1 src2=0
	v_pk_fma_f32 v[28:29] /*v[284:285]*/, v[14:15], v[28:29] /*v[284:285]*/, v[214:215] neg_lo:[0,0,1] neg_hi:[0,0,1]
	s_set_vgpr_msb 0x41                     ;  msbs: dst=1 src0=1 src1=0 src2=0
	s_delay_alu instid0(VALU_DEP_1) | instskip(SKIP_1) | instid1(VALU_DEP_1)
	v_pk_mul_f32 v[28:29] /*v[284:285]*/, v[28:29] /*v[284:285]*/, v[36:37] op_sel_hi:[1,0]
	s_set_vgpr_msb 4                        ;  msbs: dst=0 src0=0 src1=1 src2=0
	v_add_f32_e32 v38, v38, v28 /*v284*/
	s_set_vgpr_msb 64                       ;  msbs: dst=1 src0=0 src1=0 src2=0
	v_dot4_i32_iu8 v28 /*v284*/, v40, v82, 0 neg_lo:[1,1,0]
	s_set_vgpr_msb 4                        ;  msbs: dst=0 src0=0 src1=1 src2=0
	s_delay_alu instid0(VALU_DEP_2) | instskip(SKIP_4) | instid1(VALU_DEP_2)
	v_add_f32_e32 v38, v38, v29 /*v285*/
	s_set_vgpr_msb 64                       ;  msbs: dst=1 src0=0 src1=0 src2=0
	v_dot4_i32_iu8 v29 /*v285*/, v39, v83, 0 neg_lo:[1,1,0]
	s_set_vgpr_msb 0x41                     ;  msbs: dst=1 src0=1 src1=0 src2=0
	v_cvt_f32_i32_e32 v28 /*v284*/, v28 /*v284*/
	v_cvt_f32_i32_e32 v29 /*v285*/, v29 /*v285*/
	s_set_vgpr_msb 0x44                     ;  msbs: dst=1 src0=0 src1=1 src2=0
	s_delay_alu instid0(VALU_DEP_1) | instskip(SKIP_1) | instid1(VALU_DEP_1)
	v_pk_fma_f32 v[28:29] /*v[284:285]*/, v[14:15], v[28:29] /*v[284:285]*/, v[214:215] neg_lo:[0,0,1] neg_hi:[0,0,1]
	s_set_vgpr_msb 0x41                     ;  msbs: dst=1 src0=1 src1=0 src2=0
	v_pk_mul_f32 v[28:29] /*v[284:285]*/, v[28:29] /*v[284:285]*/, v[36:37] op_sel_hi:[1,0]
	s_set_vgpr_msb 1                        ;  msbs: dst=0 src0=1 src1=0 src2=0
	s_delay_alu instid0(VALU_DEP_1) | instskip(SKIP_1) | instid1(VALU_DEP_1)
	v_add_f32_e32 v38, v28 /*v284*/, v38
	s_set_vgpr_msb 4                        ;  msbs: dst=0 src0=0 src1=1 src2=0
	v_add_f32_e32 v38, v38, v29 /*v285*/
	s_set_vgpr_msb 64                       ;  msbs: dst=1 src0=0 src1=0 src2=0
	ds_bpermute_b32 v28 /*v284*/, v241, v38
	s_wait_dscnt 0x0
	s_set_vgpr_msb 4                        ;  msbs: dst=0 src0=0 src1=1 src2=0
	v_add_f32_e32 v38, v38, v28 /*v284*/
	s_set_vgpr_msb 0                        ;  msbs: dst=0 src0=0 src1=0 src2=0
	s_cbranch_vccz .LBB28_23
; %bb.22:                               ;   in Loop: Header=BB28_21 Depth=1
	s_set_vgpr_msb 64                       ;  msbs: dst=1 src0=0 src1=0 src2=0
	global_load_u16 v28 /*v284*/, v132, s[4:5] scale_offset
	s_wait_loadcnt 0x0
	s_set_vgpr_msb 4                        ;  msbs: dst=0 src0=0 src1=1 src2=0
	v_fma_mix_f32 v38, v237, v28 /*v284*/, v38 op_sel_hi:[0,1,0]
.LBB28_23:                              ;   in Loop: Header=BB28_21 Depth=1
	s_set_vgpr_msb 0                        ;  msbs: dst=0 src0=0 src1=0 src2=0
	v_dot4_i32_iu8 v45, v45, v84, 0 neg_lo:[1,1,0]
	v_dot4_i32_iu8 v46, v46, v85, 0 neg_lo:[1,1,0]
	;; [unrolled: 1-line block ×5, first 2 shown]
	v_cvt_f32_i32_e32 v45, v45
	v_cvt_f32_i32_e32 v46, v46
	;; [unrolled: 1-line block ×4, first 2 shown]
	v_dot4_i32_iu8 v39, v39, v115, 0 neg_lo:[1,1,0]
	s_delay_alu instid0(VALU_DEP_4) | instskip(NEXT) | instid1(VALU_DEP_3)
	v_dual_fma_f32 v45, v16, v45, -v17 :: v_dual_fma_f32 v46, v16, v46, -v17
	v_dual_fma_f32 v47, v16, v47, -v17 :: v_dual_fma_f32 v133, v16, v133, -v17
	v_dot4_i32_iu8 v40, v40, v114, 0 neg_lo:[1,1,0]
	s_set_vgpr_msb 64                       ;  msbs: dst=1 src0=0 src1=0 src2=0
	s_delay_alu instid0(VALU_DEP_3)
	v_fma_f32 v28 /*v284*/, v45, v44, 0
	s_set_vgpr_msb 0                        ;  msbs: dst=0 src0=0 src1=0 src2=0
	v_dot4_i32_iu8 v45, v228, v88, 0 neg_lo:[1,1,0]
	s_and_not1_b32 vcc_lo, exec_lo, s24
	v_cvt_f32_i32_e32 v40, v40
	s_set_vgpr_msb 64                       ;  msbs: dst=1 src0=0 src1=0 src2=0
	v_fmac_f32_e32 v28 /*v284*/, v46, v44
	s_set_vgpr_msb 0                        ;  msbs: dst=0 src0=0 src1=0 src2=0
	v_dot4_i32_iu8 v46, v229, v89, 0 neg_lo:[1,1,0]
	v_cvt_f32_i32_e32 v45, v45
	s_set_vgpr_msb 64                       ;  msbs: dst=1 src0=0 src1=0 src2=0
	v_fmac_f32_e32 v28 /*v284*/, v47, v44
	s_set_vgpr_msb 0                        ;  msbs: dst=0 src0=0 src1=0 src2=0
	v_dot4_i32_iu8 v47, v230, v90, 0 neg_lo:[1,1,0]
	v_cvt_f32_i32_e32 v46, v46
	v_fma_f32 v45, v18, v45, -v19
	s_set_vgpr_msb 64                       ;  msbs: dst=1 src0=0 src1=0 src2=0
	v_fmac_f32_e32 v28 /*v284*/, v133, v44
	s_set_vgpr_msb 0                        ;  msbs: dst=0 src0=0 src1=0 src2=0
	v_dot4_i32_iu8 v44, v231, v91, 0 neg_lo:[1,1,0]
	v_cvt_f32_i32_e32 v47, v47
	v_fma_f32 v46, v18, v46, -v19
	s_set_vgpr_msb 1                        ;  msbs: dst=0 src0=1 src1=0 src2=0
	v_dot4_i32_iu8 v133, v18 /*v274*/, v103, 0 neg_lo:[1,1,0]
	s_set_vgpr_msb 64                       ;  msbs: dst=1 src0=0 src1=0 src2=0
	v_fmac_f32_e32 v28 /*v284*/, v45, v227
	s_set_vgpr_msb 0                        ;  msbs: dst=0 src0=0 src1=0 src2=0
	v_dot4_i32_iu8 v45, v233, v92, 0 neg_lo:[1,1,0]
	v_cvt_f32_i32_e32 v44, v44
	v_fma_f32 v47, v18, v47, -v19
	v_cvt_f32_i32_e32 v133, v133
	s_set_vgpr_msb 64                       ;  msbs: dst=1 src0=0 src1=0 src2=0
	v_fmac_f32_e32 v28 /*v284*/, v46, v227
	s_set_vgpr_msb 1                        ;  msbs: dst=0 src0=1 src1=0 src2=0
	v_dot4_i32_iu8 v46, v6 /*v262*/, v93, 0 neg_lo:[1,1,0]
	s_set_vgpr_msb 0                        ;  msbs: dst=0 src0=0 src1=0 src2=0
	v_cvt_f32_i32_e32 v45, v45
	v_dual_fma_f32 v44, v18, v44, -v19 :: v_dual_fma_f32 v133, v24, v133, -v25
	s_set_vgpr_msb 64                       ;  msbs: dst=1 src0=0 src1=0 src2=0
	v_fmac_f32_e32 v28 /*v284*/, v47, v227
	s_set_vgpr_msb 1                        ;  msbs: dst=0 src0=1 src1=0 src2=0
	v_dot4_i32_iu8 v47, v7 /*v263*/, v94, 0 neg_lo:[1,1,0]
	s_set_vgpr_msb 0                        ;  msbs: dst=0 src0=0 src1=0 src2=0
	v_cvt_f32_i32_e32 v46, v46
	v_fma_f32 v45, v20, v45, -v21
	s_set_vgpr_msb 64                       ;  msbs: dst=1 src0=0 src1=0 src2=0
	v_fmac_f32_e32 v28 /*v284*/, v44, v227
	s_set_vgpr_msb 1                        ;  msbs: dst=0 src0=1 src1=0 src2=0
	v_dot4_i32_iu8 v44, v8 /*v264*/, v95, 0 neg_lo:[1,1,0]
	s_set_vgpr_msb 0                        ;  msbs: dst=0 src0=0 src1=0 src2=0
	v_cvt_f32_i32_e32 v47, v47
	v_fma_f32 v46, v20, v46, -v21
	s_set_vgpr_msb 1                        ;  msbs: dst=0 src0=1 src1=0 src2=0
	v_dot4_i32_iu8 v227, v21 /*v277*/, v105, 0 neg_lo:[1,1,0]
	s_set_vgpr_msb 64                       ;  msbs: dst=1 src0=0 src1=0 src2=0
	v_fmac_f32_e32 v28 /*v284*/, v45, v232
	s_set_vgpr_msb 1                        ;  msbs: dst=0 src0=1 src1=0 src2=0
	v_dot4_i32_iu8 v45, v10 /*v266*/, v96, 0 neg_lo:[1,1,0]
	s_set_vgpr_msb 0                        ;  msbs: dst=0 src0=0 src1=0 src2=0
	v_cvt_f32_i32_e32 v44, v44
	v_fma_f32 v47, v20, v47, -v21
	s_set_vgpr_msb 64                       ;  msbs: dst=1 src0=0 src1=0 src2=0
	v_fmac_f32_e32 v28 /*v284*/, v46, v232
	s_set_vgpr_msb 1                        ;  msbs: dst=0 src0=1 src1=0 src2=0
	v_dot4_i32_iu8 v46, v11 /*v267*/, v97, 0 neg_lo:[1,1,0]
	s_set_vgpr_msb 0                        ;  msbs: dst=0 src0=0 src1=0 src2=0
	v_cvt_f32_i32_e32 v45, v45
	v_fma_f32 v44, v20, v44, -v21
	;; [unrolled: 7-line block ×4, first 2 shown]
	s_set_vgpr_msb 0x44                     ;  msbs: dst=1 src0=0 src1=1 src2=0
	v_fmac_f32_e32 v28 /*v284*/, v45, v9 /*v265*/
	s_set_vgpr_msb 1                        ;  msbs: dst=0 src0=1 src1=0 src2=0
	v_dot4_i32_iu8 v45, v15 /*v271*/, v100, 0 neg_lo:[1,1,0]
	s_set_vgpr_msb 0                        ;  msbs: dst=0 src0=0 src1=0 src2=0
	v_cvt_f32_i32_e32 v44, v44
	v_fma_f32 v47, v22, v47, -v23
	s_set_vgpr_msb 0x44                     ;  msbs: dst=1 src0=0 src1=1 src2=0
	v_fmac_f32_e32 v28 /*v284*/, v46, v9 /*v265*/
	s_set_vgpr_msb 1                        ;  msbs: dst=0 src0=1 src1=0 src2=0
	v_dot4_i32_iu8 v46, v16 /*v272*/, v101, 0 neg_lo:[1,1,0]
	s_set_vgpr_msb 0                        ;  msbs: dst=0 src0=0 src1=0 src2=0
	v_cvt_f32_i32_e32 v45, v45
	v_fma_f32 v44, v22, v44, -v23
	;; [unrolled: 7-line block ×4, first 2 shown]
	s_set_vgpr_msb 0x44                     ;  msbs: dst=1 src0=0 src1=1 src2=0
	v_fmac_f32_e32 v28 /*v284*/, v45, v14 /*v270*/
	s_set_vgpr_msb 0                        ;  msbs: dst=0 src0=0 src1=0 src2=0
	v_cvt_f32_i32_e32 v45, v227
	v_cvt_f32_i32_e32 v44, v44
	v_fma_f32 v47, v24, v47, -v25
	s_set_vgpr_msb 1                        ;  msbs: dst=0 src0=1 src1=0 src2=0
	v_dot4_i32_iu8 v227, v22 /*v278*/, v107, 0 neg_lo:[1,1,0]
	s_set_vgpr_msb 0x44                     ;  msbs: dst=1 src0=0 src1=1 src2=0
	v_fmac_f32_e32 v28 /*v284*/, v46, v14 /*v270*/
	s_set_vgpr_msb 1                        ;  msbs: dst=0 src0=1 src1=0 src2=0
	v_dot4_i32_iu8 v46, v20 /*v276*/, v106, 0 neg_lo:[1,1,0]
	s_set_vgpr_msb 0                        ;  msbs: dst=0 src0=0 src1=0 src2=0
	v_pk_fma_f32 v[44:45], v[26:27], v[44:45], v[212:213] neg_lo:[0,0,1] neg_hi:[0,0,1]
	s_set_vgpr_msb 0x44                     ;  msbs: dst=1 src0=0 src1=1 src2=0
	v_fmac_f32_e32 v28 /*v284*/, v47, v14 /*v270*/
	s_set_vgpr_msb 0                        ;  msbs: dst=0 src0=0 src1=0 src2=0
	v_cvt_f32_i32_e32 v47, v227
	v_cvt_f32_i32_e32 v46, v46
	v_pk_mul_f32 v[44:45], v[44:45], v[32:33]
	s_set_vgpr_msb 1                        ;  msbs: dst=0 src0=1 src1=0 src2=0
	v_dot4_i32_iu8 v227, v23 /*v279*/, v108, 0 neg_lo:[1,1,0]
	s_set_vgpr_msb 0x44                     ;  msbs: dst=1 src0=0 src1=1 src2=0
	v_fmac_f32_e32 v28 /*v284*/, v133, v14 /*v270*/
	s_set_vgpr_msb 1                        ;  msbs: dst=0 src0=1 src1=0 src2=0
	v_dot4_i32_iu8 v133, v25 /*v281*/, v109, 0 neg_lo:[1,1,0]
	s_set_vgpr_msb 0                        ;  msbs: dst=0 src0=0 src1=0 src2=0
	v_pk_fma_f32 v[46:47], v[26:27], v[46:47], v[212:213] neg_lo:[0,0,1] neg_hi:[0,0,1]
	v_cvt_f32_i32_e32 v228, v227
	s_set_vgpr_msb 1                        ;  msbs: dst=0 src0=1 src1=0 src2=0
	v_add_f32_e32 v44, v28 /*v284*/, v44
	s_set_vgpr_msb 0                        ;  msbs: dst=0 src0=0 src1=0 src2=0
	v_cvt_f32_i32_e32 v229, v133
	v_pk_mul_f32 v[32:33], v[46:47], v[32:33]
	s_set_vgpr_msb 1                        ;  msbs: dst=0 src0=1 src1=0 src2=0
	v_dot4_i32_iu8 v47, v27 /*v283*/, v111, 0 neg_lo:[1,1,0]
	v_dot4_i32_iu8 v133, v24 /*v280*/, v110, 0 neg_lo:[1,1,0]
	s_set_vgpr_msb 0                        ;  msbs: dst=0 src0=0 src1=0 src2=0
	v_add_f32_e32 v46, v44, v45
	v_pk_fma_f32 v[44:45], v[28:29], v[228:229], v[210:211] neg_lo:[0,0,1] neg_hi:[0,0,1]
	s_set_vgpr_msb 1                        ;  msbs: dst=0 src0=1 src1=0 src2=0
	v_dot4_i32_iu8 v227, v26 /*v282*/, v112, 0 neg_lo:[1,1,0]
	s_set_vgpr_msb 0                        ;  msbs: dst=0 src0=0 src1=0 src2=0
	v_cvt_f32_i32_e32 v47, v47
	v_add_f32_e32 v32, v32, v46
	v_cvt_f32_i32_e32 v46, v133
	v_pk_mul_f32 v[44:45], v[44:45], v[34:35]
	s_delay_alu instid0(VALU_DEP_3) | instskip(NEXT) | instid1(VALU_DEP_3)
	v_add_f32_e32 v133, v32, v33
	v_pk_fma_f32 v[32:33], v[28:29], v[46:47], v[210:211] neg_lo:[0,0,1] neg_hi:[0,0,1]
	v_cvt_f32_i32_e32 v47, v41
	v_cvt_f32_i32_e32 v46, v227
	s_delay_alu instid0(VALU_DEP_4) | instskip(NEXT) | instid1(VALU_DEP_4)
	v_add_f32_e32 v44, v133, v44
	v_pk_mul_f32 v[32:33], v[32:33], v[34:35]
	s_delay_alu instid0(VALU_DEP_3) | instskip(NEXT) | instid1(VALU_DEP_3)
	v_pk_fma_f32 v[34:35], v[30:31], v[46:47], v[208:209] neg_lo:[0,0,1] neg_hi:[0,0,1]
	v_add_f32_e32 v41, v44, v45
	s_delay_alu instid0(VALU_DEP_2) | instskip(NEXT) | instid1(VALU_DEP_2)
	v_pk_mul_f32 v[34:35], v[34:35], v[36:37]
	v_add_f32_e32 v32, v32, v41
	v_cvt_f32_i32_e32 v41, v39
	s_delay_alu instid0(VALU_DEP_2) | instskip(NEXT) | instid1(VALU_DEP_1)
	v_add_f32_e32 v32, v32, v33
	v_add_f32_e32 v34, v32, v34
	s_delay_alu instid0(VALU_DEP_3) | instskip(NEXT) | instid1(VALU_DEP_2)
	v_pk_fma_f32 v[32:33], v[30:31], v[40:41], v[208:209] neg_lo:[0,0,1] neg_hi:[0,0,1]
	v_add_f32_e32 v34, v34, v35
	s_delay_alu instid0(VALU_DEP_2) | instskip(NEXT) | instid1(VALU_DEP_1)
	v_pk_mul_f32 v[32:33], v[32:33], v[36:37]
	v_add_f32_e32 v32, v32, v34
	s_delay_alu instid0(VALU_DEP_1)
	v_add_f32_e32 v32, v32, v33
	ds_bpermute_b32 v33, v241, v32
	s_wait_dscnt 0x0
	v_add_f32_e32 v39, v32, v33
	s_cbranch_vccnz .LBB28_25
; %bb.24:                               ;   in Loop: Header=BB28_21 Depth=1
	v_lshl_add_u64 v[32:33], v[172:173], 1, s[4:5]
	global_load_u16 v32, v[32:33], off
	s_wait_loadcnt 0x0
	v_fma_mix_f32 v39, v237, v32, v39 op_sel_hi:[0,1,0]
.LBB28_25:                              ;   in Loop: Header=BB28_21 Depth=1
	s_set_vgpr_msb 0x41                     ;  msbs: dst=1 src0=1 src1=0 src2=0
	v_add_nc_u64_e32 v[30:31] /*v[286:287]*/, s[12:13], v[174:175]
	s_and_not1_b32 vcc_lo, exec_lo, s25
	s_delay_alu instid0(VALU_DEP_1)
	v_add_nc_u64_e32 v[28:29] /*v[284:285]*/, v[30:31] /*v[286:287]*/, v[48:49]
	s_set_vgpr_msb 1                        ;  msbs: dst=0 src0=1 src1=0 src2=0
	s_clause 0x3
	global_load_b32 v32, v[28:29] /*v[284:285]*/, off offset:6
	global_load_b32 v34, v[30:31] /*v[286:287]*/, off offset:2
	s_set_vgpr_msb 0x41                     ;  msbs: dst=1 src0=1 src1=0 src2=0
	global_load_u16 v20 /*v276*/, v[30:31] /*v[286:287]*/, off
	s_wait_loadcnt 0x2
	s_set_vgpr_msb 0                        ;  msbs: dst=0 src0=0 src1=0 src2=0
	v_and_b32_e32 v36, 0xf0f0f0f, v32
	s_wait_loadcnt 0x1
	v_dual_ashrrev_i32 v33, v48, v34 :: v_dual_lshrrev_b32 v32, 4, v32
	s_delay_alu instid0(VALU_DEP_1) | instskip(NEXT) | instid1(VALU_DEP_1)
	v_lshlrev_b32_e32 v35, 4, v33
	v_dual_lshlrev_b32 v37, 11, v33 :: v_dual_bitop2_b32 v35, 16, v35 bitop3:0x40
	v_dual_lshlrev_b32 v40, 18, v33 :: v_dual_lshlrev_b32 v33, 25, v33
	s_delay_alu instid0(VALU_DEP_2) | instskip(NEXT) | instid1(VALU_DEP_2)
	v_and_b32_e32 v37, 0x1000, v37
	v_and_b32_e32 v40, 0x100000, v40
	s_delay_alu instid0(VALU_DEP_3) | instskip(NEXT) | instid1(VALU_DEP_1)
	v_and_b32_e32 v33, 0x10000000, v33
	v_or3_b32 v33, v33, v36, v40
	s_delay_alu instid0(VALU_DEP_1) | instskip(SKIP_4) | instid1(VALU_DEP_1)
	v_or3_b32 v41, v33, v35, v37
	s_set_vgpr_msb 1                        ;  msbs: dst=0 src0=1 src1=0 src2=0
	global_load_b32 v33, v[28:29] /*v[284:285]*/, off offset:14
	s_set_vgpr_msb 0                        ;  msbs: dst=0 src0=0 src1=0 src2=0
	v_ashrrev_i32_e32 v35, v247, v34
	v_lshlrev_b32_e32 v36, 4, v35
	s_delay_alu instid0(VALU_DEP_1) | instskip(SKIP_1) | instid1(VALU_DEP_2)
	v_dual_lshlrev_b32 v37, 11, v35 :: v_dual_bitop2_b32 v36, 16, v36 bitop3:0x40
	v_dual_lshlrev_b32 v44, 18, v35 :: v_dual_lshlrev_b32 v35, 25, v35
	v_and_b32_e32 v37, 0x1000, v37
	s_delay_alu instid0(VALU_DEP_2) | instskip(NEXT) | instid1(VALU_DEP_3)
	v_and_b32_e32 v44, 0x100000, v44
	v_and_b32_e32 v35, 0x10000000, v35
	s_delay_alu instid0(VALU_DEP_1) | instskip(SKIP_2) | instid1(VALU_DEP_1)
	v_or3_b32 v35, v44, v35, v36
	s_wait_loadcnt 0x0
	v_and_b32_e32 v33, 0xf0f0f0f, v33
	v_or3_b32 v44, v35, v37, v33
	v_ashrrev_i32_e32 v33, v248, v34
	v_and_b32_e32 v32, 0xf0f0f0f, v32
	s_delay_alu instid0(VALU_DEP_2) | instskip(SKIP_1) | instid1(VALU_DEP_2)
	v_dual_lshlrev_b32 v35, 4, v33 :: v_dual_lshlrev_b32 v36, 11, v33
	v_dual_lshlrev_b32 v37, 18, v33 :: v_dual_lshlrev_b32 v33, 25, v33
	v_and_b32_e32 v35, 16, v35
	s_delay_alu instid0(VALU_DEP_3) | instskip(NEXT) | instid1(VALU_DEP_3)
	v_and_b32_e32 v36, 0x1000, v36
	v_and_b32_e32 v37, 0x100000, v37
	s_delay_alu instid0(VALU_DEP_4) | instskip(NEXT) | instid1(VALU_DEP_1)
	v_and_b32_e32 v33, 0x10000000, v33
	v_or3_b32 v32, v33, v32, v37
	s_delay_alu instid0(VALU_DEP_1)
	v_or3_b32 v45, v32, v35, v36
	s_set_vgpr_msb 1                        ;  msbs: dst=0 src0=1 src1=0 src2=0
	v_add_nc_u64_e32 v[32:33], v[30:31] /*v[286:287]*/, v[136:137]
	s_set_vgpr_msb 0                        ;  msbs: dst=0 src0=0 src1=0 src2=0
	global_load_b32 v32, v[32:33], off offset:6
	s_wait_xcnt 0x0
	v_ashrrev_i32_e32 v33, v249, v34
	s_set_vgpr_msb 1                        ;  msbs: dst=0 src0=1 src1=0 src2=0
	v_cvt_f32_f16_e64 v40, v20 /*v276*/
	s_delay_alu instid0(VALU_DEP_2) | instskip(NEXT) | instid1(VALU_DEP_1)
	v_lshlrev_b32_e32 v34, 4, v33
	v_dual_lshlrev_b32 v35, 11, v33 :: v_dual_bitop2_b32 v34, 16, v34 bitop3:0x40
	v_dual_lshlrev_b32 v36, 18, v33 :: v_dual_lshlrev_b32 v33, 25, v33
	s_delay_alu instid0(VALU_DEP_2) | instskip(NEXT) | instid1(VALU_DEP_2)
	v_and_b32_e32 v35, 0x1000, v35
	v_and_b32_e32 v36, 0x100000, v36
	s_delay_alu instid0(VALU_DEP_3) | instskip(SKIP_1) | instid1(VALU_DEP_1)
	v_and_b32_e32 v33, 0x10000000, v33
	s_set_vgpr_msb 0                        ;  msbs: dst=0 src0=0 src1=0 src2=0
	v_or3_b32 v33, v36, v33, v34
	s_wait_loadcnt 0x0
	v_lshrrev_b32_e32 v32, 4, v32
	s_delay_alu instid0(VALU_DEP_1) | instskip(NEXT) | instid1(VALU_DEP_1)
	v_and_b32_e32 v32, 0xf0f0f0f, v32
	v_or3_b32 v46, v33, v35, v32
	s_set_vgpr_msb 1                        ;  msbs: dst=0 src0=1 src1=0 src2=0
	s_clause 0x3
	global_load_b32 v32, v[28:29] /*v[284:285]*/, off offset:28
	global_load_b32 v34, v[30:31] /*v[286:287]*/, off offset:24
	s_set_vgpr_msb 0x41                     ;  msbs: dst=1 src0=1 src1=0 src2=0
	global_load_u16 v32 /*v288*/, v[30:31] /*v[286:287]*/, off offset:22
	s_wait_loadcnt 0x2
	s_set_vgpr_msb 0                        ;  msbs: dst=0 src0=0 src1=0 src2=0
	v_and_b32_e32 v36, 0xf0f0f0f, v32
	s_wait_loadcnt 0x1
	v_dual_ashrrev_i32 v33, v48, v34 :: v_dual_lshrrev_b32 v32, 4, v32
	s_delay_alu instid0(VALU_DEP_1) | instskip(NEXT) | instid1(VALU_DEP_1)
	v_lshlrev_b32_e32 v35, 4, v33
	v_dual_lshlrev_b32 v37, 11, v33 :: v_dual_bitop2_b32 v35, 16, v35 bitop3:0x40
	v_dual_lshlrev_b32 v47, 18, v33 :: v_dual_lshlrev_b32 v33, 25, v33
	s_delay_alu instid0(VALU_DEP_2) | instskip(NEXT) | instid1(VALU_DEP_2)
	v_and_b32_e32 v37, 0x1000, v37
	v_and_b32_e32 v47, 0x100000, v47
	s_delay_alu instid0(VALU_DEP_3) | instskip(NEXT) | instid1(VALU_DEP_1)
	v_and_b32_e32 v33, 0x10000000, v33
	v_or3_b32 v33, v33, v36, v47
	s_delay_alu instid0(VALU_DEP_1) | instskip(SKIP_4) | instid1(VALU_DEP_1)
	v_or3_b32 v133, v33, v35, v37
	s_set_vgpr_msb 1                        ;  msbs: dst=0 src0=1 src1=0 src2=0
	global_load_b32 v33, v[28:29] /*v[284:285]*/, off offset:36
	s_set_vgpr_msb 0                        ;  msbs: dst=0 src0=0 src1=0 src2=0
	v_ashrrev_i32_e32 v35, v247, v34
	v_lshlrev_b32_e32 v36, 4, v35
	s_delay_alu instid0(VALU_DEP_1) | instskip(SKIP_1) | instid1(VALU_DEP_2)
	v_dual_lshlrev_b32 v37, 11, v35 :: v_dual_bitop2_b32 v36, 16, v36 bitop3:0x40
	v_dual_lshlrev_b32 v227, 18, v35 :: v_dual_lshlrev_b32 v35, 25, v35
	v_and_b32_e32 v37, 0x1000, v37
	s_delay_alu instid0(VALU_DEP_2) | instskip(NEXT) | instid1(VALU_DEP_3)
	v_and_b32_e32 v227, 0x100000, v227
	v_and_b32_e32 v35, 0x10000000, v35
	s_delay_alu instid0(VALU_DEP_1) | instskip(SKIP_2) | instid1(VALU_DEP_1)
	v_or3_b32 v35, v227, v35, v36
	s_wait_loadcnt 0x0
	v_and_b32_e32 v33, 0xf0f0f0f, v33
	v_or3_b32 v227, v35, v37, v33
	v_ashrrev_i32_e32 v33, v248, v34
	v_and_b32_e32 v32, 0xf0f0f0f, v32
	s_delay_alu instid0(VALU_DEP_2) | instskip(SKIP_1) | instid1(VALU_DEP_2)
	v_dual_lshlrev_b32 v35, 4, v33 :: v_dual_lshlrev_b32 v36, 11, v33
	v_dual_lshlrev_b32 v37, 18, v33 :: v_dual_lshlrev_b32 v33, 25, v33
	v_and_b32_e32 v35, 16, v35
	s_delay_alu instid0(VALU_DEP_3) | instskip(NEXT) | instid1(VALU_DEP_3)
	v_and_b32_e32 v36, 0x1000, v36
	v_and_b32_e32 v37, 0x100000, v37
	s_delay_alu instid0(VALU_DEP_4) | instskip(NEXT) | instid1(VALU_DEP_1)
	v_and_b32_e32 v33, 0x10000000, v33
	v_or3_b32 v32, v33, v32, v37
	s_delay_alu instid0(VALU_DEP_1)
	v_or3_b32 v228, v32, v35, v36
	s_set_vgpr_msb 1                        ;  msbs: dst=0 src0=1 src1=0 src2=0
	v_add_nc_u64_e32 v[32:33], v[30:31] /*v[286:287]*/, v[138:139]
	s_set_vgpr_msb 0                        ;  msbs: dst=0 src0=0 src1=0 src2=0
	global_load_b32 v32, v[32:33], off offset:28
	s_wait_xcnt 0x0
	v_ashrrev_i32_e32 v33, v250, v34
	s_set_vgpr_msb 1                        ;  msbs: dst=0 src0=1 src1=0 src2=0
	v_cvt_f32_f16_e64 v47, v32 /*v288*/
	s_delay_alu instid0(VALU_DEP_2) | instskip(NEXT) | instid1(VALU_DEP_1)
	v_lshlrev_b32_e32 v34, 4, v33
	v_dual_lshlrev_b32 v35, 11, v33 :: v_dual_bitop2_b32 v34, 16, v34 bitop3:0x40
	v_dual_lshlrev_b32 v36, 18, v33 :: v_dual_lshlrev_b32 v33, 25, v33
	s_delay_alu instid0(VALU_DEP_2) | instskip(NEXT) | instid1(VALU_DEP_2)
	v_and_b32_e32 v35, 0x1000, v35
	v_and_b32_e32 v36, 0x100000, v36
	s_delay_alu instid0(VALU_DEP_3) | instskip(SKIP_1) | instid1(VALU_DEP_1)
	v_and_b32_e32 v33, 0x10000000, v33
	s_set_vgpr_msb 0                        ;  msbs: dst=0 src0=0 src1=0 src2=0
	v_or3_b32 v33, v36, v33, v34
	s_wait_loadcnt 0x0
	v_lshrrev_b32_e32 v32, 4, v32
	s_delay_alu instid0(VALU_DEP_1) | instskip(NEXT) | instid1(VALU_DEP_1)
	v_and_b32_e32 v32, 0xf0f0f0f, v32
	v_or3_b32 v229, v33, v35, v32
	s_set_vgpr_msb 1                        ;  msbs: dst=0 src0=1 src1=0 src2=0
	s_clause 0x3
	global_load_b32 v32, v[28:29] /*v[284:285]*/, off offset:50
	global_load_b32 v34, v[30:31] /*v[286:287]*/, off offset:46
	s_set_vgpr_msb 0x41                     ;  msbs: dst=1 src0=1 src1=0 src2=0
	global_load_u16 v33 /*v289*/, v[30:31] /*v[286:287]*/, off offset:44
	s_wait_loadcnt 0x2
	s_set_vgpr_msb 0                        ;  msbs: dst=0 src0=0 src1=0 src2=0
	v_and_b32_e32 v36, 0xf0f0f0f, v32
	s_wait_loadcnt 0x1
	v_dual_ashrrev_i32 v33, v48, v34 :: v_dual_lshrrev_b32 v32, 4, v32
	s_delay_alu instid0(VALU_DEP_1) | instskip(NEXT) | instid1(VALU_DEP_1)
	v_lshlrev_b32_e32 v35, 4, v33
	v_dual_lshlrev_b32 v37, 11, v33 :: v_dual_bitop2_b32 v35, 16, v35 bitop3:0x40
	v_dual_lshlrev_b32 v230, 18, v33 :: v_dual_lshlrev_b32 v33, 25, v33
	s_delay_alu instid0(VALU_DEP_2) | instskip(NEXT) | instid1(VALU_DEP_2)
	v_and_b32_e32 v37, 0x1000, v37
	v_and_b32_e32 v230, 0x100000, v230
	s_delay_alu instid0(VALU_DEP_3) | instskip(NEXT) | instid1(VALU_DEP_1)
	v_and_b32_e32 v33, 0x10000000, v33
	v_or3_b32 v33, v33, v36, v230
	s_delay_alu instid0(VALU_DEP_1) | instskip(SKIP_4) | instid1(VALU_DEP_1)
	v_or3_b32 v231, v33, v35, v37
	s_set_vgpr_msb 1                        ;  msbs: dst=0 src0=1 src1=0 src2=0
	global_load_b32 v33, v[28:29] /*v[284:285]*/, off offset:58
	s_set_vgpr_msb 0                        ;  msbs: dst=0 src0=0 src1=0 src2=0
	v_ashrrev_i32_e32 v35, v247, v34
	v_lshlrev_b32_e32 v36, 4, v35
	s_delay_alu instid0(VALU_DEP_1) | instskip(SKIP_1) | instid1(VALU_DEP_2)
	v_dual_lshlrev_b32 v37, 11, v35 :: v_dual_bitop2_b32 v36, 16, v36 bitop3:0x40
	v_dual_lshlrev_b32 v232, 18, v35 :: v_dual_lshlrev_b32 v35, 25, v35
	v_and_b32_e32 v37, 0x1000, v37
	s_delay_alu instid0(VALU_DEP_2) | instskip(NEXT) | instid1(VALU_DEP_3)
	v_and_b32_e32 v232, 0x100000, v232
	v_and_b32_e32 v35, 0x10000000, v35
	s_delay_alu instid0(VALU_DEP_1) | instskip(SKIP_2) | instid1(VALU_DEP_1)
	v_or3_b32 v35, v232, v35, v36
	s_wait_loadcnt 0x0
	v_and_b32_e32 v33, 0xf0f0f0f, v33
	v_or3_b32 v232, v35, v37, v33
	v_ashrrev_i32_e32 v33, v248, v34
	v_and_b32_e32 v32, 0xf0f0f0f, v32
	s_delay_alu instid0(VALU_DEP_2) | instskip(SKIP_1) | instid1(VALU_DEP_2)
	v_dual_lshlrev_b32 v35, 4, v33 :: v_dual_lshlrev_b32 v36, 11, v33
	v_dual_lshlrev_b32 v37, 18, v33 :: v_dual_lshlrev_b32 v33, 25, v33
	v_and_b32_e32 v35, 16, v35
	s_delay_alu instid0(VALU_DEP_3) | instskip(NEXT) | instid1(VALU_DEP_3)
	v_and_b32_e32 v36, 0x1000, v36
	v_and_b32_e32 v37, 0x100000, v37
	s_delay_alu instid0(VALU_DEP_4) | instskip(NEXT) | instid1(VALU_DEP_1)
	v_and_b32_e32 v33, 0x10000000, v33
	v_or3_b32 v32, v33, v32, v37
	s_delay_alu instid0(VALU_DEP_1)
	v_or3_b32 v233, v32, v35, v36
	s_set_vgpr_msb 1                        ;  msbs: dst=0 src0=1 src1=0 src2=0
	v_add_nc_u64_e32 v[32:33], v[30:31] /*v[286:287]*/, v[142:143]
	s_set_vgpr_msb 0                        ;  msbs: dst=0 src0=0 src1=0 src2=0
	global_load_b32 v32, v[32:33], off offset:50
	s_wait_xcnt 0x0
	v_ashrrev_i32_e32 v33, v251, v34
	s_set_vgpr_msb 1                        ;  msbs: dst=0 src0=1 src1=0 src2=0
	v_cvt_f32_f16_e64 v230, v33 /*v289*/
	s_delay_alu instid0(VALU_DEP_2) | instskip(NEXT) | instid1(VALU_DEP_1)
	v_lshlrev_b32_e32 v34, 4, v33
	v_dual_lshlrev_b32 v35, 11, v33 :: v_dual_bitop2_b32 v34, 16, v34 bitop3:0x40
	v_dual_lshlrev_b32 v36, 18, v33 :: v_dual_lshlrev_b32 v33, 25, v33
	s_delay_alu instid0(VALU_DEP_2) | instskip(NEXT) | instid1(VALU_DEP_2)
	v_and_b32_e32 v35, 0x1000, v35
	v_and_b32_e32 v36, 0x100000, v36
	s_delay_alu instid0(VALU_DEP_3) | instskip(SKIP_1) | instid1(VALU_DEP_1)
	v_and_b32_e32 v33, 0x10000000, v33
	s_set_vgpr_msb 0                        ;  msbs: dst=0 src0=0 src1=0 src2=0
	v_or3_b32 v33, v36, v33, v34
	s_wait_loadcnt 0x0
	v_lshrrev_b32_e32 v32, 4, v32
	s_delay_alu instid0(VALU_DEP_1) | instskip(SKIP_1) | instid1(VALU_DEP_1)
	v_and_b32_e32 v32, 0xf0f0f0f, v32
	s_set_vgpr_msb 64                       ;  msbs: dst=1 src0=0 src1=0 src2=0
	v_or3_b32 v6 /*v262*/, v33, v35, v32
	s_set_vgpr_msb 1                        ;  msbs: dst=0 src0=1 src1=0 src2=0
	s_clause 0x3
	global_load_b32 v32, v[28:29] /*v[284:285]*/, off offset:72
	global_load_b32 v34, v[30:31] /*v[286:287]*/, off offset:68
	s_set_vgpr_msb 0x41                     ;  msbs: dst=1 src0=1 src1=0 src2=0
	global_load_u16 v34 /*v290*/, v[30:31] /*v[286:287]*/, off offset:66
	s_wait_loadcnt 0x2
	s_set_vgpr_msb 0                        ;  msbs: dst=0 src0=0 src1=0 src2=0
	v_and_b32_e32 v36, 0xf0f0f0f, v32
	s_wait_loadcnt 0x1
	v_dual_ashrrev_i32 v33, v48, v34 :: v_dual_lshrrev_b32 v32, 4, v32
	s_delay_alu instid0(VALU_DEP_1) | instskip(NEXT) | instid1(VALU_DEP_1)
	v_lshlrev_b32_e32 v35, 4, v33
	v_dual_lshlrev_b32 v37, 11, v33 :: v_dual_bitop2_b32 v35, 16, v35 bitop3:0x40
	s_set_vgpr_msb 64                       ;  msbs: dst=1 src0=0 src1=0 src2=0
	v_lshlrev_b32_e32 v7 /*v263*/, 18, v33
	s_set_vgpr_msb 0                        ;  msbs: dst=0 src0=0 src1=0 src2=0
	v_lshlrev_b32_e32 v33, 25, v33
	v_and_b32_e32 v37, 0x1000, v37
	s_set_vgpr_msb 0x44                     ;  msbs: dst=1 src0=0 src1=1 src2=0
	v_and_b32_e32 v7 /*v263*/, 0x100000, v7 /*v263*/
	s_set_vgpr_msb 16                       ;  msbs: dst=0 src0=0 src1=0 src2=1
	v_and_b32_e32 v33, 0x10000000, v33
	s_delay_alu instid0(VALU_DEP_1) | instskip(SKIP_1) | instid1(VALU_DEP_1)
	v_or3_b32 v33, v33, v36, v7 /*v263*/
	s_set_vgpr_msb 64                       ;  msbs: dst=1 src0=0 src1=0 src2=0
	v_or3_b32 v8 /*v264*/, v33, v35, v37
	s_set_vgpr_msb 1                        ;  msbs: dst=0 src0=1 src1=0 src2=0
	global_load_b32 v33, v[28:29] /*v[284:285]*/, off offset:80
	s_set_vgpr_msb 0                        ;  msbs: dst=0 src0=0 src1=0 src2=0
	v_ashrrev_i32_e32 v35, v247, v34
	s_delay_alu instid0(VALU_DEP_1) | instskip(SKIP_3) | instid1(VALU_DEP_2)
	v_dual_lshlrev_b32 v36, 4, v35 :: v_dual_lshlrev_b32 v37, 11, v35
	s_set_vgpr_msb 64                       ;  msbs: dst=1 src0=0 src1=0 src2=0
	v_lshlrev_b32_e32 v9 /*v265*/, 18, v35
	s_set_vgpr_msb 0                        ;  msbs: dst=0 src0=0 src1=0 src2=0
	v_dual_lshlrev_b32 v35, 25, v35 :: v_dual_bitop2_b32 v36, 16, v36 bitop3:0x40
	v_and_b32_e32 v37, 0x1000, v37
	s_set_vgpr_msb 0x44                     ;  msbs: dst=1 src0=0 src1=1 src2=0
	v_and_b32_e32 v9 /*v265*/, 0x100000, v9 /*v265*/
	s_set_vgpr_msb 1                        ;  msbs: dst=0 src0=1 src1=0 src2=0
	v_and_b32_e32 v35, 0x10000000, v35
	s_delay_alu instid0(VALU_DEP_1) | instskip(SKIP_3) | instid1(VALU_DEP_1)
	v_or3_b32 v35, v9 /*v265*/, v35, v36
	s_wait_loadcnt 0x0
	v_and_b32_e32 v33, 0xf0f0f0f, v33
	s_set_vgpr_msb 64                       ;  msbs: dst=1 src0=0 src1=0 src2=0
	v_or3_b32 v9 /*v265*/, v35, v37, v33
	s_set_vgpr_msb 0                        ;  msbs: dst=0 src0=0 src1=0 src2=0
	v_ashrrev_i32_e32 v33, v248, v34
	v_and_b32_e32 v32, 0xf0f0f0f, v32
	s_delay_alu instid0(VALU_DEP_2) | instskip(SKIP_1) | instid1(VALU_DEP_2)
	v_dual_lshlrev_b32 v35, 4, v33 :: v_dual_lshlrev_b32 v36, 11, v33
	v_dual_lshlrev_b32 v37, 18, v33 :: v_dual_lshlrev_b32 v33, 25, v33
	v_and_b32_e32 v35, 16, v35
	s_delay_alu instid0(VALU_DEP_3) | instskip(NEXT) | instid1(VALU_DEP_3)
	v_and_b32_e32 v36, 0x1000, v36
	v_and_b32_e32 v37, 0x100000, v37
	s_delay_alu instid0(VALU_DEP_4) | instskip(NEXT) | instid1(VALU_DEP_1)
	v_and_b32_e32 v33, 0x10000000, v33
	v_or3_b32 v32, v33, v32, v37
	s_set_vgpr_msb 64                       ;  msbs: dst=1 src0=0 src1=0 src2=0
	s_delay_alu instid0(VALU_DEP_1)
	v_or3_b32 v10 /*v266*/, v32, v35, v36
	s_set_vgpr_msb 1                        ;  msbs: dst=0 src0=1 src1=0 src2=0
	v_add_nc_u64_e32 v[32:33], v[30:31] /*v[286:287]*/, v[144:145]
	s_set_vgpr_msb 0                        ;  msbs: dst=0 src0=0 src1=0 src2=0
	global_load_b32 v32, v[32:33], off offset:72
	s_wait_xcnt 0x0
	v_ashrrev_i32_e32 v33, v252, v34
	s_set_vgpr_msb 0x41                     ;  msbs: dst=1 src0=1 src1=0 src2=0
	v_cvt_f32_f16_e64 v7 /*v263*/, v34 /*v290*/
	s_set_vgpr_msb 0                        ;  msbs: dst=0 src0=0 src1=0 src2=0
	s_delay_alu instid0(VALU_DEP_2) | instskip(NEXT) | instid1(VALU_DEP_1)
	v_lshlrev_b32_e32 v34, 4, v33
	v_dual_lshlrev_b32 v35, 11, v33 :: v_dual_bitop2_b32 v34, 16, v34 bitop3:0x40
	v_dual_lshlrev_b32 v36, 18, v33 :: v_dual_lshlrev_b32 v33, 25, v33
	s_delay_alu instid0(VALU_DEP_2) | instskip(NEXT) | instid1(VALU_DEP_2)
	v_and_b32_e32 v35, 0x1000, v35
	v_and_b32_e32 v36, 0x100000, v36
	s_delay_alu instid0(VALU_DEP_3) | instskip(NEXT) | instid1(VALU_DEP_1)
	v_and_b32_e32 v33, 0x10000000, v33
	v_or3_b32 v33, v36, v33, v34
	s_wait_loadcnt 0x0
	v_lshrrev_b32_e32 v32, 4, v32
	s_delay_alu instid0(VALU_DEP_1) | instskip(SKIP_1) | instid1(VALU_DEP_1)
	v_and_b32_e32 v32, 0xf0f0f0f, v32
	s_set_vgpr_msb 64                       ;  msbs: dst=1 src0=0 src1=0 src2=0
	v_or3_b32 v11 /*v267*/, v33, v35, v32
	s_set_vgpr_msb 1                        ;  msbs: dst=0 src0=1 src1=0 src2=0
	s_clause 0x3
	global_load_b32 v32, v[28:29] /*v[284:285]*/, off offset:94
	global_load_b32 v34, v[30:31] /*v[286:287]*/, off offset:90
	s_set_vgpr_msb 0x41                     ;  msbs: dst=1 src0=1 src1=0 src2=0
	global_load_u16 v35 /*v291*/, v[30:31] /*v[286:287]*/, off offset:88
	s_wait_loadcnt 0x2
	s_set_vgpr_msb 0                        ;  msbs: dst=0 src0=0 src1=0 src2=0
	v_and_b32_e32 v36, 0xf0f0f0f, v32
	s_wait_loadcnt 0x1
	v_dual_ashrrev_i32 v33, v48, v34 :: v_dual_lshrrev_b32 v32, 4, v32
	s_delay_alu instid0(VALU_DEP_1) | instskip(NEXT) | instid1(VALU_DEP_1)
	v_lshlrev_b32_e32 v35, 4, v33
	v_dual_lshlrev_b32 v37, 11, v33 :: v_dual_bitop2_b32 v35, 16, v35 bitop3:0x40
	s_set_vgpr_msb 64                       ;  msbs: dst=1 src0=0 src1=0 src2=0
	v_lshlrev_b32_e32 v12 /*v268*/, 18, v33
	s_set_vgpr_msb 0                        ;  msbs: dst=0 src0=0 src1=0 src2=0
	v_lshlrev_b32_e32 v33, 25, v33
	v_and_b32_e32 v37, 0x1000, v37
	s_set_vgpr_msb 0x44                     ;  msbs: dst=1 src0=0 src1=1 src2=0
	v_and_b32_e32 v12 /*v268*/, 0x100000, v12 /*v268*/
	s_set_vgpr_msb 16                       ;  msbs: dst=0 src0=0 src1=0 src2=1
	v_and_b32_e32 v33, 0x10000000, v33
	s_delay_alu instid0(VALU_DEP_1) | instskip(SKIP_1) | instid1(VALU_DEP_1)
	v_or3_b32 v33, v33, v36, v12 /*v268*/
	s_set_vgpr_msb 64                       ;  msbs: dst=1 src0=0 src1=0 src2=0
	v_or3_b32 v13 /*v269*/, v33, v35, v37
	s_set_vgpr_msb 1                        ;  msbs: dst=0 src0=1 src1=0 src2=0
	global_load_b32 v33, v[28:29] /*v[284:285]*/, off offset:102
	s_set_vgpr_msb 0                        ;  msbs: dst=0 src0=0 src1=0 src2=0
	v_ashrrev_i32_e32 v35, v247, v34
	s_delay_alu instid0(VALU_DEP_1) | instskip(SKIP_3) | instid1(VALU_DEP_2)
	v_dual_lshlrev_b32 v36, 4, v35 :: v_dual_lshlrev_b32 v37, 11, v35
	s_set_vgpr_msb 64                       ;  msbs: dst=1 src0=0 src1=0 src2=0
	v_lshlrev_b32_e32 v14 /*v270*/, 18, v35
	s_set_vgpr_msb 0                        ;  msbs: dst=0 src0=0 src1=0 src2=0
	v_dual_lshlrev_b32 v35, 25, v35 :: v_dual_bitop2_b32 v36, 16, v36 bitop3:0x40
	v_and_b32_e32 v37, 0x1000, v37
	s_set_vgpr_msb 0x44                     ;  msbs: dst=1 src0=0 src1=1 src2=0
	v_and_b32_e32 v14 /*v270*/, 0x100000, v14 /*v270*/
	s_set_vgpr_msb 1                        ;  msbs: dst=0 src0=1 src1=0 src2=0
	v_and_b32_e32 v35, 0x10000000, v35
	s_delay_alu instid0(VALU_DEP_1) | instskip(SKIP_3) | instid1(VALU_DEP_1)
	v_or3_b32 v35, v14 /*v270*/, v35, v36
	s_wait_loadcnt 0x0
	v_and_b32_e32 v33, 0xf0f0f0f, v33
	s_set_vgpr_msb 64                       ;  msbs: dst=1 src0=0 src1=0 src2=0
	v_or3_b32 v14 /*v270*/, v35, v37, v33
	s_set_vgpr_msb 0                        ;  msbs: dst=0 src0=0 src1=0 src2=0
	v_ashrrev_i32_e32 v33, v248, v34
	v_and_b32_e32 v32, 0xf0f0f0f, v32
	s_delay_alu instid0(VALU_DEP_2) | instskip(SKIP_1) | instid1(VALU_DEP_2)
	v_dual_lshlrev_b32 v35, 4, v33 :: v_dual_lshlrev_b32 v36, 11, v33
	v_dual_lshlrev_b32 v37, 18, v33 :: v_dual_lshlrev_b32 v33, 25, v33
	v_and_b32_e32 v35, 16, v35
	s_delay_alu instid0(VALU_DEP_3) | instskip(NEXT) | instid1(VALU_DEP_3)
	v_and_b32_e32 v36, 0x1000, v36
	v_and_b32_e32 v37, 0x100000, v37
	s_delay_alu instid0(VALU_DEP_4) | instskip(NEXT) | instid1(VALU_DEP_1)
	v_and_b32_e32 v33, 0x10000000, v33
	v_or3_b32 v32, v33, v32, v37
	s_set_vgpr_msb 64                       ;  msbs: dst=1 src0=0 src1=0 src2=0
	s_delay_alu instid0(VALU_DEP_1)
	v_or3_b32 v15 /*v271*/, v32, v35, v36
	s_set_vgpr_msb 1                        ;  msbs: dst=0 src0=1 src1=0 src2=0
	v_add_nc_u64_e32 v[32:33], v[30:31] /*v[286:287]*/, v[148:149]
	s_set_vgpr_msb 0                        ;  msbs: dst=0 src0=0 src1=0 src2=0
	global_load_b32 v32, v[32:33], off offset:94
	s_wait_xcnt 0x0
	v_ashrrev_i32_e32 v33, v253, v34
	s_set_vgpr_msb 0x41                     ;  msbs: dst=1 src0=1 src1=0 src2=0
	v_cvt_f32_f16_e64 v12 /*v268*/, v35 /*v291*/
	s_set_vgpr_msb 0                        ;  msbs: dst=0 src0=0 src1=0 src2=0
	s_delay_alu instid0(VALU_DEP_2) | instskip(NEXT) | instid1(VALU_DEP_1)
	v_lshlrev_b32_e32 v34, 4, v33
	v_dual_lshlrev_b32 v35, 11, v33 :: v_dual_bitop2_b32 v34, 16, v34 bitop3:0x40
	v_dual_lshlrev_b32 v36, 18, v33 :: v_dual_lshlrev_b32 v33, 25, v33
	s_delay_alu instid0(VALU_DEP_2) | instskip(NEXT) | instid1(VALU_DEP_2)
	v_and_b32_e32 v35, 0x1000, v35
	v_and_b32_e32 v36, 0x100000, v36
	s_delay_alu instid0(VALU_DEP_3) | instskip(NEXT) | instid1(VALU_DEP_1)
	v_and_b32_e32 v33, 0x10000000, v33
	v_or3_b32 v33, v36, v33, v34
	s_wait_loadcnt 0x0
	v_lshrrev_b32_e32 v32, 4, v32
	s_delay_alu instid0(VALU_DEP_1) | instskip(SKIP_1) | instid1(VALU_DEP_1)
	v_and_b32_e32 v32, 0xf0f0f0f, v32
	s_set_vgpr_msb 64                       ;  msbs: dst=1 src0=0 src1=0 src2=0
	v_or3_b32 v16 /*v272*/, v33, v35, v32
	s_set_vgpr_msb 1                        ;  msbs: dst=0 src0=1 src1=0 src2=0
	s_clause 0x1
	global_load_b32 v33, v[28:29] /*v[284:285]*/, off offset:116
	global_load_b32 v36, v[30:31] /*v[286:287]*/, off offset:112
	s_wait_loadcnt 0x1
	v_and_b32_e32 v35, 0xf0f0f0f, v33
	s_wait_loadcnt 0x0
	s_set_vgpr_msb 0                        ;  msbs: dst=0 src0=0 src1=0 src2=0
	v_dual_ashrrev_i32 v32, v48, v36 :: v_dual_lshrrev_b32 v33, 4, v33
	s_delay_alu instid0(VALU_DEP_1) | instskip(NEXT) | instid1(VALU_DEP_2)
	v_lshlrev_b32_e32 v34, 4, v32
	v_and_b32_e32 v33, 0xf0f0f0f, v33
	s_delay_alu instid0(VALU_DEP_2)
	v_dual_lshlrev_b32 v37, 11, v32 :: v_dual_bitop2_b32 v34, 16, v34 bitop3:0x40
	s_set_vgpr_msb 64                       ;  msbs: dst=1 src0=0 src1=0 src2=0
	v_lshlrev_b32_e32 v17 /*v273*/, 18, v32
	s_set_vgpr_msb 0                        ;  msbs: dst=0 src0=0 src1=0 src2=0
	v_lshlrev_b32_e32 v32, 25, v32
	v_and_b32_e32 v37, 0x1000, v37
	s_set_vgpr_msb 0x44                     ;  msbs: dst=1 src0=0 src1=1 src2=0
	v_and_b32_e32 v17 /*v273*/, 0x100000, v17 /*v273*/
	s_set_vgpr_msb 16                       ;  msbs: dst=0 src0=0 src1=0 src2=1
	v_and_b32_e32 v32, 0x10000000, v32
	s_delay_alu instid0(VALU_DEP_1) | instskip(SKIP_2) | instid1(VALU_DEP_2)
	v_or3_b32 v32, v32, v35, v17 /*v273*/
	v_ashrrev_i32_e32 v35, v247, v36
	s_set_vgpr_msb 64                       ;  msbs: dst=1 src0=0 src1=0 src2=0
	v_or3_b32 v17 /*v273*/, v32, v34, v37
	s_set_vgpr_msb 1                        ;  msbs: dst=0 src0=1 src1=0 src2=0
	global_load_b32 v34, v[28:29] /*v[284:285]*/, off offset:124
	v_lshlrev_b32_e32 v37, 4, v35
	global_load_u16 v32, v[30:31] /*v[286:287]*/, off offset:110
	v_and_b32_e32 v37, 16, v37
	s_set_vgpr_msb 64                       ;  msbs: dst=1 src0=0 src1=0 src2=0
	v_dual_lshlrev_b32 v18 /*v274*/, 11, v35 :: v_dual_lshlrev_b32 v19 /*v275*/, 18, v35
	s_set_vgpr_msb 0                        ;  msbs: dst=0 src0=0 src1=0 src2=0
	v_lshlrev_b32_e32 v35, 25, v35
	s_set_vgpr_msb 0x44                     ;  msbs: dst=1 src0=0 src1=1 src2=0
	s_delay_alu instid0(VALU_DEP_2) | instskip(SKIP_3) | instid1(VALU_DEP_1)
	v_and_b32_e32 v18 /*v274*/, 0x1000, v18 /*v274*/
	v_and_b32_e32 v19 /*v275*/, 0x100000, v19 /*v275*/
	s_set_vgpr_msb 1                        ;  msbs: dst=0 src0=1 src1=0 src2=0
	v_and_b32_e32 v35, 0x10000000, v35
	v_or3_b32 v35, v19 /*v275*/, v35, v37
	s_wait_loadcnt 0x1
	v_and_b32_e32 v34, 0xf0f0f0f, v34
	s_set_vgpr_msb 0x44                     ;  msbs: dst=1 src0=0 src1=1 src2=0
	s_delay_alu instid0(VALU_DEP_1) | instskip(SKIP_2) | instid1(VALU_DEP_1)
	v_or3_b32 v19 /*v275*/, v35, v18 /*v274*/, v34
	s_set_vgpr_msb 0                        ;  msbs: dst=0 src0=0 src1=0 src2=0
	v_ashrrev_i32_e32 v34, v248, v36
	v_lshlrev_b32_e32 v35, 4, v34
	s_delay_alu instid0(VALU_DEP_1)
	v_dual_lshlrev_b32 v37, 11, v34 :: v_dual_bitop2_b32 v35, 16, v35 bitop3:0x40
	s_set_vgpr_msb 64                       ;  msbs: dst=1 src0=0 src1=0 src2=0
	v_lshlrev_b32_e32 v18 /*v274*/, 18, v34
	s_set_vgpr_msb 0                        ;  msbs: dst=0 src0=0 src1=0 src2=0
	v_lshlrev_b32_e32 v34, 25, v34
	v_and_b32_e32 v37, 0x1000, v37
	s_set_vgpr_msb 0x44                     ;  msbs: dst=1 src0=0 src1=1 src2=0
	v_and_b32_e32 v18 /*v274*/, 0x100000, v18 /*v274*/
	s_set_vgpr_msb 16                       ;  msbs: dst=0 src0=0 src1=0 src2=1
	v_and_b32_e32 v34, 0x10000000, v34
	s_delay_alu instid0(VALU_DEP_1) | instskip(SKIP_1) | instid1(VALU_DEP_1)
	v_or3_b32 v33, v34, v33, v18 /*v274*/
	s_set_vgpr_msb 64                       ;  msbs: dst=1 src0=0 src1=0 src2=0
	v_or3_b32 v18 /*v274*/, v33, v35, v37
	s_set_vgpr_msb 1                        ;  msbs: dst=0 src0=1 src1=0 src2=0
	v_add_nc_u64_e32 v[34:35], v[30:31] /*v[286:287]*/, v[150:151]
	s_set_vgpr_msb 0                        ;  msbs: dst=0 src0=0 src1=0 src2=0
	global_load_b32 v33, v[34:35], off offset:116
	s_wait_xcnt 0x0
	v_ashrrev_i32_e32 v34, v255, v36
	s_wait_loadcnt 0x1
	v_cvt_f32_f16_e32 v32, v32
	s_delay_alu instid0(VALU_DEP_2) | instskip(NEXT) | instid1(VALU_DEP_1)
	v_lshlrev_b32_e32 v35, 4, v34
	v_dual_lshlrev_b32 v36, 11, v34 :: v_dual_bitop2_b32 v35, 16, v35 bitop3:0x40
	v_dual_lshlrev_b32 v37, 18, v34 :: v_dual_lshlrev_b32 v34, 25, v34
	s_delay_alu instid0(VALU_DEP_2) | instskip(NEXT) | instid1(VALU_DEP_2)
	v_and_b32_e32 v36, 0x1000, v36
	v_and_b32_e32 v37, 0x100000, v37
	s_delay_alu instid0(VALU_DEP_3) | instskip(NEXT) | instid1(VALU_DEP_1)
	v_and_b32_e32 v34, 0x10000000, v34
	v_or3_b32 v34, v37, v34, v35
	s_wait_loadcnt 0x0
	v_lshrrev_b32_e32 v33, 4, v33
	s_delay_alu instid0(VALU_DEP_1) | instskip(SKIP_1) | instid1(VALU_DEP_1)
	v_and_b32_e32 v33, 0xf0f0f0f, v33
	s_set_vgpr_msb 64                       ;  msbs: dst=1 src0=0 src1=0 src2=0
	v_or3_b32 v22 /*v278*/, v34, v36, v33
	s_set_vgpr_msb 1                        ;  msbs: dst=0 src0=1 src1=0 src2=0
	s_clause 0x1
	global_load_b32 v33, v[28:29] /*v[284:285]*/, off offset:138
	global_load_b32 v35, v[30:31] /*v[286:287]*/, off offset:134
	s_wait_loadcnt 0x1
	v_and_b32_e32 v37, 0xf0f0f0f, v33
	s_wait_loadcnt 0x0
	s_set_vgpr_msb 0                        ;  msbs: dst=0 src0=0 src1=0 src2=0
	v_dual_ashrrev_i32 v34, v48, v35 :: v_dual_lshrrev_b32 v33, 4, v33
	s_delay_alu instid0(VALU_DEP_1) | instskip(NEXT) | instid1(VALU_DEP_2)
	v_lshlrev_b32_e32 v36, 4, v34
	v_and_b32_e32 v33, 0xf0f0f0f, v33
	s_delay_alu instid0(VALU_DEP_2)
	v_and_b32_e32 v36, 16, v36
	s_set_vgpr_msb 64                       ;  msbs: dst=1 src0=0 src1=0 src2=0
	v_dual_lshlrev_b32 v21 /*v277*/, 11, v34 :: v_dual_lshlrev_b32 v23 /*v279*/, 18, v34
	s_set_vgpr_msb 0                        ;  msbs: dst=0 src0=0 src1=0 src2=0
	v_lshlrev_b32_e32 v34, 25, v34
	s_set_vgpr_msb 0x44                     ;  msbs: dst=1 src0=0 src1=1 src2=0
	s_delay_alu instid0(VALU_DEP_2) | instskip(SKIP_3) | instid1(VALU_DEP_1)
	v_and_b32_e32 v21 /*v277*/, 0x1000, v21 /*v277*/
	v_and_b32_e32 v23 /*v279*/, 0x100000, v23 /*v279*/
	s_set_vgpr_msb 16                       ;  msbs: dst=0 src0=0 src1=0 src2=1
	v_and_b32_e32 v34, 0x10000000, v34
	v_or3_b32 v34, v34, v37, v23 /*v279*/
	v_ashrrev_i32_e32 v37, v247, v35
	s_set_vgpr_msb 0x50                     ;  msbs: dst=1 src0=0 src1=0 src2=1
	s_delay_alu instid0(VALU_DEP_2)
	v_or3_b32 v21 /*v277*/, v34, v36, v21 /*v277*/
	s_set_vgpr_msb 1                        ;  msbs: dst=0 src0=1 src1=0 src2=0
	global_load_b32 v36, v[28:29] /*v[284:285]*/, off offset:146
	s_set_vgpr_msb 64                       ;  msbs: dst=1 src0=0 src1=0 src2=0
	v_dual_lshlrev_b32 v23 /*v279*/, 4, v37 :: v_dual_lshlrev_b32 v24 /*v280*/, 11, v37
	v_lshlrev_b32_e32 v25 /*v281*/, 18, v37
	s_set_vgpr_msb 1                        ;  msbs: dst=0 src0=1 src1=0 src2=0
	v_lshlrev_b32_e32 v37, 25, v37
	global_load_u16 v34, v[30:31] /*v[286:287]*/, off offset:132
	s_set_vgpr_msb 0x44                     ;  msbs: dst=1 src0=0 src1=1 src2=0
	v_and_b32_e32 v23 /*v279*/, 16, v23 /*v279*/
	v_and_b32_e32 v24 /*v280*/, 0x1000, v24 /*v280*/
	;; [unrolled: 1-line block ×3, first 2 shown]
	s_set_vgpr_msb 17                       ;  msbs: dst=0 src0=1 src1=0 src2=1
	v_and_b32_e32 v37, 0x10000000, v37
	s_delay_alu instid0(VALU_DEP_1) | instskip(SKIP_3) | instid1(VALU_DEP_1)
	v_or3_b32 v37, v25 /*v281*/, v37, v23 /*v279*/
	s_wait_loadcnt 0x1
	v_and_b32_e32 v36, 0xf0f0f0f, v36
	s_set_vgpr_msb 0x44                     ;  msbs: dst=1 src0=0 src1=1 src2=0
	v_or3_b32 v24 /*v280*/, v37, v24 /*v280*/, v36
	s_set_vgpr_msb 0                        ;  msbs: dst=0 src0=0 src1=0 src2=0
	v_ashrrev_i32_e32 v36, v248, v35
	s_set_vgpr_msb 1                        ;  msbs: dst=0 src0=1 src1=0 src2=0
	s_delay_alu instid0(VALU_DEP_1) | instskip(SKIP_3) | instid1(VALU_DEP_2)
	v_dual_ashrrev_i32 v35, v0 /*v256*/, v35 :: v_dual_lshlrev_b32 v37, 4, v36
	s_set_vgpr_msb 64                       ;  msbs: dst=1 src0=0 src1=0 src2=0
	v_dual_lshlrev_b32 v23 /*v279*/, 11, v36 :: v_dual_lshlrev_b32 v25 /*v281*/, 18, v36
	s_set_vgpr_msb 0                        ;  msbs: dst=0 src0=0 src1=0 src2=0
	v_dual_lshlrev_b32 v36, 25, v36 :: v_dual_bitop2_b32 v37, 16, v37 bitop3:0x40
	s_set_vgpr_msb 0x44                     ;  msbs: dst=1 src0=0 src1=1 src2=0
	s_delay_alu instid0(VALU_DEP_2) | instskip(SKIP_3) | instid1(VALU_DEP_1)
	v_and_b32_e32 v23 /*v279*/, 0x1000, v23 /*v279*/
	v_and_b32_e32 v25 /*v281*/, 0x100000, v25 /*v281*/
	s_set_vgpr_msb 16                       ;  msbs: dst=0 src0=0 src1=0 src2=1
	v_and_b32_e32 v36, 0x10000000, v36
	v_or3_b32 v33, v36, v33, v25 /*v281*/
	s_set_vgpr_msb 0x50                     ;  msbs: dst=1 src0=0 src1=0 src2=1
	v_lshlrev_b32_e32 v25 /*v281*/, 18, v35
	s_delay_alu instid0(VALU_DEP_2)
	v_or3_b32 v23 /*v279*/, v33, v37, v23 /*v279*/
	s_set_vgpr_msb 1                        ;  msbs: dst=0 src0=1 src1=0 src2=0
	v_add_nc_u64_e32 v[36:37], v[30:31] /*v[286:287]*/, v[154:155]
	s_set_vgpr_msb 0x44                     ;  msbs: dst=1 src0=0 src1=1 src2=0
	v_and_b32_e32 v25 /*v281*/, 0x100000, v25 /*v281*/
	s_set_vgpr_msb 0                        ;  msbs: dst=0 src0=0 src1=0 src2=0
	global_load_b32 v33, v[36:37], off offset:138
	s_wait_loadcnt 0x1
	v_cvt_f32_f16_e32 v34, v34
	s_wait_xcnt 0x0
	v_dual_lshlrev_b32 v36, 4, v35 :: v_dual_lshlrev_b32 v37, 11, v35
	s_delay_alu instid0(VALU_DEP_1) | instskip(NEXT) | instid1(VALU_DEP_2)
	v_dual_lshlrev_b32 v35, 25, v35 :: v_dual_bitop2_b32 v36, 16, v36 bitop3:0x40
	v_and_b32_e32 v37, 0x1000, v37
	s_delay_alu instid0(VALU_DEP_2) | instskip(SKIP_1) | instid1(VALU_DEP_1)
	v_and_b32_e32 v35, 0x10000000, v35
	s_set_vgpr_msb 1                        ;  msbs: dst=0 src0=1 src1=0 src2=0
	v_or3_b32 v35, v25 /*v281*/, v35, v36
	s_wait_loadcnt 0x0
	v_lshrrev_b32_e32 v33, 4, v33
	s_delay_alu instid0(VALU_DEP_1) | instskip(SKIP_1) | instid1(VALU_DEP_1)
	v_and_b32_e32 v33, 0xf0f0f0f, v33
	s_set_vgpr_msb 64                       ;  msbs: dst=1 src0=0 src1=0 src2=0
	v_or3_b32 v26 /*v282*/, v35, v37, v33
	s_set_vgpr_msb 1                        ;  msbs: dst=0 src0=1 src1=0 src2=0
	s_clause 0x1
	global_load_b32 v33, v[28:29] /*v[284:285]*/, off offset:160
	global_load_b32 v35, v[30:31] /*v[286:287]*/, off offset:156
	s_wait_loadcnt 0x1
	s_set_vgpr_msb 64                       ;  msbs: dst=1 src0=0 src1=0 src2=0
	v_and_b32_e32 v25 /*v281*/, 0xf0f0f0f, v33
	s_wait_loadcnt 0x0
	s_set_vgpr_msb 0                        ;  msbs: dst=0 src0=0 src1=0 src2=0
	v_dual_ashrrev_i32 v36, v48, v35 :: v_dual_lshrrev_b32 v33, 4, v33
	s_delay_alu instid0(VALU_DEP_1) | instskip(NEXT) | instid1(VALU_DEP_2)
	v_lshlrev_b32_e32 v37, 4, v36
	v_and_b32_e32 v33, 0xf0f0f0f, v33
	s_delay_alu instid0(VALU_DEP_2)
	v_and_b32_e32 v37, 16, v37
	s_set_vgpr_msb 64                       ;  msbs: dst=1 src0=0 src1=0 src2=0
	v_dual_lshlrev_b32 v27 /*v283*/, 11, v36 :: v_dual_lshlrev_b32 v36 /*v292*/, 18, v36
	s_set_vgpr_msb 0                        ;  msbs: dst=0 src0=0 src1=0 src2=0
	v_lshlrev_b32_e32 v36, 25, v36
	s_set_vgpr_msb 0x44                     ;  msbs: dst=1 src0=0 src1=1 src2=0
	s_delay_alu instid0(VALU_DEP_2) | instskip(SKIP_4) | instid1(VALU_DEP_1)
	v_and_b32_e32 v27 /*v283*/, 0x1000, v27 /*v283*/
	v_and_b32_e32 v36 /*v292*/, 0x100000, v36 /*v292*/
	s_set_vgpr_msb 0                        ;  msbs: dst=0 src0=0 src1=0 src2=0
	v_and_b32_e32 v36, 0x10000000, v36
	s_set_vgpr_msb 20                       ;  msbs: dst=0 src0=0 src1=1 src2=1
	v_or3_b32 v36, v36, v25 /*v281*/, v36 /*v292*/
	s_set_vgpr_msb 0x50                     ;  msbs: dst=1 src0=0 src1=0 src2=1
	s_delay_alu instid0(VALU_DEP_1)
	v_or3_b32 v25 /*v281*/, v36, v37, v27 /*v283*/
	s_set_vgpr_msb 1                        ;  msbs: dst=0 src0=1 src1=0 src2=0
	s_clause 0x1
	global_load_u16 v36, v[30:31] /*v[286:287]*/, off offset:154
	global_load_b32 v37, v[28:29] /*v[284:285]*/, off offset:168
	s_set_vgpr_msb 64                       ;  msbs: dst=1 src0=0 src1=0 src2=0
	v_ashrrev_i32_e32 v27 /*v283*/, v247, v35
	s_wait_xcnt 0x1
	s_set_vgpr_msb 0x41                     ;  msbs: dst=1 src0=1 src1=0 src2=0
	v_add_nc_u64_e32 v[30:31] /*v[286:287]*/, v[30:31] /*v[286:287]*/, v[158:159]
	s_wait_xcnt 0x0
	s_set_vgpr_msb 0x55                     ;  msbs: dst=1 src0=1 src1=1 src2=1
	v_dual_lshlrev_b32 v28 /*v284*/, 4, v27 /*v283*/ :: v_dual_lshlrev_b32 v29 /*v285*/, 11, v27 /*v283*/
	v_dual_lshlrev_b32 v36 /*v292*/, 18, v27 /*v283*/ :: v_dual_lshlrev_b32 v27 /*v283*/, 25, v27 /*v283*/
	s_delay_alu instid0(VALU_DEP_2) | instskip(NEXT) | instid1(VALU_DEP_3)
	v_and_b32_e32 v28 /*v284*/, 16, v28 /*v284*/
	v_and_b32_e32 v29 /*v285*/, 0x1000, v29 /*v285*/
	s_delay_alu instid0(VALU_DEP_3) | instskip(NEXT) | instid1(VALU_DEP_4)
	v_and_b32_e32 v36 /*v292*/, 0x100000, v36 /*v292*/
	v_and_b32_e32 v27 /*v283*/, 0x10000000, v27 /*v283*/
	s_delay_alu instid0(VALU_DEP_1)
	v_or3_b32 v27 /*v283*/, v36 /*v292*/, v27 /*v283*/, v28 /*v284*/
	s_wait_loadcnt 0x1
	s_set_vgpr_msb 0                        ;  msbs: dst=0 src0=0 src1=0 src2=0
	v_cvt_f32_f16_e32 v36, v36
	s_wait_loadcnt 0x0
	v_and_b32_e32 v37, 0xf0f0f0f, v37
	s_set_vgpr_msb 0x45                     ;  msbs: dst=1 src0=1 src1=1 src2=0
	s_delay_alu instid0(VALU_DEP_1)
	v_or3_b32 v28 /*v284*/, v27 /*v283*/, v29 /*v285*/, v37
	s_set_vgpr_msb 0                        ;  msbs: dst=0 src0=0 src1=0 src2=0
	v_ashrrev_i32_e32 v37, v248, v35
	s_set_vgpr_msb 1                        ;  msbs: dst=0 src0=1 src1=0 src2=0
	v_ashrrev_i32_e32 v35, v1 /*v257*/, v35
	s_set_vgpr_msb 64                       ;  msbs: dst=1 src0=0 src1=0 src2=0
	s_delay_alu instid0(VALU_DEP_2)
	v_dual_lshlrev_b32 v27 /*v283*/, 4, v37 :: v_dual_lshlrev_b32 v36 /*v292*/, 18, v37
	v_lshlrev_b32_e32 v29 /*v285*/, 11, v37
	s_set_vgpr_msb 0                        ;  msbs: dst=0 src0=0 src1=0 src2=0
	v_lshlrev_b32_e32 v37, 25, v37
	s_set_vgpr_msb 0x44                     ;  msbs: dst=1 src0=0 src1=1 src2=0
	v_and_b32_e32 v27 /*v283*/, 16, v27 /*v283*/
	v_and_b32_e32 v36 /*v292*/, 0x100000, v36 /*v292*/
	;; [unrolled: 1-line block ×3, first 2 shown]
	s_set_vgpr_msb 16                       ;  msbs: dst=0 src0=0 src1=0 src2=1
	v_and_b32_e32 v37, 0x10000000, v37
	s_delay_alu instid0(VALU_DEP_1) | instskip(SKIP_2) | instid1(VALU_DEP_2)
	v_or3_b32 v33, v37, v33, v36 /*v292*/
	v_lshlrev_b32_e32 v37, 4, v35
	s_set_vgpr_msb 0x54                     ;  msbs: dst=1 src0=0 src1=1 src2=1
	v_or3_b32 v27 /*v283*/, v33, v27 /*v283*/, v29 /*v285*/
	s_set_vgpr_msb 1                        ;  msbs: dst=0 src0=1 src1=0 src2=0
	global_load_b32 v33, v[30:31] /*v[286:287]*/, off offset:160
	s_wait_xcnt 0x0
	s_set_vgpr_msb 64                       ;  msbs: dst=1 src0=0 src1=0 src2=0
	v_dual_lshlrev_b32 v29 /*v285*/, 11, v35 :: v_dual_lshlrev_b32 v30 /*v286*/, 18, v35
	s_set_vgpr_msb 0                        ;  msbs: dst=0 src0=0 src1=0 src2=0
	v_dual_lshlrev_b32 v35, 25, v35 :: v_dual_bitop2_b32 v37, 16, v37 bitop3:0x40
	s_set_vgpr_msb 0x44                     ;  msbs: dst=1 src0=0 src1=1 src2=0
	s_delay_alu instid0(VALU_DEP_2) | instskip(SKIP_3) | instid1(VALU_DEP_1)
	v_and_b32_e32 v29 /*v285*/, 0x1000, v29 /*v285*/
	v_and_b32_e32 v30 /*v286*/, 0x100000, v30 /*v286*/
	s_set_vgpr_msb 1                        ;  msbs: dst=0 src0=1 src1=0 src2=0
	v_and_b32_e32 v35, 0x10000000, v35
	v_or3_b32 v35, v30 /*v286*/, v35, v37
	v_dot4_i32_iu8 v37, v19 /*v275*/, v73, 0 neg_lo:[1,1,0]
	s_set_vgpr_msb 64                       ;  msbs: dst=1 src0=0 src1=0 src2=0
	s_delay_alu instid0(VALU_DEP_1) | instskip(SKIP_4) | instid1(VALU_DEP_1)
	v_cvt_f32_i32_e32 v31 /*v287*/, v37
	s_set_vgpr_msb 1                        ;  msbs: dst=0 src0=1 src1=0 src2=0
	v_dot4_i32_iu8 v37, v18 /*v274*/, v74, 0 neg_lo:[1,1,0]
	s_wait_loadcnt 0x0
	v_lshrrev_b32_e32 v33, 4, v33
	v_and_b32_e32 v33, 0xf0f0f0f, v33
	s_set_vgpr_msb 0x44                     ;  msbs: dst=1 src0=0 src1=1 src2=0
	s_delay_alu instid0(VALU_DEP_1) | instskip(SKIP_3) | instid1(VALU_DEP_2)
	v_or3_b32 v29 /*v285*/, v35, v29 /*v285*/, v33
	s_set_vgpr_msb 0                        ;  msbs: dst=0 src0=0 src1=0 src2=0
	v_dot4_i32_iu8 v33, v41, v50, 0 neg_lo:[1,1,0]
	v_dot4_i32_iu8 v35, v44, v51, 0 neg_lo:[1,1,0]
	v_cvt_f32_i32_e32 v33, v33
	s_delay_alu instid0(VALU_DEP_2) | instskip(NEXT) | instid1(VALU_DEP_1)
	v_cvt_f32_i32_e32 v35, v35
	v_dual_fma_f32 v33, v0, v33, -v1 :: v_dual_fma_f32 v35, v0, v35, -v1
	s_set_vgpr_msb 4                        ;  msbs: dst=0 src0=0 src1=1 src2=0
	s_delay_alu instid0(VALU_DEP_1) | instskip(NEXT) | instid1(VALU_DEP_1)
	v_fma_mix_f32 v33, v33, v20 /*v276*/, 0 op_sel_hi:[0,1,0]
	v_fma_mix_f32 v33, v35, v20 /*v276*/, v33 op_sel_hi:[0,1,0]
	s_set_vgpr_msb 0                        ;  msbs: dst=0 src0=0 src1=0 src2=0
	v_dot4_i32_iu8 v35, v45, v54, 0 neg_lo:[1,1,0]
	s_delay_alu instid0(VALU_DEP_1) | instskip(NEXT) | instid1(VALU_DEP_1)
	v_cvt_f32_i32_e32 v35, v35
	v_fma_f32 v35, v0, v35, -v1
	s_set_vgpr_msb 4                        ;  msbs: dst=0 src0=0 src1=1 src2=0
	s_delay_alu instid0(VALU_DEP_1) | instskip(SKIP_2) | instid1(VALU_DEP_1)
	v_fma_mix_f32 v33, v35, v20 /*v276*/, v33 op_sel_hi:[0,1,0]
	s_set_vgpr_msb 0                        ;  msbs: dst=0 src0=0 src1=0 src2=0
	v_dot4_i32_iu8 v35, v46, v55, 0 neg_lo:[1,1,0]
	v_cvt_f32_i32_e32 v35, v35
	s_delay_alu instid0(VALU_DEP_1) | instskip(SKIP_1) | instid1(VALU_DEP_1)
	v_fma_f32 v35, v0, v35, -v1
	s_set_vgpr_msb 4                        ;  msbs: dst=0 src0=0 src1=1 src2=0
	v_fma_mix_f32 v33, v35, v20 /*v276*/, v33 op_sel_hi:[0,1,0]
	s_set_vgpr_msb 0                        ;  msbs: dst=0 src0=0 src1=0 src2=0
	v_dot4_i32_iu8 v35, v133, v56, 0 neg_lo:[1,1,0]
	s_set_vgpr_msb 0x41                     ;  msbs: dst=1 src0=1 src1=0 src2=0
	v_dot4_i32_iu8 v20 /*v276*/, v22 /*v278*/, v75, 0 neg_lo:[1,1,0]
	s_set_vgpr_msb 0                        ;  msbs: dst=0 src0=0 src1=0 src2=0
	s_delay_alu instid0(VALU_DEP_2) | instskip(NEXT) | instid1(VALU_DEP_1)
	v_cvt_f32_i32_e32 v35, v35
	v_fma_f32 v35, v2, v35, -v3
	s_set_vgpr_msb 4                        ;  msbs: dst=0 src0=0 src1=1 src2=0
	s_delay_alu instid0(VALU_DEP_1) | instskip(SKIP_2) | instid1(VALU_DEP_1)
	v_fma_mix_f32 v33, v35, v32 /*v288*/, v33 op_sel_hi:[0,1,0]
	s_set_vgpr_msb 0                        ;  msbs: dst=0 src0=0 src1=0 src2=0
	v_dot4_i32_iu8 v35, v227, v57, 0 neg_lo:[1,1,0]
	v_cvt_f32_i32_e32 v35, v35
	s_delay_alu instid0(VALU_DEP_1) | instskip(SKIP_1) | instid1(VALU_DEP_1)
	v_fma_f32 v35, v2, v35, -v3
	s_set_vgpr_msb 4                        ;  msbs: dst=0 src0=0 src1=1 src2=0
	v_fma_mix_f32 v33, v35, v32 /*v288*/, v33 op_sel_hi:[0,1,0]
	s_set_vgpr_msb 0                        ;  msbs: dst=0 src0=0 src1=0 src2=0
	v_dot4_i32_iu8 v35, v228, v58, 0 neg_lo:[1,1,0]
	s_delay_alu instid0(VALU_DEP_1) | instskip(NEXT) | instid1(VALU_DEP_1)
	v_cvt_f32_i32_e32 v35, v35
	v_fma_f32 v35, v2, v35, -v3
	s_set_vgpr_msb 4                        ;  msbs: dst=0 src0=0 src1=1 src2=0
	s_delay_alu instid0(VALU_DEP_1) | instskip(SKIP_2) | instid1(VALU_DEP_1)
	v_fma_mix_f32 v33, v35, v32 /*v288*/, v33 op_sel_hi:[0,1,0]
	s_set_vgpr_msb 0                        ;  msbs: dst=0 src0=0 src1=0 src2=0
	v_dot4_i32_iu8 v35, v229, v59, 0 neg_lo:[1,1,0]
	v_cvt_f32_i32_e32 v35, v35
	s_delay_alu instid0(VALU_DEP_1) | instskip(SKIP_1) | instid1(VALU_DEP_1)
	v_fma_f32 v35, v2, v35, -v3
	s_set_vgpr_msb 4                        ;  msbs: dst=0 src0=0 src1=1 src2=0
	v_fma_mix_f32 v33, v35, v32 /*v288*/, v33 op_sel_hi:[0,1,0]
	s_set_vgpr_msb 0                        ;  msbs: dst=0 src0=0 src1=0 src2=0
	v_dot4_i32_iu8 v35, v231, v60, 0 neg_lo:[1,1,0]
	s_delay_alu instid0(VALU_DEP_1) | instskip(NEXT) | instid1(VALU_DEP_1)
	v_cvt_f32_i32_e32 v35, v35
	v_fma_f32 v35, v4, v35, -v5
	s_set_vgpr_msb 4                        ;  msbs: dst=0 src0=0 src1=1 src2=0
	s_delay_alu instid0(VALU_DEP_1) | instskip(SKIP_2) | instid1(VALU_DEP_1)
	v_fma_mix_f32 v33, v35, v33 /*v289*/, v33 op_sel_hi:[0,1,0]
	s_set_vgpr_msb 0                        ;  msbs: dst=0 src0=0 src1=0 src2=0
	v_dot4_i32_iu8 v35, v232, v61, 0 neg_lo:[1,1,0]
	v_cvt_f32_i32_e32 v35, v35
	s_delay_alu instid0(VALU_DEP_1) | instskip(SKIP_1) | instid1(VALU_DEP_1)
	v_fma_f32 v35, v4, v35, -v5
	s_set_vgpr_msb 4                        ;  msbs: dst=0 src0=0 src1=1 src2=0
	v_fma_mix_f32 v33, v35, v33 /*v289*/, v33 op_sel_hi:[0,1,0]
	s_set_vgpr_msb 0                        ;  msbs: dst=0 src0=0 src1=0 src2=0
	v_dot4_i32_iu8 v35, v233, v62, 0 neg_lo:[1,1,0]
	s_delay_alu instid0(VALU_DEP_1) | instskip(NEXT) | instid1(VALU_DEP_1)
	v_cvt_f32_i32_e32 v35, v35
	v_fma_f32 v35, v4, v35, -v5
	s_set_vgpr_msb 4                        ;  msbs: dst=0 src0=0 src1=1 src2=0
	s_delay_alu instid0(VALU_DEP_1) | instskip(SKIP_3) | instid1(VALU_DEP_1)
	v_fma_mix_f32 v33, v35, v33 /*v289*/, v33 op_sel_hi:[0,1,0]
	s_set_vgpr_msb 1                        ;  msbs: dst=0 src0=1 src1=0 src2=0
	v_dot4_i32_iu8 v35, v6 /*v262*/, v63, 0 neg_lo:[1,1,0]
	s_set_vgpr_msb 0                        ;  msbs: dst=0 src0=0 src1=0 src2=0
	v_cvt_f32_i32_e32 v35, v35
	s_delay_alu instid0(VALU_DEP_1) | instskip(SKIP_1) | instid1(VALU_DEP_1)
	v_fma_f32 v35, v4, v35, -v5
	s_set_vgpr_msb 4                        ;  msbs: dst=0 src0=0 src1=1 src2=0
	v_fma_mix_f32 v33, v35, v33 /*v289*/, v33 op_sel_hi:[0,1,0]
	s_set_vgpr_msb 1                        ;  msbs: dst=0 src0=1 src1=0 src2=0
	v_dot4_i32_iu8 v35, v8 /*v264*/, v64, 0 neg_lo:[1,1,0]
	s_set_vgpr_msb 0                        ;  msbs: dst=0 src0=0 src1=0 src2=0
	s_delay_alu instid0(VALU_DEP_1) | instskip(NEXT) | instid1(VALU_DEP_1)
	v_cvt_f32_i32_e32 v35, v35
	v_fma_f32 v35, v6, v35, -v7
	s_set_vgpr_msb 4                        ;  msbs: dst=0 src0=0 src1=1 src2=0
	s_delay_alu instid0(VALU_DEP_1) | instskip(SKIP_3) | instid1(VALU_DEP_1)
	v_fma_mix_f32 v33, v35, v34 /*v290*/, v33 op_sel_hi:[0,1,0]
	s_set_vgpr_msb 1                        ;  msbs: dst=0 src0=1 src1=0 src2=0
	v_dot4_i32_iu8 v35, v9 /*v265*/, v65, 0 neg_lo:[1,1,0]
	s_set_vgpr_msb 0                        ;  msbs: dst=0 src0=0 src1=0 src2=0
	v_cvt_f32_i32_e32 v35, v35
	s_delay_alu instid0(VALU_DEP_1) | instskip(SKIP_1) | instid1(VALU_DEP_1)
	v_fma_f32 v35, v6, v35, -v7
	s_set_vgpr_msb 4                        ;  msbs: dst=0 src0=0 src1=1 src2=0
	v_fma_mix_f32 v33, v35, v34 /*v290*/, v33 op_sel_hi:[0,1,0]
	s_set_vgpr_msb 1                        ;  msbs: dst=0 src0=1 src1=0 src2=0
	v_dot4_i32_iu8 v35, v10 /*v266*/, v66, 0 neg_lo:[1,1,0]
	s_set_vgpr_msb 0                        ;  msbs: dst=0 src0=0 src1=0 src2=0
	s_delay_alu instid0(VALU_DEP_1) | instskip(NEXT) | instid1(VALU_DEP_1)
	;; [unrolled: 17-line block ×4, first 2 shown]
	v_cvt_f32_i32_e32 v35, v35
	v_fma_f32 v35, v8, v35, -v9
	s_set_vgpr_msb 4                        ;  msbs: dst=0 src0=0 src1=1 src2=0
	s_delay_alu instid0(VALU_DEP_1) | instskip(SKIP_3) | instid1(VALU_DEP_1)
	v_fma_mix_f32 v33, v35, v35 /*v291*/, v33 op_sel_hi:[0,1,0]
	s_set_vgpr_msb 1                        ;  msbs: dst=0 src0=1 src1=0 src2=0
	v_dot4_i32_iu8 v35, v16 /*v272*/, v71, 0 neg_lo:[1,1,0]
	s_set_vgpr_msb 0                        ;  msbs: dst=0 src0=0 src1=0 src2=0
	v_cvt_f32_i32_e32 v35, v35
	s_delay_alu instid0(VALU_DEP_1) | instskip(SKIP_1) | instid1(VALU_DEP_1)
	v_fma_f32 v35, v8, v35, -v9
	s_set_vgpr_msb 4                        ;  msbs: dst=0 src0=0 src1=1 src2=0
	v_fma_mix_f32 v35, v35, v35 /*v291*/, v33 op_sel_hi:[0,1,0]
	s_set_vgpr_msb 1                        ;  msbs: dst=0 src0=1 src1=0 src2=0
	v_dot4_i32_iu8 v33, v17 /*v273*/, v72, 0 neg_lo:[1,1,0]
	s_set_vgpr_msb 64                       ;  msbs: dst=1 src0=0 src1=0 src2=0
	s_delay_alu instid0(VALU_DEP_1) | instskip(SKIP_3) | instid1(VALU_DEP_2)
	v_cvt_f32_i32_e32 v30 /*v286*/, v33
	s_set_vgpr_msb 0                        ;  msbs: dst=0 src0=0 src1=0 src2=0
	v_mov_b32_e32 v33, v32
	s_set_vgpr_msb 0x44                     ;  msbs: dst=1 src0=0 src1=1 src2=0
	v_pk_fma_f32 v[30:31] /*v[286:287]*/, v[10:11], v[30:31] /*v[286:287]*/, v[218:219] neg_lo:[0,0,1] neg_hi:[0,0,1]
	s_set_vgpr_msb 0x41                     ;  msbs: dst=1 src0=1 src1=0 src2=0
	s_delay_alu instid0(VALU_DEP_1) | instskip(SKIP_1) | instid1(VALU_DEP_1)
	v_pk_mul_f32 v[30:31] /*v[286:287]*/, v[30:31] /*v[286:287]*/, v[32:33] op_sel_hi:[1,0]
	s_set_vgpr_msb 4                        ;  msbs: dst=0 src0=0 src1=1 src2=0
	v_add_f32_e32 v35, v35, v30 /*v286*/
	s_set_vgpr_msb 64                       ;  msbs: dst=1 src0=0 src1=0 src2=0
	v_cvt_f32_i32_e32 v30 /*v286*/, v37
	s_set_vgpr_msb 4                        ;  msbs: dst=0 src0=0 src1=1 src2=0
	s_delay_alu instid0(VALU_DEP_2) | instskip(SKIP_4) | instid1(VALU_DEP_2)
	v_add_f32_e32 v35, v35, v31 /*v287*/
	s_set_vgpr_msb 0x41                     ;  msbs: dst=1 src0=1 src1=0 src2=0
	v_cvt_f32_i32_e32 v31 /*v287*/, v20 /*v276*/
	v_dot4_i32_iu8 v20 /*v276*/, v24 /*v280*/, v77, 0 neg_lo:[1,1,0]
	s_set_vgpr_msb 0x44                     ;  msbs: dst=1 src0=0 src1=1 src2=0
	v_pk_fma_f32 v[30:31] /*v[286:287]*/, v[10:11], v[30:31] /*v[286:287]*/, v[218:219] neg_lo:[0,0,1] neg_hi:[0,0,1]
	s_set_vgpr_msb 0x41                     ;  msbs: dst=1 src0=1 src1=0 src2=0
	s_delay_alu instid0(VALU_DEP_1) | instskip(SKIP_1) | instid1(VALU_DEP_1)
	v_pk_mul_f32 v[30:31] /*v[286:287]*/, v[30:31] /*v[286:287]*/, v[32:33] op_sel_hi:[1,0]
	s_set_vgpr_msb 1                        ;  msbs: dst=0 src0=1 src1=0 src2=0
	v_add_f32_e32 v35, v30 /*v286*/, v35
	s_set_vgpr_msb 4                        ;  msbs: dst=0 src0=0 src1=1 src2=0
	s_delay_alu instid0(VALU_DEP_1)
	v_add_f32_e32 v37, v35, v31 /*v287*/
	s_set_vgpr_msb 1                        ;  msbs: dst=0 src0=1 src1=0 src2=0
	v_dot4_i32_iu8 v35, v21 /*v277*/, v76, 0 neg_lo:[1,1,0]
	s_set_vgpr_msb 0x41                     ;  msbs: dst=1 src0=1 src1=0 src2=0
	v_cvt_f32_i32_e32 v31 /*v287*/, v20 /*v276*/
	v_dot4_i32_iu8 v20 /*v276*/, v23 /*v279*/, v78, 0 neg_lo:[1,1,0]
	s_set_vgpr_msb 64                       ;  msbs: dst=1 src0=0 src1=0 src2=0
	v_cvt_f32_i32_e32 v30 /*v286*/, v35
	s_set_vgpr_msb 0                        ;  msbs: dst=0 src0=0 src1=0 src2=0
	v_mov_b32_e32 v35, v34
	s_set_vgpr_msb 0x44                     ;  msbs: dst=1 src0=0 src1=1 src2=0
	s_delay_alu instid0(VALU_DEP_2) | instskip(SKIP_1) | instid1(VALU_DEP_1)
	v_pk_fma_f32 v[30:31] /*v[286:287]*/, v[12:13], v[30:31] /*v[286:287]*/, v[216:217] neg_lo:[0,0,1] neg_hi:[0,0,1]
	s_set_vgpr_msb 0x41                     ;  msbs: dst=1 src0=1 src1=0 src2=0
	v_pk_mul_f32 v[30:31] /*v[286:287]*/, v[30:31] /*v[286:287]*/, v[34:35] op_sel_hi:[1,0]
	s_set_vgpr_msb 4                        ;  msbs: dst=0 src0=0 src1=1 src2=0
	s_delay_alu instid0(VALU_DEP_1) | instskip(SKIP_3) | instid1(VALU_DEP_2)
	v_add_f32_e32 v37, v37, v30 /*v286*/
	s_set_vgpr_msb 0x41                     ;  msbs: dst=1 src0=1 src1=0 src2=0
	v_dot4_i32_iu8 v30 /*v286*/, v26 /*v282*/, v79, 0 neg_lo:[1,1,0]
	s_set_vgpr_msb 4                        ;  msbs: dst=0 src0=0 src1=1 src2=0
	v_add_f32_e32 v37, v37, v31 /*v287*/
	s_set_vgpr_msb 0x41                     ;  msbs: dst=1 src0=1 src1=0 src2=0
	s_delay_alu instid0(VALU_DEP_2) | instskip(SKIP_2) | instid1(VALU_DEP_1)
	v_cvt_f32_i32_e32 v31 /*v287*/, v30 /*v286*/
	v_cvt_f32_i32_e32 v30 /*v286*/, v20 /*v276*/
	s_set_vgpr_msb 0x44                     ;  msbs: dst=1 src0=0 src1=1 src2=0
	v_pk_fma_f32 v[30:31] /*v[286:287]*/, v[12:13], v[30:31] /*v[286:287]*/, v[216:217] neg_lo:[0,0,1] neg_hi:[0,0,1]
	s_set_vgpr_msb 0x41                     ;  msbs: dst=1 src0=1 src1=0 src2=0
	s_delay_alu instid0(VALU_DEP_1) | instskip(SKIP_1) | instid1(VALU_DEP_1)
	v_pk_mul_f32 v[30:31] /*v[286:287]*/, v[30:31] /*v[286:287]*/, v[34:35] op_sel_hi:[1,0]
	s_set_vgpr_msb 1                        ;  msbs: dst=0 src0=1 src1=0 src2=0
	v_add_f32_e32 v37, v30 /*v286*/, v37
	s_set_vgpr_msb 0x41                     ;  msbs: dst=1 src0=1 src1=0 src2=0
	v_dot4_i32_iu8 v30 /*v286*/, v28 /*v284*/, v81, 0 neg_lo:[1,1,0]
	s_set_vgpr_msb 0x44                     ;  msbs: dst=1 src0=0 src1=1 src2=0
	s_delay_alu instid0(VALU_DEP_2)
	v_add_f32_e32 v20 /*v276*/, v37, v31 /*v287*/
	s_set_vgpr_msb 1                        ;  msbs: dst=0 src0=1 src1=0 src2=0
	v_dot4_i32_iu8 v37, v25 /*v281*/, v80, 0 neg_lo:[1,1,0]
	s_set_vgpr_msb 0x41                     ;  msbs: dst=1 src0=1 src1=0 src2=0
	v_cvt_f32_i32_e32 v31 /*v287*/, v30 /*v286*/
	s_set_vgpr_msb 64                       ;  msbs: dst=1 src0=0 src1=0 src2=0
	s_delay_alu instid0(VALU_DEP_2) | instskip(SKIP_3) | instid1(VALU_DEP_2)
	v_cvt_f32_i32_e32 v30 /*v286*/, v37
	s_set_vgpr_msb 0                        ;  msbs: dst=0 src0=0 src1=0 src2=0
	v_mov_b32_e32 v37, v36
	s_set_vgpr_msb 0x44                     ;  msbs: dst=1 src0=0 src1=1 src2=0
	v_pk_fma_f32 v[30:31] /*v[286:287]*/, v[14:15], v[30:31] /*v[286:287]*/, v[214:215] neg_lo:[0,0,1] neg_hi:[0,0,1]
	s_set_vgpr_msb 0x41                     ;  msbs: dst=1 src0=1 src1=0 src2=0
	s_delay_alu instid0(VALU_DEP_1) | instskip(SKIP_1) | instid1(VALU_DEP_1)
	v_pk_mul_f32 v[30:31] /*v[286:287]*/, v[30:31] /*v[286:287]*/, v[36:37] op_sel_hi:[1,0]
	s_set_vgpr_msb 0x45                     ;  msbs: dst=1 src0=1 src1=1 src2=0
	v_add_f32_e32 v20 /*v276*/, v20 /*v276*/, v30 /*v286*/
	s_set_vgpr_msb 0x41                     ;  msbs: dst=1 src0=1 src1=0 src2=0
	v_dot4_i32_iu8 v30 /*v286*/, v27 /*v283*/, v82, 0 neg_lo:[1,1,0]
	s_set_vgpr_msb 0x45                     ;  msbs: dst=1 src0=1 src1=1 src2=0
	s_delay_alu instid0(VALU_DEP_2) | instskip(SKIP_3) | instid1(VALU_DEP_2)
	v_add_f32_e32 v20 /*v276*/, v20 /*v276*/, v31 /*v287*/
	s_set_vgpr_msb 0x41                     ;  msbs: dst=1 src0=1 src1=0 src2=0
	v_dot4_i32_iu8 v31 /*v287*/, v29 /*v285*/, v83, 0 neg_lo:[1,1,0]
	v_cvt_f32_i32_e32 v30 /*v286*/, v30 /*v286*/
	v_cvt_f32_i32_e32 v31 /*v287*/, v31 /*v287*/
	s_set_vgpr_msb 0x44                     ;  msbs: dst=1 src0=0 src1=1 src2=0
	s_delay_alu instid0(VALU_DEP_1) | instskip(SKIP_1) | instid1(VALU_DEP_1)
	v_pk_fma_f32 v[30:31] /*v[286:287]*/, v[14:15], v[30:31] /*v[286:287]*/, v[214:215] neg_lo:[0,0,1] neg_hi:[0,0,1]
	s_set_vgpr_msb 0x41                     ;  msbs: dst=1 src0=1 src1=0 src2=0
	v_pk_mul_f32 v[30:31] /*v[286:287]*/, v[30:31] /*v[286:287]*/, v[36:37] op_sel_hi:[1,0]
	s_set_vgpr_msb 0x45                     ;  msbs: dst=1 src0=1 src1=1 src2=0
	s_delay_alu instid0(VALU_DEP_1) | instskip(NEXT) | instid1(VALU_DEP_1)
	v_add_f32_e32 v20 /*v276*/, v30 /*v286*/, v20 /*v276*/
	v_add_f32_e32 v20 /*v276*/, v20 /*v276*/, v31 /*v287*/
	s_set_vgpr_msb 0x44                     ;  msbs: dst=1 src0=0 src1=1 src2=0
	ds_bpermute_b32 v30 /*v286*/, v241, v20 /*v276*/
	s_wait_dscnt 0x0
	s_set_vgpr_msb 0x45                     ;  msbs: dst=1 src0=1 src1=1 src2=0
	v_add_f32_e32 v20 /*v276*/, v20 /*v276*/, v30 /*v286*/
	s_set_vgpr_msb 0                        ;  msbs: dst=0 src0=0 src1=0 src2=0
	s_cbranch_vccnz .LBB28_27
; %bb.26:                               ;   in Loop: Header=BB28_21 Depth=1
	s_set_vgpr_msb 0x54                     ;  msbs: dst=1 src0=0 src1=1 src2=1
	global_load_u16 v30 /*v286*/, v132, s[4:5] offset:2 scale_offset
	s_wait_loadcnt 0x0
	v_fma_mix_f32 v20 /*v276*/, v237, v30 /*v286*/, v20 /*v276*/ op_sel_hi:[0,1,0]
.LBB28_27:                              ;   in Loop: Header=BB28_21 Depth=1
	s_set_vgpr_msb 0                        ;  msbs: dst=0 src0=0 src1=0 src2=0
	v_dot4_i32_iu8 v41, v41, v84, 0 neg_lo:[1,1,0]
	v_dot4_i32_iu8 v44, v44, v85, 0 neg_lo:[1,1,0]
	;; [unrolled: 1-line block ×4, first 2 shown]
	s_and_not1_b32 vcc_lo, exec_lo, s24
	v_cvt_f32_i32_e32 v41, v41
	v_cvt_f32_i32_e32 v44, v44
	;; [unrolled: 1-line block ×4, first 2 shown]
	s_delay_alu instid0(VALU_DEP_3) | instskip(NEXT) | instid1(VALU_DEP_2)
	v_dual_fma_f32 v41, v16, v41, -v17 :: v_dual_fma_f32 v44, v16, v44, -v17
	v_dual_fma_f32 v45, v16, v45, -v17 :: v_dual_fma_f32 v46, v16, v46, -v17
	s_set_vgpr_msb 64                       ;  msbs: dst=1 src0=0 src1=0 src2=0
	s_delay_alu instid0(VALU_DEP_2)
	v_fma_f32 v30 /*v286*/, v41, v40, 0
	s_set_vgpr_msb 0                        ;  msbs: dst=0 src0=0 src1=0 src2=0
	v_dot4_i32_iu8 v41, v133, v88, 0 neg_lo:[1,1,0]
	s_set_vgpr_msb 1                        ;  msbs: dst=0 src0=1 src1=0 src2=0
	v_dot4_i32_iu8 v133, v21 /*v277*/, v108, 0 neg_lo:[1,1,0]
	s_set_vgpr_msb 64                       ;  msbs: dst=1 src0=0 src1=0 src2=0
	v_fmac_f32_e32 v30 /*v286*/, v44, v40
	s_set_vgpr_msb 0                        ;  msbs: dst=0 src0=0 src1=0 src2=0
	v_dot4_i32_iu8 v44, v227, v89, 0 neg_lo:[1,1,0]
	v_cvt_f32_i32_e32 v41, v41
	s_set_vgpr_msb 64                       ;  msbs: dst=1 src0=0 src1=0 src2=0
	v_fmac_f32_e32 v30 /*v286*/, v45, v40
	s_set_vgpr_msb 0                        ;  msbs: dst=0 src0=0 src1=0 src2=0
	v_dot4_i32_iu8 v45, v228, v90, 0 neg_lo:[1,1,0]
	v_cvt_f32_i32_e32 v44, v44
	v_fma_f32 v41, v18, v41, -v19
	s_set_vgpr_msb 64                       ;  msbs: dst=1 src0=0 src1=0 src2=0
	v_fmac_f32_e32 v30 /*v286*/, v46, v40
	s_set_vgpr_msb 0                        ;  msbs: dst=0 src0=0 src1=0 src2=0
	v_dot4_i32_iu8 v40, v229, v91, 0 neg_lo:[1,1,0]
	v_cvt_f32_i32_e32 v45, v45
	v_fma_f32 v44, v18, v44, -v19
	s_set_vgpr_msb 1                        ;  msbs: dst=0 src0=1 src1=0 src2=0
	v_dot4_i32_iu8 v46, v16 /*v272*/, v103, 0 neg_lo:[1,1,0]
	s_set_vgpr_msb 64                       ;  msbs: dst=1 src0=0 src1=0 src2=0
	v_fmac_f32_e32 v30 /*v286*/, v41, v47
	s_set_vgpr_msb 0                        ;  msbs: dst=0 src0=0 src1=0 src2=0
	v_dot4_i32_iu8 v41, v231, v92, 0 neg_lo:[1,1,0]
	v_cvt_f32_i32_e32 v40, v40
	v_fma_f32 v45, v18, v45, -v19
	v_cvt_f32_i32_e32 v46, v46
	s_set_vgpr_msb 64                       ;  msbs: dst=1 src0=0 src1=0 src2=0
	v_fmac_f32_e32 v30 /*v286*/, v44, v47
	s_set_vgpr_msb 0                        ;  msbs: dst=0 src0=0 src1=0 src2=0
	v_dot4_i32_iu8 v44, v232, v93, 0 neg_lo:[1,1,0]
	v_cvt_f32_i32_e32 v41, v41
	v_dual_fma_f32 v40, v18, v40, -v19 :: v_dual_fma_f32 v46, v24, v46, -v25
	s_set_vgpr_msb 64                       ;  msbs: dst=1 src0=0 src1=0 src2=0
	v_fmac_f32_e32 v30 /*v286*/, v45, v47
	s_set_vgpr_msb 0                        ;  msbs: dst=0 src0=0 src1=0 src2=0
	v_dot4_i32_iu8 v45, v233, v94, 0 neg_lo:[1,1,0]
	v_cvt_f32_i32_e32 v44, v44
	v_fma_f32 v41, v20, v41, -v21
	s_set_vgpr_msb 64                       ;  msbs: dst=1 src0=0 src1=0 src2=0
	v_fmac_f32_e32 v30 /*v286*/, v40, v47
	s_set_vgpr_msb 1                        ;  msbs: dst=0 src0=1 src1=0 src2=0
	v_dot4_i32_iu8 v40, v6 /*v262*/, v95, 0 neg_lo:[1,1,0]
	s_set_vgpr_msb 0                        ;  msbs: dst=0 src0=0 src1=0 src2=0
	v_cvt_f32_i32_e32 v45, v45
	v_fma_f32 v44, v20, v44, -v21
	s_set_vgpr_msb 1                        ;  msbs: dst=0 src0=1 src1=0 src2=0
	v_dot4_i32_iu8 v47, v19 /*v275*/, v105, 0 neg_lo:[1,1,0]
	s_set_vgpr_msb 64                       ;  msbs: dst=1 src0=0 src1=0 src2=0
	v_fmac_f32_e32 v30 /*v286*/, v41, v230
	s_set_vgpr_msb 1                        ;  msbs: dst=0 src0=1 src1=0 src2=0
	v_dot4_i32_iu8 v41, v8 /*v264*/, v96, 0 neg_lo:[1,1,0]
	s_set_vgpr_msb 0                        ;  msbs: dst=0 src0=0 src1=0 src2=0
	v_cvt_f32_i32_e32 v40, v40
	v_fma_f32 v45, v20, v45, -v21
	s_set_vgpr_msb 64                       ;  msbs: dst=1 src0=0 src1=0 src2=0
	v_fmac_f32_e32 v30 /*v286*/, v44, v230
	s_set_vgpr_msb 1                        ;  msbs: dst=0 src0=1 src1=0 src2=0
	v_dot4_i32_iu8 v44, v9 /*v265*/, v97, 0 neg_lo:[1,1,0]
	s_set_vgpr_msb 0                        ;  msbs: dst=0 src0=0 src1=0 src2=0
	v_cvt_f32_i32_e32 v41, v41
	v_fma_f32 v40, v20, v40, -v21
	;; [unrolled: 7-line block ×4, first 2 shown]
	s_set_vgpr_msb 0x44                     ;  msbs: dst=1 src0=0 src1=1 src2=0
	v_fmac_f32_e32 v30 /*v286*/, v41, v7 /*v263*/
	s_set_vgpr_msb 1                        ;  msbs: dst=0 src0=1 src1=0 src2=0
	v_dot4_i32_iu8 v41, v13 /*v269*/, v100, 0 neg_lo:[1,1,0]
	s_set_vgpr_msb 0                        ;  msbs: dst=0 src0=0 src1=0 src2=0
	v_cvt_f32_i32_e32 v40, v40
	v_fma_f32 v45, v22, v45, -v23
	s_set_vgpr_msb 0x44                     ;  msbs: dst=1 src0=0 src1=1 src2=0
	v_fmac_f32_e32 v30 /*v286*/, v44, v7 /*v263*/
	s_set_vgpr_msb 1                        ;  msbs: dst=0 src0=1 src1=0 src2=0
	v_dot4_i32_iu8 v44, v14 /*v270*/, v101, 0 neg_lo:[1,1,0]
	s_set_vgpr_msb 0                        ;  msbs: dst=0 src0=0 src1=0 src2=0
	v_cvt_f32_i32_e32 v41, v41
	v_fma_f32 v40, v22, v40, -v23
	;; [unrolled: 7-line block ×4, first 2 shown]
	s_set_vgpr_msb 0x44                     ;  msbs: dst=1 src0=0 src1=1 src2=0
	v_fmac_f32_e32 v30 /*v286*/, v41, v12 /*v268*/
	s_set_vgpr_msb 0                        ;  msbs: dst=0 src0=0 src1=0 src2=0
	v_cvt_f32_i32_e32 v41, v47
	v_cvt_f32_i32_e32 v40, v40
	v_fma_f32 v45, v24, v45, -v25
	s_set_vgpr_msb 1                        ;  msbs: dst=0 src0=1 src1=0 src2=0
	v_dot4_i32_iu8 v47, v22 /*v278*/, v107, 0 neg_lo:[1,1,0]
	s_set_vgpr_msb 0x44                     ;  msbs: dst=1 src0=0 src1=1 src2=0
	v_fmac_f32_e32 v30 /*v286*/, v44, v12 /*v268*/
	s_set_vgpr_msb 1                        ;  msbs: dst=0 src0=1 src1=0 src2=0
	v_dot4_i32_iu8 v44, v18 /*v274*/, v106, 0 neg_lo:[1,1,0]
	s_set_vgpr_msb 0                        ;  msbs: dst=0 src0=0 src1=0 src2=0
	v_pk_fma_f32 v[40:41], v[26:27], v[40:41], v[212:213] neg_lo:[0,0,1] neg_hi:[0,0,1]
	s_set_vgpr_msb 0x44                     ;  msbs: dst=1 src0=0 src1=1 src2=0
	v_fmac_f32_e32 v30 /*v286*/, v45, v12 /*v268*/
	s_set_vgpr_msb 0                        ;  msbs: dst=0 src0=0 src1=0 src2=0
	v_cvt_f32_i32_e32 v45, v47
	v_cvt_f32_i32_e32 v44, v44
	v_pk_mul_f32 v[40:41], v[40:41], v[32:33]
	s_set_vgpr_msb 0x44                     ;  msbs: dst=1 src0=0 src1=1 src2=0
	v_fmac_f32_e32 v30 /*v286*/, v46, v12 /*v268*/
	s_set_vgpr_msb 1                        ;  msbs: dst=0 src0=1 src1=0 src2=0
	v_dot4_i32_iu8 v46, v24 /*v280*/, v109, 0 neg_lo:[1,1,0]
	s_set_vgpr_msb 0                        ;  msbs: dst=0 src0=0 src1=0 src2=0
	v_pk_fma_f32 v[44:45], v[26:27], v[44:45], v[212:213] neg_lo:[0,0,1] neg_hi:[0,0,1]
	s_set_vgpr_msb 1                        ;  msbs: dst=0 src0=1 src1=0 src2=0
	v_add_f32_e32 v40, v30 /*v286*/, v40
	s_set_vgpr_msb 0                        ;  msbs: dst=0 src0=0 src1=0 src2=0
	v_cvt_f32_i32_e32 v47, v46
	v_cvt_f32_i32_e32 v46, v133
	v_pk_mul_f32 v[32:33], v[44:45], v[32:33]
	s_set_vgpr_msb 1                        ;  msbs: dst=0 src0=1 src1=0 src2=0
	v_dot4_i32_iu8 v45, v26 /*v282*/, v111, 0 neg_lo:[1,1,0]
	s_set_vgpr_msb 0                        ;  msbs: dst=0 src0=0 src1=0 src2=0
	v_add_f32_e32 v44, v40, v41
	s_set_vgpr_msb 1                        ;  msbs: dst=0 src0=1 src1=0 src2=0
	v_dot4_i32_iu8 v133, v23 /*v279*/, v110, 0 neg_lo:[1,1,0]
	s_set_vgpr_msb 0                        ;  msbs: dst=0 src0=0 src1=0 src2=0
	v_pk_fma_f32 v[40:41], v[28:29], v[46:47], v[210:211] neg_lo:[0,0,1] neg_hi:[0,0,1]
	s_set_vgpr_msb 1                        ;  msbs: dst=0 src0=1 src1=0 src2=0
	v_dot4_i32_iu8 v47, v28 /*v284*/, v113, 0 neg_lo:[1,1,0]
	s_set_vgpr_msb 0                        ;  msbs: dst=0 src0=0 src1=0 src2=0
	v_cvt_f32_i32_e32 v45, v45
	v_add_f32_e32 v32, v32, v44
	v_cvt_f32_i32_e32 v44, v133
	v_pk_mul_f32 v[40:41], v[40:41], v[34:35]
	s_set_vgpr_msb 1                        ;  msbs: dst=0 src0=1 src1=0 src2=0
	v_dot4_i32_iu8 v133, v25 /*v281*/, v112, 0 neg_lo:[1,1,0]
	s_set_vgpr_msb 0                        ;  msbs: dst=0 src0=0 src1=0 src2=0
	v_add_f32_e32 v46, v32, v33
	v_pk_fma_f32 v[32:33], v[28:29], v[44:45], v[210:211] neg_lo:[0,0,1] neg_hi:[0,0,1]
	v_cvt_f32_i32_e32 v45, v47
	v_cvt_f32_i32_e32 v44, v133
	s_delay_alu instid0(VALU_DEP_4) | instskip(NEXT) | instid1(VALU_DEP_4)
	v_add_f32_e32 v40, v46, v40
	v_pk_mul_f32 v[32:33], v[32:33], v[34:35]
	s_delay_alu instid0(VALU_DEP_3) | instskip(NEXT) | instid1(VALU_DEP_3)
	v_pk_fma_f32 v[34:35], v[30:31], v[44:45], v[208:209] neg_lo:[0,0,1] neg_hi:[0,0,1]
	v_add_f32_e32 v40, v40, v41
	s_set_vgpr_msb 1                        ;  msbs: dst=0 src0=1 src1=0 src2=0
	v_dot4_i32_iu8 v41, v29 /*v285*/, v115, 0 neg_lo:[1,1,0]
	s_set_vgpr_msb 0                        ;  msbs: dst=0 src0=0 src1=0 src2=0
	v_pk_mul_f32 v[34:35], v[34:35], v[36:37]
	v_add_f32_e32 v32, v32, v40
	s_set_vgpr_msb 1                        ;  msbs: dst=0 src0=1 src1=0 src2=0
	v_dot4_i32_iu8 v40, v27 /*v283*/, v114, 0 neg_lo:[1,1,0]
	s_set_vgpr_msb 0                        ;  msbs: dst=0 src0=0 src1=0 src2=0
	v_cvt_f32_i32_e32 v41, v41
	v_add_f32_e32 v32, v32, v33
	s_delay_alu instid0(VALU_DEP_3) | instskip(NEXT) | instid1(VALU_DEP_2)
	v_cvt_f32_i32_e32 v40, v40
	v_add_f32_e32 v34, v32, v34
	s_delay_alu instid0(VALU_DEP_2) | instskip(NEXT) | instid1(VALU_DEP_2)
	v_pk_fma_f32 v[32:33], v[30:31], v[40:41], v[208:209] neg_lo:[0,0,1] neg_hi:[0,0,1]
	v_add_f32_e32 v34, v34, v35
	s_delay_alu instid0(VALU_DEP_2) | instskip(NEXT) | instid1(VALU_DEP_1)
	v_pk_mul_f32 v[32:33], v[32:33], v[36:37]
	v_add_f32_e32 v32, v32, v34
	s_delay_alu instid0(VALU_DEP_1)
	v_add_f32_e32 v32, v32, v33
	ds_bpermute_b32 v33, v241, v32
	s_wait_dscnt 0x0
	v_add_f32_e32 v32, v32, v33
	s_cbranch_vccnz .LBB28_29
; %bb.28:                               ;   in Loop: Header=BB28_21 Depth=1
	v_lshl_add_u64 v[34:35], v[222:223], 1, s[4:5]
	global_load_u16 v33, v[34:35], off offset:2
	s_wait_loadcnt 0x0
	v_fma_mix_f32 v32, v237, v33, v32 op_sel_hi:[0,1,0]
.LBB28_29:                              ;   in Loop: Header=BB28_21 Depth=1
	v_add_nc_u64_e32 v[34:35], s[10:11], v[116:117]
	v_mul_hi_u32_u24_e32 v233, 22, v224
	v_mul_u32_u24_e32 v232, 22, v224
	v_mul_hi_u32_u24_e32 v231, 22, v220
	v_mul_u32_u24_e32 v230, 22, v220
	v_add_nc_u64_e32 v[36:37], s[10:11], v[118:119]
	v_add_nc_u64_e32 v[46:47], s[10:11], v[120:121]
	;; [unrolled: 1-line block ×3, first 2 shown]
	v_add_f32_e32 v33, 0x40051340, v38
	v_add_nc_u64_e32 v[34:35], v[34:35], v[230:231]
	s_set_vgpr_msb 64                       ;  msbs: dst=1 src0=0 src1=0 src2=0
	v_add_nc_u64_e32 v[22:23] /*v[278:279]*/, s[10:11], v[128:129]
	s_add_co_i32 s42, s14, s42
	s_set_vgpr_msb 0                        ;  msbs: dst=0 src0=0 src1=0 src2=0
	v_add_nc_u64_e32 v[40:41], v[36:37], v[232:233]
	v_add_nc_u64_e32 v[36:37], v[36:37], v[230:231]
	;; [unrolled: 1-line block ×3, first 2 shown]
	s_set_vgpr_msb 64                       ;  msbs: dst=1 src0=0 src1=0 src2=0
	v_add_nc_u64_e32 v[6:7] /*v[262:263]*/, v[46:47], v[232:233]
	v_add_nc_u64_e32 v[8:9] /*v[264:265]*/, v[34:35], v[190:191]
	s_set_vgpr_msb 0x41                     ;  msbs: dst=1 src0=1 src1=0 src2=0
	v_add_nc_u64_e32 v[26:27] /*v[282:283]*/, v[22:23] /*v[278:279]*/, v[232:233]
	s_add_nc_u64 s[12:13], s[12:13], s[8:9]
	s_set_vgpr_msb 0                        ;  msbs: dst=0 src0=0 src1=0 src2=0
	global_load_b32 v133, v[40:41], off offset:2
	s_set_vgpr_msb 64                       ;  msbs: dst=1 src0=0 src1=0 src2=0
	v_add_nc_u64_e32 v[10:11] /*v[266:267]*/, v[36:37], v[190:191]
	s_clause 0x8
	global_load_b32 v18 /*v274*/, v[228:229], off offset:6
	global_load_u16 v19 /*v275*/, v[34:35], off
	global_load_b32 v21 /*v277*/, v[44:45], off offset:2
	global_load_u16 v28 /*v284*/, v[44:45], off
	s_set_vgpr_msb 0x41                     ;  msbs: dst=1 src0=1 src1=0 src2=0
	global_load_b32 v29 /*v285*/, v[8:9] /*v[264:265]*/, off offset:6
	s_set_vgpr_msb 64                       ;  msbs: dst=1 src0=0 src1=0 src2=0
	global_load_u16 v30 /*v286*/, v[40:41], off
	global_load_b32 v31 /*v287*/, v[34:35], off offset:2
	s_wait_xcnt 0x6
	s_set_vgpr_msb 0                        ;  msbs: dst=0 src0=0 src1=0 src2=0
	v_add_nc_u64_e32 v[228:229], v[40:41], v[188:189]
	s_wait_xcnt 0x1
	v_add_nc_u64_e32 v[40:41], v[46:47], v[230:231]
	s_wait_xcnt 0x0
	v_add_nc_u64_e32 v[34:35], s[10:11], v[122:123]
	s_set_vgpr_msb 1                        ;  msbs: dst=0 src0=1 src1=0 src2=0
	v_add_nc_u64_e32 v[44:45], v[6:7] /*v[262:263]*/, v[188:189]
	s_add_nc_u64 s[4:5], s[4:5], s[6:7]
	s_set_vgpr_msb 64                       ;  msbs: dst=1 src0=0 src1=0 src2=0
	s_clause 0x5
	global_load_b32 v32 /*v288*/, v[228:229], off offset:6
	s_set_vgpr_msb 0x41                     ;  msbs: dst=1 src0=1 src1=0 src2=0
	global_load_b32 v33 /*v289*/, v[10:11] /*v[266:267]*/, off offset:6
	global_load_u16 v34 /*v290*/, v[6:7] /*v[262:263]*/, off
	s_set_vgpr_msb 64                       ;  msbs: dst=1 src0=0 src1=0 src2=0
	global_load_b32 v35 /*v291*/, v[36:37], off offset:2
	s_wait_xcnt 0x3
	s_set_vgpr_msb 0                        ;  msbs: dst=0 src0=0 src1=0 src2=0
	v_add_nc_u64_e32 v[228:229], v[40:41], v[190:191]
	v_add_nc_u64_e32 v[46:47], v[34:35], v[232:233]
	s_set_vgpr_msb 64                       ;  msbs: dst=1 src0=0 src1=0 src2=0
	s_clause 0x8
	global_load_u16 v36 /*v292*/, v[36:37], off
	global_load_b32 v37 /*v293*/, v[44:45], off offset:6
	global_load_u16 v38 /*v294*/, v[40:41], off
	s_set_vgpr_msb 0x41                     ;  msbs: dst=1 src0=1 src1=0 src2=0
	global_load_b32 v39 /*v295*/, v[6:7] /*v[262:263]*/, off offset:2
	s_set_vgpr_msb 64                       ;  msbs: dst=1 src0=0 src1=0 src2=0
	global_load_b32 v40 /*v296*/, v[228:229], off offset:6
	global_load_u16 v41 /*v297*/, v[46:47], off
	global_load_b32 v42 /*v298*/, v[40:41], off offset:2
	s_wait_xcnt 0x6
	s_set_vgpr_msb 4                        ;  msbs: dst=0 src0=0 src1=1 src2=0
	v_add_f32_e32 v36, 0x40051340, v20 /*v276*/
	s_wait_xcnt 0x0
	s_set_vgpr_msb 0                        ;  msbs: dst=0 src0=0 src1=0 src2=0
	v_dual_add_f32 v37, 0x40051340, v39 :: v_dual_add_f32 v40, 0x40051340, v32
	v_add_nc_u64_e32 v[34:35], v[34:35], v[230:231]
	s_cmp_ge_i32 s42, s35
	v_max3_num_f32 v33, v42, v33, v36
	s_delay_alu instid0(VALU_DEP_3) | instskip(SKIP_4) | instid1(VALU_DEP_1)
	v_max3_num_f32 v36, v43, v37, v40
	ds_bpermute_b32 v37, v242, v33
	ds_bpermute_b32 v40, v242, v36
	s_wait_dscnt 0x0
	v_dual_max_num_f32 v40, v40, v40 :: v_dual_max_num_f32 v37, v37, v37
	v_max_num_f32_e32 v36, v36, v40
	ds_bpermute_b32 v40, v243, v36
	s_wait_dscnt 0x0
	v_dual_max_num_f32 v33, v33, v37 :: v_dual_max_num_f32 v40, v40, v40
	ds_bpermute_b32 v37, v243, v33
	v_max_num_f32_e32 v36, v36, v40
	ds_bpermute_b32 v40, v244, v36
	s_wait_dscnt 0x1
	v_max_num_f32_e32 v37, v37, v37
	s_wait_dscnt 0x0
	s_delay_alu instid0(VALU_DEP_1)
	v_dual_max_num_f32 v33, v33, v37 :: v_dual_max_num_f32 v40, v40, v40
	ds_bpermute_b32 v37, v244, v33
	v_max_num_f32_e32 v45, v36, v40
	v_add_nc_u64_e32 v[40:41], v[34:35], v[190:191]
	ds_bpermute_b32 v228, v245, v45
	s_wait_dscnt 0x1
	v_max_num_f32_e32 v37, v37, v37
	s_delay_alu instid0(VALU_DEP_1)
	v_max_num_f32_e32 v44, v33, v37
	v_add_nc_u64_e32 v[36:37], v[46:47], v[188:189]
	s_set_vgpr_msb 64                       ;  msbs: dst=1 src0=0 src1=0 src2=0
	s_clause 0x4
	global_load_b32 v43 /*v299*/, v[36:37], off offset:6
	global_load_u16 v44 /*v300*/, v[34:35], off
	global_load_b32 v45 /*v301*/, v[46:47], off offset:2
	global_load_b32 v46 /*v302*/, v[40:41], off offset:6
	;; [unrolled: 1-line block ×3, first 2 shown]
	s_wait_xcnt 0x4
	s_set_vgpr_msb 0                        ;  msbs: dst=0 src0=0 src1=0 src2=0
	v_cndmask_b32_e64 v36, v226, v38, s1
	ds_bpermute_b32 v227, v245, v44
	s_wait_xcnt 0x0
	v_add_nc_u64_e32 v[34:35], s[10:11], v[126:127]
	s_set_vgpr_msb 64                       ;  msbs: dst=1 src0=0 src1=0 src2=0
	ds_load_b128 v[6:9] /*v[262:265]*/, v239
	ds_load_b128 v[10:13] /*v[266:269]*/, v239 offset:16
	s_wait_dscnt 0x3
	s_set_vgpr_msb 0                        ;  msbs: dst=0 src0=0 src1=0 src2=0
	v_max_num_f32_e32 v46, v228, v228
	v_cndmask_b32_e64 v40, v32, v39, s1
	s_set_vgpr_msb 1                        ;  msbs: dst=0 src0=1 src1=0 src2=0
	v_cndmask_b32_e64 v41, v20 /*v276*/, v36, s1
	v_add_nc_u64_e32 v[32:33], s[10:11], v[124:125]
	s_set_vgpr_msb 64                       ;  msbs: dst=1 src0=0 src1=0 src2=0
	v_add_nc_u64_e32 v[24:25] /*v[280:281]*/, v[34:35], v[230:231]
	s_set_vgpr_msb 0                        ;  msbs: dst=0 src0=0 src1=0 src2=0
	v_max_num_f32_e32 v229, v45, v46
	s_delay_alu instid0(VALU_DEP_3) | instskip(SKIP_1) | instid1(VALU_DEP_3)
	v_add_nc_u64_e32 v[36:37], v[32:33], v[232:233]
	v_add_nc_u64_e32 v[32:33], v[32:33], v[230:231]
	v_sub_f32_e32 v46, v43, v229
	s_wait_dscnt 0x2
	v_max_num_f32_e32 v38, v227, v227
	s_delay_alu instid0(VALU_DEP_2) | instskip(NEXT) | instid1(VALU_DEP_2)
	v_mul_f32_e32 v226, 0x3fb8aa3b, v46
	v_max_num_f32_e32 v228, v44, v38
	v_add_nc_u64_e32 v[38:39], v[34:35], v[232:233]
	v_add_nc_u64_e32 v[34:35], v[36:37], v[188:189]
	s_set_vgpr_msb 64                       ;  msbs: dst=1 src0=0 src1=0 src2=0
	v_rndne_f32_e32 v48 /*v304*/, v226
	v_fma_f32 v20 /*v276*/, 0x3fb8aa3b, v46, -v226
	s_set_vgpr_msb 0                        ;  msbs: dst=0 src0=0 src1=0 src2=0
	v_dual_sub_f32 v44, v42, v228 :: v_dual_sub_f32 v45, v41, v228
	v_sub_f32_e32 v47, v40, v229
	v_add_nc_u64_e32 v[40:41], v[32:33], v[190:191]
	s_set_vgpr_msb 64                       ;  msbs: dst=1 src0=0 src1=0 src2=0
	v_fmac_f32_e32 v20 /*v276*/, 0x32a5705f, v46
	s_set_vgpr_msb 0                        ;  msbs: dst=0 src0=0 src1=0 src2=0
	v_dual_mul_f32 v42, 0x3fb8aa3b, v44 :: v_dual_mul_f32 v43, 0x3fb8aa3b, v45
	v_mul_f32_e32 v227, 0x3fb8aa3b, v47
	v_cmp_ngt_f32_e32 vcc_lo, 0xc2ce8ed0, v44
	s_set_vgpr_msb 64                       ;  msbs: dst=1 src0=0 src1=0 src2=0
	s_delay_alu instid0(VALU_DEP_3)
	v_fma_f32 v14 /*v270*/, 0x3fb8aa3b, v44, -v42
	v_rndne_f32_e32 v15 /*v271*/, v42
	v_fma_f32 v49 /*v305*/, 0x3fb8aa3b, v47, -v227
	v_rndne_f32_e32 v50 /*v306*/, v227
	v_fma_f32 v16 /*v272*/, 0x3fb8aa3b, v45, -v43
	v_fmac_f32_e32 v14 /*v270*/, 0x32a5705f, v44
	s_set_vgpr_msb 4                        ;  msbs: dst=0 src0=0 src1=1 src2=0
	v_sub_f32_e32 v42, v42, v15 /*v271*/
	s_set_vgpr_msb 64                       ;  msbs: dst=1 src0=0 src1=0 src2=0
	v_fmac_f32_e32 v49 /*v305*/, 0x32a5705f, v47
	s_set_vgpr_msb 4                        ;  msbs: dst=0 src0=0 src1=1 src2=0
	v_dual_sub_f32 v227, v227, v50 /*v306*/ :: v_dual_sub_f32 v226, v226, v48 /*v304*/
	s_set_vgpr_msb 64                       ;  msbs: dst=1 src0=0 src1=0 src2=0
	v_rndne_f32_e32 v17 /*v273*/, v43
	s_set_vgpr_msb 0x41                     ;  msbs: dst=1 src0=1 src1=0 src2=0
	v_cvt_i32_f32_e32 v15 /*v271*/, v15 /*v271*/
	s_set_vgpr_msb 4                        ;  msbs: dst=0 src0=0 src1=1 src2=0
	v_dual_add_f32 v227, v227, v49 /*v305*/ :: v_dual_add_f32 v226, v226, v20 /*v276*/
	s_set_vgpr_msb 0x41                     ;  msbs: dst=1 src0=1 src1=0 src2=0
	v_cvt_i32_f32_e32 v20 /*v276*/, v48 /*v304*/
	v_cvt_i32_f32_e32 v48 /*v304*/, v50 /*v306*/
	s_set_vgpr_msb 4                        ;  msbs: dst=0 src0=0 src1=1 src2=0
	v_sub_f32_e32 v43, v43, v17 /*v273*/
	v_exp_f32_e32 v227, v227
	v_exp_f32_e32 v226, v226
	s_delay_alu instid0(TRANS32_DEP_2)
	v_ldexp_f32 v227, v227, v48 /*v304*/
	s_set_vgpr_msb 64                       ;  msbs: dst=1 src0=0 src1=0 src2=0
	s_clause 0x7
	global_load_b32 v48 /*v304*/, v[38:39], off offset:2
	global_load_b32 v49 /*v305*/, v[34:35], off offset:6
	;; [unrolled: 1-line block ×3, first 2 shown]
	global_load_u16 v51 /*v307*/, v[38:39], off
	global_load_b32 v52 /*v308*/, v[32:33], off offset:2
	global_load_u16 v53 /*v309*/, v[32:33], off
	global_load_b32 v54 /*v310*/, v[36:37], off offset:2
	global_load_u16 v55 /*v311*/, v[36:37], off
	s_set_vgpr_msb 4                        ;  msbs: dst=0 src0=0 src1=1 src2=0
	v_ldexp_f32 v226, v226, v20 /*v276*/
	s_set_vgpr_msb 64                       ;  msbs: dst=1 src0=0 src1=0 src2=0
	v_fmac_f32_e32 v16 /*v272*/, 0x32a5705f, v45
	s_set_vgpr_msb 4                        ;  msbs: dst=0 src0=0 src1=1 src2=0
	v_add_f32_e32 v42, v42, v14 /*v270*/
	s_set_vgpr_msb 0x41                     ;  msbs: dst=1 src0=1 src1=0 src2=0
	v_cvt_i32_f32_e32 v14 /*v270*/, v17 /*v273*/
	s_set_vgpr_msb 4                        ;  msbs: dst=0 src0=0 src1=1 src2=0
	v_add_f32_e32 v43, v43, v16 /*v272*/
	s_set_vgpr_msb 64                       ;  msbs: dst=1 src0=0 src1=0 src2=0
	v_exp_f32_e32 v16 /*v272*/, v42
	s_delay_alu instid0(VALU_DEP_1) | instskip(SKIP_4) | instid1(TRANS32_DEP_2)
	v_exp_f32_e32 v17 /*v273*/, v43
	v_nop
	s_set_vgpr_msb 0                        ;  msbs: dst=0 src0=0 src1=0 src2=0
	v_add_nc_u64_e32 v[42:43], v[38:39], v[188:189]
	s_set_vgpr_msb 0x45                     ;  msbs: dst=1 src0=1 src1=1 src2=0
	v_ldexp_f32 v15 /*v271*/, v16 /*v272*/, v15 /*v271*/
	s_delay_alu instid0(TRANS32_DEP_1) | instskip(NEXT) | instid1(VALU_DEP_2)
	v_ldexp_f32 v14 /*v270*/, v17 /*v273*/, v14 /*v270*/
	v_cndmask_b32_e32 v15 /*v271*/, 0, v15 /*v271*/, vcc_lo
	s_set_vgpr_msb 0                        ;  msbs: dst=0 src0=0 src1=0 src2=0
	v_cmp_ngt_f32_e32 vcc_lo, 0xc2ce8ed0, v45
	s_set_vgpr_msb 0x44                     ;  msbs: dst=1 src0=0 src1=1 src2=0
	v_cndmask_b32_e32 v16 /*v272*/, 0, v14 /*v270*/, vcc_lo
	s_set_vgpr_msb 64                       ;  msbs: dst=1 src0=0 src1=0 src2=0
	v_cmp_ngt_f32_e32 vcc_lo, 0xc2ce8ed0, v46
	v_cndmask_b32_e32 v17 /*v273*/, 0, v226, vcc_lo
	v_cmp_ngt_f32_e32 vcc_lo, 0xc2ce8ed0, v47
	s_set_vgpr_msb 0                        ;  msbs: dst=0 src0=0 src1=0 src2=0
	v_cndmask_b32_e32 v227, 0, v227, vcc_lo
	v_cmp_nlt_f32_e32 vcc_lo, 0x42b17218, v44
	s_set_vgpr_msb 0x44                     ;  msbs: dst=1 src0=0 src1=1 src2=0
	v_cndmask_b32_e32 v14 /*v270*/, 0x7f800000, v15 /*v271*/, vcc_lo
	s_set_vgpr_msb 1                        ;  msbs: dst=0 src0=1 src1=0 src2=0
	v_cmp_nlt_f32_e32 vcc_lo, 0x42b17218, v45
	s_delay_alu instid0(VALU_DEP_2)
	v_cvt_f16_f32_e64 v45, v14 /*v270*/
	s_set_vgpr_msb 4                        ;  msbs: dst=0 src0=0 src1=1 src2=0
	v_cndmask_b32_e32 v226, 0x7f800000, v16 /*v272*/, vcc_lo
	s_set_vgpr_msb 0                        ;  msbs: dst=0 src0=0 src1=0 src2=0
	v_cmp_nlt_f32_e32 vcc_lo, 0x42b17218, v47
	s_wait_xcnt 0x2
	v_and_b32_e32 v32, 0xffff, v45
	v_cvt_f16_f32_e64 v44, v226
	v_cndmask_b32_e32 v227, 0x7f800000, v227, vcc_lo
	v_cmp_nlt_f32_e32 vcc_lo, 0x42b17218, v46
	s_delay_alu instid0(VALU_DEP_2)
	v_cvt_f16_f32_e64 v46, v227
	s_set_vgpr_msb 0x44                     ;  msbs: dst=1 src0=0 src1=1 src2=0
	v_cndmask_b32_e32 v15 /*v271*/, 0x7f800000, v17 /*v273*/, vcc_lo
	s_set_vgpr_msb 0x41                     ;  msbs: dst=1 src0=1 src1=0 src2=0
	v_add_nc_u64_e32 v[16:17] /*v[272:273]*/, v[24:25] /*v[280:281]*/, v[190:191]
	s_set_vgpr_msb 0                        ;  msbs: dst=0 src0=0 src1=0 src2=0
	ds_store_b16 v238, v44
	ds_store_b16 v238, v46 offset:256
	s_wait_loadcnt 0x1b
	s_set_vgpr_msb 0x45                     ;  msbs: dst=1 src0=1 src1=1 src2=0
	v_mul_u32_u24_e32 v28 /*v284*/, 0x10001, v28 /*v284*/
	s_wait_loadcnt 0x1a
	v_ashrrev_i32_e32 v29 /*v285*/, v2 /*v258*/, v29 /*v285*/
	v_mul_u32_u24_e32 v19 /*v275*/, 0x10001, v19 /*v275*/
	s_wait_loadcnt 0x18
	s_set_vgpr_msb 0x44                     ;  msbs: dst=1 src0=0 src1=1 src2=0
	v_lshrrev_b32_e32 v68 /*v324*/, v254, v31 /*v287*/
	s_set_vgpr_msb 1                        ;  msbs: dst=0 src0=1 src1=0 src2=0
	v_cvt_f16_f32_e64 v47, v15 /*v271*/
	s_set_vgpr_msb 4                        ;  msbs: dst=0 src0=0 src1=1 src2=0
	v_pk_fma_f32 v[52:53], v[52:53], v[14:15] /*v[270:271]*/, v[226:227]
	s_set_vgpr_msb 0x45                     ;  msbs: dst=1 src0=1 src1=1 src2=0
	v_lshrrev_b32_e32 v70 /*v326*/, v4 /*v260*/, v31 /*v287*/
	v_and_b32_e32 v29 /*v285*/, 0xf0f0f0f, v29 /*v285*/
	v_mul_u32_u24_e32 v30 /*v286*/, 0x10001, v30 /*v286*/
	s_set_vgpr_msb 0                        ;  msbs: dst=0 src0=0 src1=0 src2=0
	v_and_b32_e32 v33, 0xffff, v47
	ds_load_b128 v[44:47], v246
	s_set_vgpr_msb 64                       ;  msbs: dst=1 src0=0 src1=0 src2=0
	s_clause 0x4
	global_load_b32 v56 /*v312*/, v[42:43], off offset:6
	s_set_vgpr_msb 0x41                     ;  msbs: dst=1 src0=1 src1=0 src2=0
	global_load_b32 v57 /*v313*/, v[16:17] /*v[272:273]*/, off offset:6
	global_load_u16 v58 /*v314*/, v[26:27] /*v[282:283]*/, off
	global_load_b32 v59 /*v315*/, v[24:25] /*v[280:281]*/, off offset:2
	s_wait_xcnt 0x3
	s_set_vgpr_msb 0                        ;  msbs: dst=0 src0=0 src1=0 src2=0
	ds_load_b128 v[40:43], v246 offset:256
	s_wait_xcnt 0x2
	s_set_vgpr_msb 64                       ;  msbs: dst=1 src0=0 src1=0 src2=0
	v_mul_u32_u24_e32 v16 /*v272*/, 0x10001, v32
	s_set_vgpr_msb 0                        ;  msbs: dst=0 src0=0 src1=0 src2=0
	v_mul_u32_u24_e32 v227, 0x10001, v33
	s_wait_loadcnt 0x18
	s_set_vgpr_msb 0x44                     ;  msbs: dst=1 src0=0 src1=1 src2=0
	v_dual_lshrrev_b32 v17 /*v273*/, v254, v21 /*v277*/ :: v_dual_lshrrev_b32 v71 /*v327*/, v254, v35 /*v291*/
	s_set_vgpr_msb 0x45                     ;  msbs: dst=1 src0=1 src1=1 src2=0
	v_dual_ashrrev_i32 v33 /*v289*/, v2 /*v258*/, v33 /*v289*/ :: v_dual_lshrrev_b32 v72 /*v328*/, v3 /*v259*/, v35 /*v291*/
	s_wait_dscnt 0x4
	s_set_vgpr_msb 0x41                     ;  msbs: dst=1 src0=1 src1=0 src2=0
	v_pk_mul_f16 v12 /*v268*/, v12 /*v268*/, v227
	v_pk_mul_f16 v13 /*v269*/, v13 /*v269*/, v227
	v_pk_mul_f16 v10 /*v266*/, v10 /*v266*/, v227
	s_set_vgpr_msb 1                        ;  msbs: dst=0 src0=1 src1=0 src2=0
	v_pk_mul_f16 v227, v11 /*v267*/, v227
	s_set_vgpr_msb 0x45                     ;  msbs: dst=1 src0=1 src1=1 src2=0
	v_pk_mul_f16 v6 /*v262*/, v6 /*v262*/, v16 /*v272*/
	v_pk_mul_f16 v7 /*v263*/, v7 /*v263*/, v16 /*v272*/
	;; [unrolled: 1-line block ×4, first 2 shown]
	v_dual_lshrrev_b32 v73 /*v329*/, v4 /*v260*/, v35 /*v291*/ :: v_dual_lshrrev_b32 v35 /*v291*/, v5 /*v261*/, v35 /*v291*/
	s_wait_loadcnt 0x14
	v_dual_ashrrev_i32 v37 /*v293*/, v2 /*v258*/, v37 /*v293*/ :: v_dual_lshrrev_b32 v75 /*v331*/, v3 /*v259*/, v39 /*v295*/
	s_wait_dscnt 0x1
	s_set_vgpr_msb 64                       ;  msbs: dst=1 src0=0 src1=0 src2=0
	v_dual_lshrrev_b32 v11 /*v267*/, 16, v44 :: v_dual_lshrrev_b32 v62 /*v318*/, 16, v47
	s_wait_dscnt 0x0
	v_dual_lshrrev_b32 v14 /*v270*/, 16, v40 :: v_dual_lshrrev_b32 v60 /*v316*/, 16, v45
	v_dual_lshrrev_b32 v61 /*v317*/, 16, v46 :: v_dual_lshrrev_b32 v65 /*v321*/, 16, v43
	s_set_vgpr_msb 0                        ;  msbs: dst=0 src0=0 src1=0 src2=0
	v_and_b32_e32 v45, 0xffff, v45
	s_set_vgpr_msb 0x44                     ;  msbs: dst=1 src0=0 src1=1 src2=0
	v_mul_u32_u24_e32 v16 /*v272*/, 0x10001, v11 /*v267*/
	v_mul_u32_u24_e32 v20 /*v276*/, 0x10001, v14 /*v270*/
	s_set_vgpr_msb 64                       ;  msbs: dst=1 src0=0 src1=0 src2=0
	v_lshrrev_b32_e32 v11 /*v267*/, v254, v133
	s_set_vgpr_msb 0x41                     ;  msbs: dst=1 src0=1 src1=0 src2=0
	v_dual_lshrrev_b32 v14 /*v270*/, v3 /*v259*/, v133 :: v_dual_lshrrev_b32 v15 /*v271*/, v4 /*v260*/, v133
	v_mul_u32_u24_e32 v66 /*v322*/, 0x10001, v45
	s_set_vgpr_msb 0x45                     ;  msbs: dst=1 src0=1 src1=1 src2=0
	v_lshrrev_b32_e32 v67 /*v323*/, v4 /*v260*/, v21 /*v277*/
	s_set_vgpr_msb 4                        ;  msbs: dst=0 src0=0 src1=1 src2=0
	v_lshlrev_b32_e32 v45, 4, v11 /*v267*/
	s_set_vgpr_msb 0x45                     ;  msbs: dst=1 src0=1 src1=1 src2=0
	v_dual_lshlrev_b32 v11 /*v267*/, 12, v14 /*v270*/ :: v_dual_lshlrev_b32 v14 /*v270*/, 20, v15 /*v271*/
	v_dual_ashrrev_i32 v15 /*v271*/, v2 /*v258*/, v18 /*v274*/ :: v_dual_lshrrev_b32 v18 /*v274*/, v3 /*v259*/, v21 /*v277*/
	v_dual_lshrrev_b32 v21 /*v277*/, v5 /*v261*/, v21 /*v277*/ :: v_dual_lshrrev_b32 v69 /*v325*/, v3 /*v259*/, v31 /*v287*/
	v_dual_lshrrev_b32 v31 /*v287*/, v5 /*v261*/, v31 /*v287*/ :: v_dual_ashrrev_i32 v32 /*v288*/, v2 /*v258*/, v32 /*v288*/
	s_set_vgpr_msb 1                        ;  msbs: dst=0 src0=1 src1=0 src2=0
	v_lshrrev_b32_e32 v133, v5 /*v261*/, v133
	s_set_vgpr_msb 0x44                     ;  msbs: dst=1 src0=0 src1=1 src2=0
	v_dual_lshlrev_b32 v17 /*v273*/, 4, v17 /*v273*/ :: v_dual_lshlrev_b32 v18 /*v274*/, 12, v18 /*v274*/
	v_dual_lshlrev_b32 v67 /*v323*/, 20, v67 /*v323*/ :: v_dual_lshlrev_b32 v21 /*v277*/, 28, v21 /*v277*/
	;; [unrolled: 1-line block ×3, first 2 shown]
	s_set_vgpr_msb 0                        ;  msbs: dst=0 src0=0 src1=0 src2=0
	v_lshlrev_b32_e32 v133, 28, v133
	s_wait_loadcnt 0x11
	s_set_vgpr_msb 0x44                     ;  msbs: dst=1 src0=0 src1=1 src2=0
	v_dual_lshrrev_b32 v74 /*v330*/, v254, v39 /*v295*/ :: v_dual_lshrrev_b32 v77 /*v333*/, v254, v42 /*v298*/
	s_set_vgpr_msb 0x45                     ;  msbs: dst=1 src0=1 src1=1 src2=0
	v_dual_lshrrev_b32 v76 /*v332*/, v4 /*v260*/, v39 /*v295*/ :: v_dual_lshrrev_b32 v39 /*v295*/, v5 /*v261*/, v39 /*v295*/
	v_and_b32_e32 v15 /*v271*/, 0xf0f0f0f, v15 /*v271*/
	v_dual_lshlrev_b32 v68 /*v324*/, 4, v68 /*v324*/ :: v_dual_lshlrev_b32 v69 /*v325*/, 12, v69 /*v325*/
	v_and_b32_e32 v17 /*v273*/, 16, v17 /*v273*/
	v_and_b32_e32 v18 /*v274*/, 0x1000, v18 /*v274*/
	;; [unrolled: 1-line block ×6, first 2 shown]
	s_set_vgpr_msb 0                        ;  msbs: dst=0 src0=0 src1=0 src2=0
	v_and_b32_e32 v45, 16, v45
	s_set_vgpr_msb 0x44                     ;  msbs: dst=1 src0=0 src1=1 src2=0
	v_and_b32_e32 v11 /*v267*/, 0x1000, v11 /*v267*/
	v_and_b32_e32 v14 /*v270*/, 0x100000, v14 /*v270*/
	s_set_vgpr_msb 0                        ;  msbs: dst=0 src0=0 src1=0 src2=0
	v_and_b32_e32 v133, 0x10000000, v133
	s_set_vgpr_msb 0x55                     ;  msbs: dst=1 src0=1 src1=1 src2=1
	v_and_b32_e32 v32 /*v288*/, 0xf0f0f0f, v32 /*v288*/
	v_dual_lshlrev_b32 v71 /*v327*/, 4, v71 /*v327*/ :: v_dual_lshlrev_b32 v72 /*v328*/, 12, v72 /*v328*/
	v_dual_lshlrev_b32 v73 /*v329*/, 20, v73 /*v329*/ :: v_dual_lshlrev_b32 v35 /*v291*/, 28, v35 /*v291*/
	;; [unrolled: 1-line block ×3, first 2 shown]
	v_and_b32_e32 v69 /*v325*/, 0x1000, v69 /*v325*/
	v_or3_b32 v17 /*v273*/, v17 /*v273*/, v15 /*v271*/, v18 /*v274*/
	v_or3_b32 v15 /*v271*/, v15 /*v271*/, v67 /*v323*/, v21 /*v277*/
	;; [unrolled: 1-line block ×3, first 2 shown]
	v_and_b32_e32 v68 /*v324*/, 16, v68 /*v324*/
	v_and_b32_e32 v33 /*v289*/, 0xf0f0f0f, v33 /*v289*/
	;; [unrolled: 1-line block ×3, first 2 shown]
	v_dual_lshlrev_b32 v74 /*v330*/, 4, v74 /*v330*/ :: v_dual_lshlrev_b32 v75 /*v331*/, 12, v75 /*v331*/
	s_set_vgpr_msb 20                       ;  msbs: dst=0 src0=0 src1=1 src2=1
	v_or3_b32 v45, v45, v32 /*v288*/, v11 /*v267*/
	s_set_vgpr_msb 5                        ;  msbs: dst=0 src0=1 src1=1 src2=0
	v_or3_b32 v133, v32 /*v288*/, v14 /*v270*/, v133
	s_set_vgpr_msb 0x55                     ;  msbs: dst=1 src0=1 src1=1 src2=1
	v_and_b32_e32 v11 /*v267*/, 16, v71 /*v327*/
	v_and_b32_e32 v14 /*v270*/, 0x1000, v72 /*v328*/
	;; [unrolled: 1-line block ×6, first 2 shown]
	v_lshrrev_b32_e32 v21 /*v277*/, 16, v21 /*v277*/
	v_or3_b32 v18 /*v274*/, v68 /*v324*/, v29 /*v285*/, v69 /*v325*/
	v_and_b32_e32 v72 /*v328*/, 0x1000, v75 /*v331*/
	s_set_vgpr_msb 0                        ;  msbs: dst=0 src0=0 src1=0 src2=0
	v_lshrrev_b32_e32 v133, 16, v133
	s_set_vgpr_msb 64                       ;  msbs: dst=1 src0=0 src1=0 src2=0
	v_lshlrev_b16 v29 /*v285*/, 8, v45
	s_set_vgpr_msb 0x55                     ;  msbs: dst=1 src0=1 src1=1 src2=1
	v_or3_b32 v11 /*v267*/, v11 /*v267*/, v33 /*v289*/, v14 /*v270*/
	v_or3_b32 v14 /*v270*/, v33 /*v289*/, v32 /*v288*/, v35 /*v291*/
	;; [unrolled: 1-line block ×3, first 2 shown]
	v_dual_lshrrev_b32 v15 /*v271*/, 16, v15 /*v271*/ :: v_dual_bitop2_b32 v71 /*v327*/, 16, v74 /*v330*/ bitop3:0x40
	v_lshlrev_b16 v33 /*v289*/, 8, v17 /*v273*/
	v_lshlrev_b16 v35 /*v291*/, 8, v18 /*v274*/
	v_add_nc_u16 v29 /*v285*/, 0xf000, v29 /*v285*/
	v_lshrrev_b32_e32 v14 /*v270*/, 16, v14 /*v270*/
	v_lshlrev_b16 v39 /*v295*/, 8, v11 /*v267*/
	v_lshrrev_b32_e32 v32 /*v288*/, 16, v32 /*v288*/
	v_or3_b32 v31 /*v287*/, v71 /*v327*/, v37 /*v293*/, v72 /*v328*/
	s_set_vgpr_msb 64                       ;  msbs: dst=1 src0=0 src1=0 src2=0
	v_lshlrev_b16 v37 /*v293*/, 8, v133
	s_set_vgpr_msb 0                        ;  msbs: dst=0 src0=0 src1=0 src2=0
	v_and_b32_e32 v133, 0x1f00, v133
	s_set_vgpr_msb 0x45                     ;  msbs: dst=1 src0=1 src1=1 src2=0
	v_add_nc_u16 v33 /*v289*/, 0xf000, v33 /*v289*/
	v_lshlrev_b16 v68 /*v324*/, 8, v15 /*v271*/
	v_and_b32_e32 v15 /*v271*/, 0x1f00, v15 /*v271*/
	v_add_nc_u16 v35 /*v291*/, 0xf000, v35 /*v291*/
	v_dual_ashrrev_i32 v40 /*v296*/, v2 /*v258*/, v40 /*v296*/ :: v_dual_lshrrev_b32 v78 /*v334*/, v3 /*v259*/, v42 /*v298*/
	v_lshlrev_b32_e32 v77 /*v333*/, 4, v77 /*v333*/
	v_lshlrev_b16 v67 /*v323*/, 8, v31 /*v287*/
	v_lshlrev_b16 v69 /*v325*/, 8, v21 /*v277*/
	v_and_b32_e32 v21 /*v277*/, 0x1f00, v21 /*v277*/
	v_lshrrev_b16 v29 /*v285*/, 8, v29 /*v285*/
	v_add_nc_u16 v37 /*v293*/, 0xf000, v37 /*v293*/
	s_set_vgpr_msb 0                        ;  msbs: dst=0 src0=0 src1=0 src2=0
	v_add_nc_u16 v133, 0xf000, v133
	s_set_vgpr_msb 0x44                     ;  msbs: dst=1 src0=0 src1=1 src2=0
	v_add_nc_u16 v39 /*v295*/, 0xf000, v39 /*v295*/
	v_lshlrev_b16 v70 /*v326*/, 8, v14 /*v270*/
	v_and_b32_e32 v14 /*v270*/, 0x1f00, v14 /*v270*/
	v_lshrrev_b16 v33 /*v289*/, 8, v33 /*v289*/
	v_add_nc_u16 v15 /*v271*/, 0xf000, v15 /*v271*/
	v_lshrrev_b16 v35 /*v291*/, 8, v35 /*v291*/
	v_dual_lshlrev_b32 v78 /*v334*/, 12, v78 /*v334*/ :: v_dual_bitop2_b32 v74 /*v330*/, 16, v77 /*v333*/ bitop3:0x40
	v_add_nc_u16 v67 /*v323*/, 0xf000, v67 /*v323*/
	v_add_nc_u16 v68 /*v324*/, 0xf000, v68 /*v324*/
	;; [unrolled: 1-line block ×3, first 2 shown]
	s_set_vgpr_msb 4                        ;  msbs: dst=0 src0=0 src1=1 src2=0
	v_bitop3_b16 v45, v45, v29 /*v285*/, 0x1f00 bitop3:0xec
	s_set_vgpr_msb 0                        ;  msbs: dst=0 src0=0 src1=0 src2=0
	v_lshrrev_b32_e32 v133, 8, v133
	s_set_vgpr_msb 0x45                     ;  msbs: dst=1 src0=1 src1=1 src2=0
	v_ashrrev_i16 v29 /*v285*/, 8, v37 /*v293*/
	v_lshrrev_b16 v37 /*v293*/, 8, v39 /*v295*/
	v_add_nc_u16 v14 /*v270*/, 0xf000, v14 /*v270*/
	v_bitop3_b16 v17 /*v273*/, v17 /*v273*/, v33 /*v289*/, 0x1f00 bitop3:0xec
	v_lshrrev_b32_e32 v15 /*v271*/, 8, v15 /*v271*/
	v_bitop3_b16 v18 /*v274*/, v18 /*v274*/, v35 /*v291*/, 0x1f00 bitop3:0xec
	v_add_nc_u16 v69 /*v325*/, 0xf000, v69 /*v325*/
	v_add_nc_u16 v39 /*v295*/, 0xf000, v70 /*v326*/
	v_lshrrev_b16 v67 /*v323*/, 8, v67 /*v323*/
	v_ashrrev_i16 v33 /*v289*/, 8, v68 /*v324*/
	v_dual_lshrrev_b32 v21 /*v277*/, 8, v21 /*v277*/ :: v_dual_lshrrev_b32 v14 /*v270*/, 8, v14 /*v270*/
	s_set_vgpr_msb 0                        ;  msbs: dst=0 src0=0 src1=0 src2=0
	v_add_nc_u16 v45, 0xf000, v45
	v_bfe_i32 v133, v133, 0, 8
	s_set_vgpr_msb 0x45                     ;  msbs: dst=1 src0=1 src1=1 src2=0
	v_bitop3_b16 v11 /*v267*/, v11 /*v267*/, v37 /*v293*/, 0x1f00 bitop3:0xec
	v_add_nc_u16 v17 /*v273*/, 0xf000, v17 /*v273*/
	v_bfe_i32 v15 /*v271*/, v15 /*v271*/, 0, 8
	v_add_nc_u16 v18 /*v274*/, 0xf000, v18 /*v274*/
	v_ashrrev_i16 v35 /*v291*/, 8, v69 /*v325*/
	v_cvt_f16_i16_e64 v29 /*v285*/, v29 /*v285*/
	v_ashrrev_i16 v37 /*v293*/, 8, v39 /*v295*/
	v_bitop3_b16 v31 /*v287*/, v31 /*v287*/, v67 /*v323*/, 0x1f00 bitop3:0xec
	v_cvt_f16_i16_e64 v33 /*v289*/, v33 /*v289*/
	v_bfe_i32 v21 /*v277*/, v21 /*v277*/, 0, 8
	s_set_vgpr_msb 64                       ;  msbs: dst=1 src0=0 src1=0 src2=0
	v_lshrrev_b32_e32 v39 /*v295*/, 8, v45
	s_set_vgpr_msb 0                        ;  msbs: dst=0 src0=0 src1=0 src2=0
	v_cvt_f16_i16_e64 v133, v133
	s_set_vgpr_msb 0x44                     ;  msbs: dst=1 src0=0 src1=1 src2=0
	v_add_nc_u16 v11 /*v267*/, 0xf000, v11 /*v267*/
	s_set_vgpr_msb 0x41                     ;  msbs: dst=1 src0=1 src1=0 src2=0
	v_bfe_i32 v14 /*v270*/, v14 /*v270*/, 0, 8
	s_set_vgpr_msb 0x44                     ;  msbs: dst=1 src0=0 src1=1 src2=0
	v_dual_lshrrev_b32 v67 /*v323*/, 8, v17 /*v273*/ :: v_dual_lshrrev_b32 v68 /*v324*/, 8, v18 /*v274*/
	s_set_vgpr_msb 0x41                     ;  msbs: dst=1 src0=1 src1=0 src2=0
	v_cvt_f16_i16_e64 v15 /*v271*/, v15 /*v271*/
	s_set_vgpr_msb 0                        ;  msbs: dst=0 src0=0 src1=0 src2=0
	v_and_b32_e32 v40, 0xffff, v40
	s_set_vgpr_msb 0x41                     ;  msbs: dst=1 src0=1 src1=0 src2=0
	v_cvt_f16_i16_e64 v35 /*v291*/, v35 /*v291*/
	s_set_vgpr_msb 0                        ;  msbs: dst=0 src0=0 src1=0 src2=0
	v_bfe_i32 v45, v45, 0, 8
	s_set_vgpr_msb 0x41                     ;  msbs: dst=1 src0=1 src1=0 src2=0
	v_cvt_f16_i16_e64 v37 /*v293*/, v37 /*v293*/
	v_bfe_i32 v17 /*v273*/, v17 /*v273*/, 0, 8
	v_bfe_i32 v18 /*v274*/, v18 /*v274*/, 0, 8
	v_cvt_f16_i16_e64 v21 /*v277*/, v21 /*v277*/
	v_bfe_i32 v39 /*v295*/, v39 /*v295*/, 0, 8
	s_set_vgpr_msb 1                        ;  msbs: dst=0 src0=1 src1=0 src2=0
	v_pack_b32_f16 v133, v29 /*v285*/, v133
	s_set_vgpr_msb 0x44                     ;  msbs: dst=1 src0=0 src1=1 src2=0
	v_lshrrev_b32_e32 v29 /*v285*/, 8, v11 /*v267*/
	s_set_vgpr_msb 0x45                     ;  msbs: dst=1 src0=1 src1=1 src2=0
	v_bfe_i32 v11 /*v267*/, v11 /*v267*/, 0, 8
	v_cvt_f16_i16_e64 v14 /*v270*/, v14 /*v270*/
	v_bfe_i32 v67 /*v323*/, v67 /*v323*/, 0, 8
	v_pack_b32_f16 v15 /*v271*/, v33 /*v289*/, v15 /*v271*/
	v_bfe_i32 v33 /*v289*/, v68 /*v324*/, 0, 8
	s_set_vgpr_msb 0                        ;  msbs: dst=0 src0=0 src1=0 src2=0
	v_and_b32_e32 v44, 0xffff, v44
	v_mul_u32_u24_e32 v40, 0x10001, v40
	s_set_vgpr_msb 0x44                     ;  msbs: dst=1 src0=0 src1=1 src2=0
	v_mul_u32_u24_e32 v36 /*v292*/, 0x10001, v36 /*v292*/
	s_set_vgpr_msb 0                        ;  msbs: dst=0 src0=0 src1=0 src2=0
	v_cvt_f16_i16_e32 v45, v45
	s_set_vgpr_msb 0x45                     ;  msbs: dst=1 src0=1 src1=1 src2=0
	v_cvt_f16_i16_e64 v17 /*v273*/, v17 /*v273*/
	v_cvt_f16_i16_e64 v18 /*v274*/, v18 /*v274*/
	v_pack_b32_f16 v21 /*v277*/, v35 /*v291*/, v21 /*v277*/
	v_cvt_f16_i16_e64 v35 /*v291*/, v39 /*v295*/
	v_bfe_i32 v29 /*v285*/, v29 /*v285*/, 0, 8
	v_cvt_f16_i16_e64 v39 /*v295*/, v11 /*v267*/
	v_pack_b32_f16 v11 /*v267*/, v37 /*v293*/, v14 /*v270*/
	v_cvt_f16_i16_e64 v14 /*v270*/, v67 /*v323*/
	v_pk_mul_f16 v15 /*v271*/, v15 /*v271*/, v28 /*v284*/
	v_cvt_f16_i16_e64 v33 /*v289*/, v33 /*v289*/
	s_set_vgpr_msb 0                        ;  msbs: dst=0 src0=0 src1=0 src2=0
	v_mul_u32_u24_e32 v44, 0x10001, v44
	s_set_vgpr_msb 4                        ;  msbs: dst=0 src0=0 src1=1 src2=0
	v_pack_b32_f16 v45, v45, v35 /*v291*/
	s_set_vgpr_msb 0x45                     ;  msbs: dst=1 src0=1 src1=1 src2=0
	v_cvt_f16_i16_e64 v29 /*v285*/, v29 /*v285*/
	v_pk_mul_f16 v35 /*v291*/, v11 /*v267*/, v36 /*v292*/
	v_pack_b32_f16 v14 /*v270*/, v17 /*v273*/, v14 /*v270*/
	s_set_vgpr_msb 0x41                     ;  msbs: dst=1 src0=1 src1=0 src2=0
	v_pk_fma_f16 v11 /*v267*/, v15 /*v271*/, v40, v227
	s_set_vgpr_msb 5                        ;  msbs: dst=0 src0=1 src1=1 src2=0
	v_pack_b32_f16 v227, v18 /*v274*/, v33 /*v289*/
	s_set_vgpr_msb 4                        ;  msbs: dst=0 src0=0 src1=1 src2=0
	v_pk_mul_f16 v133, v133, v30 /*v286*/
	s_set_vgpr_msb 0x45                     ;  msbs: dst=1 src0=1 src1=1 src2=0
	v_pk_mul_f16 v21 /*v277*/, v21 /*v277*/, v19 /*v275*/
	s_set_vgpr_msb 0x51                     ;  msbs: dst=1 src0=1 src1=0 src2=1
	v_pk_fma_f16 v7 /*v263*/, v15 /*v271*/, v44, v7 /*v263*/
	s_set_vgpr_msb 0x45                     ;  msbs: dst=1 src0=1 src1=1 src2=0
	v_pack_b32_f16 v17 /*v273*/, v39 /*v295*/, v29 /*v285*/
	v_pk_mul_f16 v14 /*v270*/, v14 /*v270*/, v28 /*v284*/
	s_set_vgpr_msb 4                        ;  msbs: dst=0 src0=0 src1=1 src2=0
	v_pk_mul_f16 v227, v227, v19 /*v275*/
	s_set_vgpr_msb 0x44                     ;  msbs: dst=1 src0=0 src1=1 src2=0
	v_and_b32_e32 v40 /*v296*/, 0xf0f0f0f, v40 /*v296*/
	v_and_b32_e32 v75 /*v331*/, 0x1000, v78 /*v334*/
	s_set_vgpr_msb 0x51                     ;  msbs: dst=1 src0=1 src1=0 src2=1
	v_pk_fma_f16 v9 /*v265*/, v21 /*v277*/, v44, v9 /*v265*/
	s_set_vgpr_msb 4                        ;  msbs: dst=0 src0=0 src1=1 src2=0
	v_pk_mul_f16 v45, v45, v30 /*v286*/
	s_set_vgpr_msb 0x54                     ;  msbs: dst=1 src0=0 src1=1 src2=1
	v_pk_fma_f16 v15 /*v271*/, v133, v16 /*v272*/, v7 /*v263*/
	v_pk_fma_f16 v19 /*v275*/, v133, v20 /*v276*/, v11 /*v267*/
	s_set_vgpr_msb 5                        ;  msbs: dst=0 src0=1 src1=1 src2=0
	v_pk_mul_f16 v133, v17 /*v273*/, v36 /*v292*/
	s_set_vgpr_msb 0x51                     ;  msbs: dst=1 src0=1 src1=0 src2=1
	v_pk_fma_f16 v6 /*v262*/, v14 /*v270*/, v44, v6 /*v262*/
	s_set_vgpr_msb 0x50                     ;  msbs: dst=1 src0=0 src1=0 src2=1
	v_pk_fma_f16 v8 /*v264*/, v227, v44, v8 /*v264*/
	s_set_vgpr_msb 4                        ;  msbs: dst=0 src0=0 src1=1 src2=0
	ds_load_b128 v[36:39], v246 offset:16
	ds_load_b128 v[32:35], v246 offset:272
	ds_store_b64 v239, v[12:13] /*v[268:269]*/ offset:24
	s_set_vgpr_msb 0x51                     ;  msbs: dst=1 src0=1 src1=0 src2=1
	v_pk_fma_f16 v13 /*v269*/, v21 /*v277*/, v40, v13 /*v269*/
	v_pk_fma_f16 v10 /*v266*/, v14 /*v270*/, v40, v10 /*v266*/
	s_set_vgpr_msb 0x50                     ;  msbs: dst=1 src0=0 src1=0 src2=1
	v_pk_fma_f16 v12 /*v268*/, v227, v40, v12 /*v268*/
	s_set_vgpr_msb 0x44                     ;  msbs: dst=1 src0=0 src1=1 src2=0
	v_lshlrev_b16 v71 /*v327*/, 8, v32 /*v288*/
	v_and_b32_e32 v32 /*v288*/, 0x1f00, v32 /*v288*/
	s_set_vgpr_msb 21                       ;  msbs: dst=0 src0=1 src1=1 src2=1
	v_or3_b32 v44, v74 /*v330*/, v40 /*v296*/, v75 /*v331*/
	s_set_vgpr_msb 0x55                     ;  msbs: dst=1 src0=1 src1=1 src2=1
	v_pk_fma_f16 v17 /*v273*/, v35 /*v291*/, v16 /*v272*/, v9 /*v265*/
	s_set_vgpr_msb 0x54                     ;  msbs: dst=1 src0=0 src1=1 src2=1
	v_pk_fma_f16 v14 /*v270*/, v45, v16 /*v272*/, v6 /*v262*/
	v_pk_fma_f16 v16 /*v272*/, v133, v16 /*v272*/, v8 /*v264*/
	s_set_vgpr_msb 0x55                     ;  msbs: dst=1 src0=1 src1=1 src2=1
	v_pk_fma_f16 v21 /*v277*/, v35 /*v291*/, v20 /*v276*/, v13 /*v269*/
	s_set_vgpr_msb 0x54                     ;  msbs: dst=1 src0=0 src1=1 src2=1
	v_pk_fma_f16 v18 /*v274*/, v45, v20 /*v276*/, v10 /*v266*/
	v_pk_fma_f16 v20 /*v276*/, v133, v20 /*v276*/, v12 /*v268*/
	v_add_nc_u16 v31 /*v287*/, 0xf000, v31 /*v287*/
	ds_store_b128 v239, v[6:9] /*v[262:265]*/
	ds_store_b128 v239, v[10:13] /*v[266:269]*/ offset:16
	ds_store_b128 v239, v[14:17] /*v[270:273]*/
	ds_store_b128 v239, v[18:21] /*v[274:277]*/ offset:16
	s_set_vgpr_msb 4                        ;  msbs: dst=0 src0=0 src1=1 src2=0
	v_add_nc_u16 v133, 0xf000, v32 /*v288*/
	s_set_vgpr_msb 64                       ;  msbs: dst=1 src0=0 src1=0 src2=0
	v_lshlrev_b16 v6 /*v262*/, 8, v44
	s_set_vgpr_msb 4                        ;  msbs: dst=0 src0=0 src1=1 src2=0
	v_add_nc_u16 v227, 0xf000, v71 /*v327*/
	s_set_vgpr_msb 0x45                     ;  msbs: dst=1 src0=1 src1=1 src2=0
	v_dual_lshrrev_b32 v69 /*v325*/, 8, v31 /*v287*/ :: v_dual_lshrrev_b32 v8 /*v264*/, v5 /*v261*/, v42 /*v298*/
	s_set_vgpr_msb 0                        ;  msbs: dst=0 src0=0 src1=0 src2=0
	v_lshrrev_b32_e32 v133, 8, v133
	s_set_vgpr_msb 0x44                     ;  msbs: dst=1 src0=0 src1=1 src2=0
	v_add_nc_u16 v6 /*v262*/, 0xf000, v6 /*v262*/
	s_set_vgpr_msb 1                        ;  msbs: dst=0 src0=1 src1=0 src2=0
	v_bfe_i32 v40, v31 /*v287*/, 0, 8
	v_bfe_i32 v45, v69 /*v325*/, 0, 8
	s_set_vgpr_msb 0x45                     ;  msbs: dst=1 src0=1 src1=1 src2=0
	v_lshrrev_b32_e32 v7 /*v263*/, v4 /*v260*/, v42 /*v298*/
	s_set_vgpr_msb 0                        ;  msbs: dst=0 src0=0 src1=0 src2=0
	v_ashrrev_i16 v227, 8, v227
	v_bfe_i32 v133, v133, 0, 8
	s_set_vgpr_msb 0x44                     ;  msbs: dst=1 src0=0 src1=1 src2=0
	v_lshrrev_b16 v6 /*v262*/, 8, v6 /*v262*/
	s_set_vgpr_msb 0                        ;  msbs: dst=0 src0=0 src1=0 src2=0
	v_cvt_f16_i16_e32 v40, v40
	v_cvt_f16_i16_e32 v45, v45
	s_set_vgpr_msb 0x44                     ;  msbs: dst=1 src0=0 src1=1 src2=0
	v_dual_lshlrev_b32 v7 /*v263*/, 20, v7 /*v263*/ :: v_dual_lshlrev_b32 v8 /*v264*/, 28, v8 /*v264*/
	s_set_vgpr_msb 4                        ;  msbs: dst=0 src0=0 src1=1 src2=0
	v_cvt_f16_i16_e64 v227, v227
	v_cvt_f16_i16_e64 v133, v133
	v_bitop3_b16 v44, v44, v6 /*v262*/, 0x1f00 bitop3:0xec
	s_set_vgpr_msb 0x44                     ;  msbs: dst=1 src0=0 src1=1 src2=0
	v_and_b32_e32 v7 /*v263*/, 0x100000, v7 /*v263*/
	v_and_b32_e32 v8 /*v264*/, 0x10000000, v8 /*v264*/
	s_set_vgpr_msb 0                        ;  msbs: dst=0 src0=0 src1=0 src2=0
	v_pack_b32_f16 v40, v40, v45
	v_pack_b32_f16 v45, v227, v133
	v_add_nc_u16 v227, 0xf000, v44
	s_set_vgpr_msb 64                       ;  msbs: dst=1 src0=0 src1=0 src2=0
	v_dual_lshrrev_b32 v63 /*v319*/, 16, v41 :: v_dual_lshrrev_b32 v64 /*v320*/, 16, v42
	s_set_vgpr_msb 0                        ;  msbs: dst=0 src0=0 src1=0 src2=0
	v_and_b32_e32 v41, 0xffff, v41
	s_set_vgpr_msb 0x44                     ;  msbs: dst=1 src0=0 src1=1 src2=0
	v_mul_u32_u24_e32 v6 /*v262*/, 0x10001, v34 /*v290*/
	s_set_vgpr_msb 21                       ;  msbs: dst=0 src0=1 src1=1 src2=1
	v_or3_b32 v133, v40 /*v296*/, v7 /*v263*/, v8 /*v264*/
	s_set_vgpr_msb 64                       ;  msbs: dst=1 src0=0 src1=0 src2=0
	v_lshrrev_b32_e32 v8 /*v264*/, 8, v227
	s_set_vgpr_msb 0                        ;  msbs: dst=0 src0=0 src1=0 src2=0
	v_bfe_i32 v227, v227, 0, 8
	s_set_vgpr_msb 64                       ;  msbs: dst=1 src0=0 src1=0 src2=0
	v_mul_u32_u24_e32 v28 /*v284*/, 0x10001, v41
	s_set_vgpr_msb 0x44                     ;  msbs: dst=1 src0=0 src1=1 src2=0
	v_pk_mul_f16 v7 /*v263*/, v40, v6 /*v262*/
	s_set_vgpr_msb 1                        ;  msbs: dst=0 src0=1 src1=0 src2=0
	v_add_nc_u64_e32 v[40:41], v[26:27] /*v[282:283]*/, v[188:189]
	s_set_vgpr_msb 0x44                     ;  msbs: dst=1 src0=0 src1=1 src2=0
	v_pk_mul_f16 v11 /*v267*/, v45, v6 /*v262*/
	s_set_vgpr_msb 1                        ;  msbs: dst=0 src0=1 src1=0 src2=0
	v_add_nc_u64_e32 v[44:45], v[22:23] /*v[278:279]*/, v[230:231]
	s_set_vgpr_msb 0x41                     ;  msbs: dst=1 src0=1 src1=0 src2=0
	v_bfe_i32 v8 /*v264*/, v8 /*v264*/, 0, 8
	s_set_vgpr_msb 0                        ;  msbs: dst=0 src0=0 src1=0 src2=0
	v_lshrrev_b32_e32 v133, 16, v133
	s_set_vgpr_msb 64                       ;  msbs: dst=1 src0=0 src1=0 src2=0
	s_clause 0x4
	global_load_b32 v29 /*v285*/, v[40:41], off offset:6
	global_load_u16 v30 /*v286*/, v[44:45], off
	s_set_vgpr_msb 0x41                     ;  msbs: dst=1 src0=1 src1=0 src2=0
	global_load_b32 v31 /*v287*/, v[26:27] /*v[282:283]*/, off offset:2
	global_load_u16 v32 /*v288*/, v[24:25] /*v[280:281]*/, off
	s_wait_xcnt 0x3
	s_set_vgpr_msb 0                        ;  msbs: dst=0 src0=0 src1=0 src2=0
	v_cvt_f16_i16_e64 v40, v227
	s_set_vgpr_msb 1                        ;  msbs: dst=0 src0=1 src1=0 src2=0
	v_cvt_f16_i16_e64 v41, v8 /*v264*/
	s_set_vgpr_msb 64                       ;  msbs: dst=1 src0=0 src1=0 src2=0
	v_lshlrev_b16 v9 /*v265*/, 8, v133
	s_set_vgpr_msb 0x55                     ;  msbs: dst=1 src0=1 src1=1 src2=1
	v_pk_fma_f16 v10 /*v266*/, v7 /*v263*/, v28 /*v284*/, v18 /*v274*/
	s_wait_loadcnt 0x12
	v_lshrrev_b32_e32 v8 /*v264*/, v3 /*v259*/, v45 /*v301*/
	v_pk_fma_f16 v6 /*v262*/, v7 /*v263*/, v66 /*v322*/, v14 /*v270*/
	s_set_vgpr_msb 64                       ;  msbs: dst=1 src0=0 src1=0 src2=0
	v_pack_b32_f16 v18 /*v274*/, v40, v41
	s_set_vgpr_msb 0                        ;  msbs: dst=0 src0=0 src1=0 src2=0
	v_add_nc_u64_e32 v[40:41], s[10:11], v[130:131]
	s_set_vgpr_msb 4                        ;  msbs: dst=0 src0=0 src1=1 src2=0
	v_add_nc_u16 v227, 0xf000, v9 /*v265*/
	s_set_vgpr_msb 0x45                     ;  msbs: dst=1 src0=1 src1=1 src2=0
	v_ashrrev_i32_e32 v9 /*v265*/, v2 /*v258*/, v43 /*v299*/
	s_set_vgpr_msb 0x44                     ;  msbs: dst=1 src0=0 src1=1 src2=0
	v_dual_lshrrev_b32 v7 /*v263*/, v254, v45 /*v301*/ :: v_dual_lshlrev_b32 v12 /*v268*/, 12, v8 /*v264*/
	s_set_vgpr_msb 0x45                     ;  msbs: dst=1 src0=1 src1=1 src2=0
	v_dual_lshrrev_b32 v33 /*v289*/, v4 /*v260*/, v45 /*v301*/ :: v_dual_lshrrev_b32 v34 /*v290*/, v5 /*v261*/, v45 /*v301*/
	s_wait_xcnt 0x1
	v_and_b32_e32 v26 /*v282*/, 0xf0f0f0f, v9 /*v265*/
	s_set_vgpr_msb 64                       ;  msbs: dst=1 src0=0 src1=0 src2=0
	v_add_nc_u64_e32 v[8:9] /*v[264:265]*/, v[40:41], v[232:233]
	s_set_vgpr_msb 0                        ;  msbs: dst=0 src0=0 src1=0 src2=0
	v_add_nc_u64_e32 v[40:41], v[40:41], v[230:231]
	s_set_vgpr_msb 0x44                     ;  msbs: dst=1 src0=0 src1=1 src2=0
	v_lshlrev_b32_e32 v7 /*v263*/, 4, v7 /*v263*/
	v_and_b32_e32 v27 /*v283*/, 0x1000, v12 /*v268*/
	s_set_vgpr_msb 64                       ;  msbs: dst=1 src0=0 src1=0 src2=0
	v_add_nc_u64_e32 v[12:13] /*v[268:269]*/, v[44:45], v[190:191]
	s_set_vgpr_msb 0                        ;  msbs: dst=0 src0=0 src1=0 src2=0
	v_and_b32_e32 v133, 0x1f00, v133
	s_set_vgpr_msb 0x44                     ;  msbs: dst=1 src0=0 src1=1 src2=0
	v_mul_u32_u24_e32 v14 /*v270*/, 0x10001, v38 /*v294*/
	s_set_vgpr_msb 0x41                     ;  msbs: dst=1 src0=1 src1=0 src2=0
	v_add_nc_u64_e32 v[22:23] /*v[278:279]*/, v[8:9] /*v[264:265]*/, v[188:189]
	s_set_vgpr_msb 0x44                     ;  msbs: dst=1 src0=0 src1=1 src2=0
	v_and_b32_e32 v7 /*v263*/, 16, v7 /*v263*/
	s_wait_xcnt 0x0
	s_set_vgpr_msb 64                       ;  msbs: dst=1 src0=0 src1=0 src2=0
	v_add_nc_u64_e32 v[24:25] /*v[280:281]*/, v[40:41], v[190:191]
	s_set_vgpr_msb 0                        ;  msbs: dst=0 src0=0 src1=0 src2=0
	v_add_nc_u16 v133, 0xf000, v133
	v_ashrrev_i16 v227, 8, v227
	v_and_b32_e32 v42, 0xffff, v42
	s_set_vgpr_msb 0x55                     ;  msbs: dst=1 src0=1 src1=1 src2=1
	v_or3_b32 v27 /*v283*/, v7 /*v263*/, v26 /*v282*/, v27 /*v283*/
	v_dual_lshlrev_b32 v7 /*v263*/, 20, v33 /*v289*/ :: v_dual_lshlrev_b32 v33 /*v289*/, 28, v34 /*v290*/
	s_clause 0xa
	global_load_b32 v34 /*v290*/, v[12:13] /*v[268:269]*/, off offset:6
	global_load_b32 v35 /*v291*/, v[22:23] /*v[278:279]*/, off offset:6
	;; [unrolled: 1-line block ×3, first 2 shown]
	s_set_vgpr_msb 64                       ;  msbs: dst=1 src0=0 src1=0 src2=0
	global_load_b32 v37 /*v293*/, v[40:41], off offset:2
	global_load_u16 v38 /*v294*/, v[40:41], off
	s_set_vgpr_msb 0x41                     ;  msbs: dst=1 src0=1 src1=0 src2=0
	global_load_b32 v39 /*v295*/, v[8:9] /*v[264:265]*/, off offset:2
	global_load_u16 v40 /*v296*/, v[8:9] /*v[264:265]*/, off
	s_set_vgpr_msb 64                       ;  msbs: dst=1 src0=0 src1=0 src2=0
	global_load_b32 v42 /*v298*/, v[44:45], off offset:2
	s_set_vgpr_msb 0                        ;  msbs: dst=0 src0=0 src1=0 src2=0
	v_lshrrev_b32_e32 v133, 8, v133
	s_wait_xcnt 0x3
	s_set_vgpr_msb 4                        ;  msbs: dst=0 src0=0 src1=1 src2=0
	v_lshlrev_b16 v40, 8, v27 /*v283*/
	v_cvt_f16_i16_e64 v227, v227
	s_wait_xcnt 0x0
	v_and_b32_e32 v44, 0x100000, v7 /*v263*/
	v_and_b32_e32 v45, 0x10000000, v33 /*v289*/
	v_bfe_i32 v133, v133, 0, 8
	s_set_vgpr_msb 0                        ;  msbs: dst=0 src0=0 src1=0 src2=0
	v_add_nc_u16 v40, 0xf000, v40
	s_set_vgpr_msb 0x55                     ;  msbs: dst=1 src0=1 src1=1 src2=1
	v_pk_fma_f16 v7 /*v263*/, v11 /*v267*/, v66 /*v322*/, v15 /*v271*/
	s_wait_loadcnt 0x19
	v_ashrrev_i32_e32 v15 /*v271*/, v2 /*v258*/, v46 /*v302*/
	s_set_vgpr_msb 1                        ;  msbs: dst=0 src0=1 src1=0 src2=0
	v_or3_b32 v44, v26 /*v282*/, v44, v45
	s_set_vgpr_msb 0                        ;  msbs: dst=0 src0=0 src1=0 src2=0
	v_cvt_f16_i16_e64 v41, v133
	v_lshrrev_b16 v40, 8, v40
	s_set_vgpr_msb 5                        ;  msbs: dst=0 src0=1 src1=1 src2=0
	v_pk_mul_f16 v133, v18 /*v274*/, v14 /*v270*/
	s_set_vgpr_msb 0x44                     ;  msbs: dst=1 src0=0 src1=1 src2=0
	v_and_b32_e32 v15 /*v271*/, 0xf0f0f0f, v15 /*v271*/
	s_set_vgpr_msb 0                        ;  msbs: dst=0 src0=0 src1=0 src2=0
	v_lshrrev_b32_e32 v44, 16, v44
	v_pack_b32_f16 v41, v227, v41
	s_set_vgpr_msb 1                        ;  msbs: dst=0 src0=1 src1=0 src2=0
	v_bitop3_b16 v40, v27 /*v283*/, v40, 0x1f00 bitop3:0xec
	s_wait_loadcnt 0x18
	s_set_vgpr_msb 4                        ;  msbs: dst=0 src0=0 src1=1 src2=0
	v_lshrrev_b32_e32 v227, v254, v47 /*v303*/
	s_set_vgpr_msb 0x54                     ;  msbs: dst=1 src0=0 src1=1 src2=1
	v_pk_fma_f16 v8 /*v264*/, v133, v66 /*v322*/, v16 /*v272*/
	s_set_vgpr_msb 0x45                     ;  msbs: dst=1 src0=1 src1=1 src2=0
	v_lshrrev_b32_e32 v16 /*v272*/, v4 /*v260*/, v47 /*v303*/
	s_set_vgpr_msb 4                        ;  msbs: dst=0 src0=0 src1=1 src2=0
	v_pk_mul_f16 v41, v41, v14 /*v270*/
	s_set_vgpr_msb 0x45                     ;  msbs: dst=1 src0=1 src1=1 src2=0
	v_lshrrev_b32_e32 v14 /*v270*/, v3 /*v259*/, v47 /*v303*/
	s_set_vgpr_msb 0                        ;  msbs: dst=0 src0=0 src1=0 src2=0
	v_add_nc_u16 v40, 0xf000, v40
	v_lshlrev_b32_e32 v227, 4, v227
	s_set_vgpr_msb 0x54                     ;  msbs: dst=1 src0=0 src1=1 src2=1
	v_lshlrev_b32_e32 v16 /*v272*/, 20, v16 /*v272*/
	v_pk_fma_f16 v9 /*v265*/, v41, v66 /*v322*/, v17 /*v273*/
	v_pk_fma_f16 v13 /*v269*/, v41, v28 /*v284*/, v21 /*v277*/
	s_set_vgpr_msb 0                        ;  msbs: dst=0 src0=0 src1=0 src2=0
	v_lshlrev_b16 v41, 8, v44
	v_and_b32_e32 v44, 0x1f00, v44
	s_set_vgpr_msb 0x44                     ;  msbs: dst=1 src0=0 src1=1 src2=0
	v_lshlrev_b32_e32 v14 /*v270*/, 12, v14 /*v270*/
	s_set_vgpr_msb 0                        ;  msbs: dst=0 src0=0 src1=0 src2=0
	v_dual_lshrrev_b32 v45, 8, v40 :: v_dual_bitop2_b32 v227, 16, v227 bitop3:0x40
	s_set_vgpr_msb 0x45                     ;  msbs: dst=1 src0=1 src1=1 src2=0
	v_lshrrev_b32_e32 v17 /*v273*/, v5 /*v261*/, v47 /*v303*/
	s_set_vgpr_msb 0                        ;  msbs: dst=0 src0=0 src1=0 src2=0
	v_add_nc_u16 v44, 0xf000, v44
	s_set_vgpr_msb 0x44                     ;  msbs: dst=1 src0=0 src1=1 src2=0
	v_and_b32_e32 v14 /*v270*/, 0x1000, v14 /*v270*/
	s_set_vgpr_msb 0                        ;  msbs: dst=0 src0=0 src1=0 src2=0
	v_add_nc_u16 v41, 0xf000, v41
	v_bfe_i32 v40, v40, 0, 8
	v_bfe_i32 v45, v45, 0, 8
	v_lshrrev_b32_e32 v44, 8, v44
	s_set_vgpr_msb 20                       ;  msbs: dst=0 src0=0 src1=1 src2=1
	v_or3_b32 v227, v227, v15 /*v271*/, v14 /*v270*/
	s_wait_loadcnt 0x11
	s_set_vgpr_msb 0x45                     ;  msbs: dst=1 src0=1 src1=1 src2=0
	v_dual_lshlrev_b32 v14 /*v270*/, 28, v17 /*v273*/ :: v_dual_lshrrev_b32 v18 /*v274*/, v5 /*v261*/, v54 /*v310*/
	s_set_vgpr_msb 0                        ;  msbs: dst=0 src0=0 src1=0 src2=0
	v_cvt_f16_i16_e32 v40, v40
	v_cvt_f16_i16_e32 v45, v45
	v_ashrrev_i16 v41, 8, v41
	v_bfe_i32 v44, v44, 0, 8
	s_set_vgpr_msb 0x44                     ;  msbs: dst=1 src0=0 src1=1 src2=0
	v_and_b32_e32 v16 /*v272*/, 0x100000, v16 /*v272*/
	s_set_vgpr_msb 64                       ;  msbs: dst=1 src0=0 src1=0 src2=0
	v_lshlrev_b16 v17 /*v273*/, 8, v227
	s_set_vgpr_msb 0x54                     ;  msbs: dst=1 src0=0 src1=1 src2=1
	v_and_b32_e32 v14 /*v270*/, 0x10000000, v14 /*v270*/
	v_pk_fma_f16 v12 /*v268*/, v133, v28 /*v284*/, v20 /*v276*/
	s_set_vgpr_msb 4                        ;  msbs: dst=0 src0=0 src1=1 src2=0
	v_mul_u32_u24_e32 v133, 0x10001, v41 /*v297*/
	v_cvt_f16_i16_e32 v41, v41
	v_cvt_f16_i16_e32 v44, v44
	s_set_vgpr_msb 0                        ;  msbs: dst=0 src0=0 src1=0 src2=0
	v_pack_b32_f16 v40, v40, v45
	s_set_vgpr_msb 0x55                     ;  msbs: dst=1 src0=1 src1=1 src2=1
	v_add_nc_u16 v17 /*v273*/, 0xf000, v17 /*v273*/
	v_or3_b32 v14 /*v270*/, v15 /*v271*/, v16 /*v272*/, v14 /*v270*/
	s_set_vgpr_msb 4                        ;  msbs: dst=0 src0=0 src1=1 src2=0
	v_mul_u32_u24_e32 v45, 0x10001, v60 /*v316*/
	s_set_vgpr_msb 0                        ;  msbs: dst=0 src0=0 src1=0 src2=0
	v_pack_b32_f16 v41, v41, v44
	v_pk_mul_f16 v40, v40, v133
	s_set_vgpr_msb 4                        ;  msbs: dst=0 src0=0 src1=1 src2=0
	v_mul_u32_u24_e32 v44, 0x10001, v63 /*v319*/
	s_set_vgpr_msb 0x55                     ;  msbs: dst=1 src0=1 src1=1 src2=1
	v_lshrrev_b16 v15 /*v271*/, 8, v17 /*v273*/
	v_dual_lshrrev_b32 v14 /*v270*/, 16, v14 /*v270*/ :: v_dual_ashrrev_i32 v17 /*v273*/, v2 /*v258*/, v49 /*v305*/
	v_pk_fma_f16 v11 /*v267*/, v11 /*v267*/, v28 /*v284*/, v19 /*v275*/
	s_set_vgpr_msb 4                        ;  msbs: dst=0 src0=0 src1=1 src2=0
	ds_store_b128 v239, v[6:9] /*v[262:265]*/
	ds_store_b128 v239, v[10:13] /*v[266:269]*/ offset:16
	s_set_vgpr_msb 0                        ;  msbs: dst=0 src0=0 src1=0 src2=0
	v_pk_mul_f16 v41, v41, v133
	s_set_vgpr_msb 0x50                     ;  msbs: dst=1 src0=0 src1=0 src2=1
	v_pk_fma_f16 v6 /*v262*/, v40, v45, v6 /*v262*/
	v_pk_fma_f16 v10 /*v266*/, v40, v44, v10 /*v266*/
	s_set_vgpr_msb 4                        ;  msbs: dst=0 src0=0 src1=1 src2=0
	v_bitop3_b16 v40, v227, v15 /*v271*/, 0x1f00 bitop3:0xec
	v_lshlrev_b16 v133, 8, v14 /*v270*/
	v_and_b32_e32 v227, 0x1f00, v14 /*v270*/
	s_set_vgpr_msb 0x50                     ;  msbs: dst=1 src0=0 src1=0 src2=1
	v_pk_fma_f16 v7 /*v263*/, v41, v45, v7 /*v263*/
	v_pk_fma_f16 v11 /*v267*/, v41, v44, v11 /*v267*/
	s_set_vgpr_msb 0x45                     ;  msbs: dst=1 src0=1 src1=1 src2=0
	v_lshrrev_b32_e32 v14 /*v270*/, v3 /*v259*/, v54 /*v310*/
	s_set_vgpr_msb 0                        ;  msbs: dst=0 src0=0 src1=0 src2=0
	v_add_nc_u16 v41, 0xf000, v133
	v_add_nc_u16 v133, 0xf000, v227
	s_set_vgpr_msb 4                        ;  msbs: dst=0 src0=0 src1=1 src2=0
	v_lshrrev_b32_e32 v227, v254, v54 /*v310*/
	s_set_vgpr_msb 0                        ;  msbs: dst=0 src0=0 src1=0 src2=0
	v_add_nc_u16 v40, 0xf000, v40
	s_set_vgpr_msb 0x44                     ;  msbs: dst=1 src0=0 src1=1 src2=0
	v_lshlrev_b32_e32 v14 /*v270*/, 12, v14 /*v270*/
	v_and_b32_e32 v17 /*v273*/, 0xf0f0f0f, v17 /*v273*/
	s_set_vgpr_msb 0                        ;  msbs: dst=0 src0=0 src1=0 src2=0
	v_dual_lshrrev_b32 v133, 8, v133 :: v_dual_lshlrev_b32 v227, 4, v227
	s_set_vgpr_msb 64                       ;  msbs: dst=1 src0=0 src1=0 src2=0
	v_lshrrev_b32_e32 v15 /*v271*/, 8, v40
	s_set_vgpr_msb 0x44                     ;  msbs: dst=1 src0=0 src1=1 src2=0
	v_and_b32_e32 v14 /*v270*/, 0x1000, v14 /*v270*/
	s_set_vgpr_msb 0                        ;  msbs: dst=0 src0=0 src1=0 src2=0
	v_bfe_i32 v40, v40, 0, 8
	v_ashrrev_i16 v41, 8, v41
	v_and_b32_e32 v227, 16, v227
	s_set_vgpr_msb 0x41                     ;  msbs: dst=1 src0=1 src1=0 src2=0
	v_bfe_i32 v15 /*v271*/, v15 /*v271*/, 0, 8
	s_set_vgpr_msb 0                        ;  msbs: dst=0 src0=0 src1=0 src2=0
	v_bfe_i32 v133, v133, 0, 8
	v_cvt_f16_i16_e32 v40, v40
	s_set_vgpr_msb 0x44                     ;  msbs: dst=1 src0=0 src1=1 src2=0
	v_mul_u32_u24_e32 v16 /*v272*/, 0x10001, v44 /*v300*/
	s_set_vgpr_msb 20                       ;  msbs: dst=0 src0=0 src1=1 src2=1
	v_or3_b32 v227, v227, v17 /*v273*/, v14 /*v270*/
	s_set_vgpr_msb 0x45                     ;  msbs: dst=1 src0=1 src1=1 src2=0
	v_cvt_f16_i16_e64 v15 /*v271*/, v15 /*v271*/
	v_lshrrev_b32_e32 v14 /*v270*/, v4 /*v260*/, v54 /*v310*/
	s_set_vgpr_msb 0                        ;  msbs: dst=0 src0=0 src1=0 src2=0
	v_cvt_f16_i16_e32 v41, v41
	v_cvt_f16_i16_e64 v133, v133
	s_set_vgpr_msb 64                       ;  msbs: dst=1 src0=0 src1=0 src2=0
	v_lshlrev_b16 v19 /*v275*/, 8, v227
	s_set_vgpr_msb 4                        ;  msbs: dst=0 src0=0 src1=1 src2=0
	v_pack_b32_f16 v40, v40, v15 /*v271*/
	s_set_vgpr_msb 0x44                     ;  msbs: dst=1 src0=0 src1=1 src2=0
	v_lshlrev_b32_e32 v14 /*v270*/, 20, v14 /*v270*/
	v_lshlrev_b32_e32 v15 /*v271*/, 28, v18 /*v274*/
	s_set_vgpr_msb 0                        ;  msbs: dst=0 src0=0 src1=0 src2=0
	v_pack_b32_f16 v41, v41, v133
	s_set_vgpr_msb 0x44                     ;  msbs: dst=1 src0=0 src1=1 src2=0
	v_add_nc_u16 v18 /*v274*/, 0xf000, v19 /*v275*/
	s_set_vgpr_msb 4                        ;  msbs: dst=0 src0=0 src1=1 src2=0
	v_pk_mul_f16 v40, v40, v16 /*v272*/
	v_and_b32_e32 v133, 0x100000, v14 /*v270*/
	s_set_vgpr_msb 0x44                     ;  msbs: dst=1 src0=0 src1=1 src2=0
	v_and_b32_e32 v14 /*v270*/, 0x10000000, v15 /*v271*/
	s_set_vgpr_msb 4                        ;  msbs: dst=0 src0=0 src1=1 src2=0
	v_pk_mul_f16 v41, v41, v16 /*v272*/
	s_set_vgpr_msb 0x44                     ;  msbs: dst=1 src0=0 src1=1 src2=0
	v_lshrrev_b16 v15 /*v271*/, 8, v18 /*v274*/
	s_set_vgpr_msb 0x50                     ;  msbs: dst=1 src0=0 src1=0 src2=1
	v_pk_fma_f16 v8 /*v264*/, v40, v45, v8 /*v264*/
	v_pk_fma_f16 v12 /*v268*/, v40, v44, v12 /*v268*/
	s_set_vgpr_msb 17                       ;  msbs: dst=0 src0=1 src1=0 src2=1
	v_or3_b32 v40, v17 /*v273*/, v133, v14 /*v270*/
	s_set_vgpr_msb 0x50                     ;  msbs: dst=1 src0=0 src1=0 src2=1
	v_pk_fma_f16 v13 /*v269*/, v41, v44, v13 /*v269*/
	s_set_vgpr_msb 4                        ;  msbs: dst=0 src0=0 src1=1 src2=0
	v_bitop3_b16 v133, v227, v15 /*v271*/, 0x1f00 bitop3:0xec
	s_set_vgpr_msb 0x50                     ;  msbs: dst=1 src0=0 src1=0 src2=1
	v_pk_fma_f16 v9 /*v265*/, v41, v45, v9 /*v265*/
	s_set_vgpr_msb 5                        ;  msbs: dst=0 src0=1 src1=1 src2=0
	v_lshrrev_b32_e32 v227, v3 /*v259*/, v52 /*v308*/
	s_set_vgpr_msb 0                        ;  msbs: dst=0 src0=0 src1=0 src2=0
	v_and_b32_e32 v41, 0xffff, v46
	v_lshrrev_b32_e32 v40, 16, v40
	v_add_nc_u16 v44, 0xf000, v133
	s_set_vgpr_msb 4                        ;  msbs: dst=0 src0=0 src1=1 src2=0
	v_lshrrev_b32_e32 v133, v254, v52 /*v308*/
	s_set_vgpr_msb 0x45                     ;  msbs: dst=1 src0=1 src1=1 src2=0
	v_ashrrev_i32_e32 v14 /*v270*/, v2 /*v258*/, v50 /*v306*/
	s_set_vgpr_msb 0                        ;  msbs: dst=0 src0=0 src1=0 src2=0
	v_lshlrev_b32_e32 v227, 12, v227
	v_mul_u32_u24_e32 v46, 0x10001, v41
	v_lshrrev_b32_e32 v45, 8, v44
	v_bfe_i32 v44, v44, 0, 8
	v_lshlrev_b32_e32 v133, 4, v133
	v_lshlrev_b16 v41, 8, v40
	v_and_b32_e32 v40, 0x1f00, v40
	v_bfe_i32 v45, v45, 0, 8
	v_cvt_f16_i16_e32 v44, v44
	s_set_vgpr_msb 0x44                     ;  msbs: dst=1 src0=0 src1=1 src2=0
	v_and_b32_e32 v14 /*v270*/, 0xf0f0f0f, v14 /*v270*/
	s_set_vgpr_msb 0                        ;  msbs: dst=0 src0=0 src1=0 src2=0
	v_and_b32_e32 v133, 16, v133
	v_and_b32_e32 v227, 0x1000, v227
	v_cvt_f16_i16_e32 v45, v45
	v_add_nc_u16 v40, 0xf000, v40
	v_add_nc_u16 v41, 0xf000, v41
	s_wait_loadcnt 0x10
	s_set_vgpr_msb 0x44                     ;  msbs: dst=1 src0=0 src1=1 src2=0
	v_mul_u32_u24_e32 v15 /*v271*/, 0x10001, v55 /*v311*/
	s_set_vgpr_msb 0                        ;  msbs: dst=0 src0=0 src1=0 src2=0
	v_mul_u32_u24_e32 v42, 0x10001, v42
	v_pack_b32_f16 v44, v44, v45
	s_set_vgpr_msb 4                        ;  msbs: dst=0 src0=0 src1=1 src2=0
	v_or3_b32 v45, v133, v14 /*v270*/, v227
	s_set_vgpr_msb 0                        ;  msbs: dst=0 src0=0 src1=0 src2=0
	v_lshrrev_b32_e32 v40, 8, v40
	v_ashrrev_i16 v41, 8, v41
	s_set_vgpr_msb 5                        ;  msbs: dst=0 src0=1 src1=1 src2=0
	v_dual_lshrrev_b32 v133, v4 /*v260*/, v52 /*v308*/ :: v_dual_lshrrev_b32 v227, v5 /*v261*/, v52 /*v308*/
	s_set_vgpr_msb 64                       ;  msbs: dst=1 src0=0 src1=0 src2=0
	v_lshlrev_b16 v16 /*v272*/, 8, v45
	s_set_vgpr_msb 0                        ;  msbs: dst=0 src0=0 src1=0 src2=0
	v_bfe_i32 v40, v40, 0, 8
	v_cvt_f16_i16_e32 v41, v41
	v_dual_lshlrev_b32 v133, 20, v133 :: v_dual_lshlrev_b32 v227, 28, v227
	s_set_vgpr_msb 0x44                     ;  msbs: dst=1 src0=0 src1=1 src2=0
	v_add_nc_u16 v16 /*v272*/, 0xf000, v16 /*v272*/
	s_set_vgpr_msb 0                        ;  msbs: dst=0 src0=0 src1=0 src2=0
	v_cvt_f16_i16_e32 v40, v40
	s_set_vgpr_msb 0x44                     ;  msbs: dst=1 src0=0 src1=1 src2=0
	v_pk_mul_f16 v17 /*v273*/, v44, v15 /*v271*/
	s_set_vgpr_msb 0                        ;  msbs: dst=0 src0=0 src1=0 src2=0
	v_and_b32_e32 v133, 0x100000, v133
	v_and_b32_e32 v227, 0x10000000, v227
	s_set_vgpr_msb 0x44                     ;  msbs: dst=1 src0=0 src1=1 src2=0
	v_lshrrev_b16 v16 /*v272*/, 8, v16 /*v272*/
	s_set_vgpr_msb 0                        ;  msbs: dst=0 src0=0 src1=0 src2=0
	v_pack_b32_f16 v44, v41, v40
	v_add_nc_u64_e32 v[40:41], s[10:11], v[134:135]
	s_set_vgpr_msb 4                        ;  msbs: dst=0 src0=0 src1=1 src2=0
	ds_store_b128 v239, v[6:9] /*v[262:265]*/
	ds_store_b128 v239, v[10:13] /*v[266:269]*/ offset:16
	s_set_vgpr_msb 1                        ;  msbs: dst=0 src0=1 src1=0 src2=0
	v_or3_b32 v133, v14 /*v270*/, v133, v227
	s_set_vgpr_msb 4                        ;  msbs: dst=0 src0=0 src1=1 src2=0
	v_bitop3_b16 v45, v45, v16 /*v272*/, 0x1f00 bitop3:0xec
	v_pk_mul_f16 v227, v44, v15 /*v271*/
	s_set_vgpr_msb 0x51                     ;  msbs: dst=1 src0=1 src1=0 src2=1
	v_add_nc_u64_e32 v[14:15] /*v[270:271]*/, s[10:11], v[140:141]
	v_pk_fma_f16 v6 /*v262*/, v17 /*v273*/, v46, v6 /*v262*/
	v_pk_fma_f16 v10 /*v266*/, v17 /*v273*/, v42, v10 /*v266*/
	v_add_nc_u16 v22 /*v278*/, 0xf000, v45
	s_set_vgpr_msb 0                        ;  msbs: dst=0 src0=0 src1=0 src2=0
	v_add_nc_u64_e32 v[44:45], v[40:41], v[232:233]
	v_add_nc_u64_e32 v[40:41], v[40:41], v[230:231]
	v_lshrrev_b32_e32 v133, 16, v133
	s_set_vgpr_msb 0x41                     ;  msbs: dst=1 src0=1 src1=0 src2=0
	v_add_nc_u64_e32 v[20:21] /*v[276:277]*/, v[14:15] /*v[270:271]*/, v[232:233]
	s_set_vgpr_msb 0x44                     ;  msbs: dst=1 src0=0 src1=1 src2=0
	v_lshrrev_b32_e32 v24 /*v280*/, 8, v22 /*v278*/
	s_set_vgpr_msb 0x41                     ;  msbs: dst=1 src0=1 src1=0 src2=0
	v_bfe_i32 v22 /*v278*/, v22 /*v278*/, 0, 8
	s_set_vgpr_msb 0x50                     ;  msbs: dst=1 src0=0 src1=0 src2=1
	v_pk_fma_f16 v7 /*v263*/, v227, v46, v7 /*v263*/
	v_add_nc_u64_e32 v[16:17] /*v[272:273]*/, v[44:45], v[188:189]
	v_add_nc_u64_e32 v[18:19] /*v[274:275]*/, v[40:41], v[190:191]
	s_set_vgpr_msb 0x41                     ;  msbs: dst=1 src0=1 src1=0 src2=0
	s_clause 0x6
	global_load_b32 v25 /*v281*/, v[16:17] /*v[272:273]*/, off offset:6
	global_load_b32 v26 /*v282*/, v[18:19] /*v[274:275]*/, off offset:6
	global_load_u16 v27 /*v283*/, v[20:21] /*v[276:277]*/, off
	s_set_vgpr_msb 64                       ;  msbs: dst=1 src0=0 src1=0 src2=0
	global_load_b32 v28 /*v284*/, v[40:41], off offset:2
	global_load_u16 v33 /*v289*/, v[40:41], off
	global_load_b32 v41 /*v297*/, v[44:45], off offset:2
	s_set_vgpr_msb 0x41                     ;  msbs: dst=1 src0=1 src1=0 src2=0
	v_bfe_i32 v24 /*v280*/, v24 /*v280*/, 0, 8
	v_lshlrev_b16 v23 /*v279*/, 8, v133
	s_set_vgpr_msb 1                        ;  msbs: dst=0 src0=1 src1=0 src2=0
	v_and_b32_e32 v133, 0x1f00, v133
	s_wait_xcnt 0x1
	v_cvt_f16_i16_e64 v40, v22 /*v278*/
	s_set_vgpr_msb 4                        ;  msbs: dst=0 src0=0 src1=1 src2=0
	v_lshrrev_b32_e32 v41, v254, v48 /*v304*/
	s_set_vgpr_msb 0x45                     ;  msbs: dst=1 src0=1 src1=1 src2=0
	v_cvt_f16_i16_e64 v16 /*v272*/, v24 /*v280*/
	v_lshrrev_b32_e32 v17 /*v273*/, v3 /*v259*/, v48 /*v304*/
	s_set_vgpr_msb 0                        ;  msbs: dst=0 src0=0 src1=0 src2=0
	v_add_nc_u16 v133, 0xf000, v133
	s_wait_loadcnt 0x15
	s_set_vgpr_msb 0x45                     ;  msbs: dst=1 src0=1 src1=1 src2=0
	v_ashrrev_i32_e32 v19 /*v275*/, v2 /*v258*/, v56 /*v312*/
	s_set_vgpr_msb 0                        ;  msbs: dst=0 src0=0 src1=0 src2=0
	v_lshlrev_b32_e32 v41, 4, v41
	s_set_vgpr_msb 4                        ;  msbs: dst=0 src0=0 src1=1 src2=0
	v_pack_b32_f16 v40, v40, v16 /*v272*/
	s_set_vgpr_msb 0x44                     ;  msbs: dst=1 src0=0 src1=1 src2=0
	v_lshlrev_b32_e32 v16 /*v272*/, 12, v17 /*v273*/
	v_add_nc_u16 v23 /*v279*/, 0xf000, v23 /*v279*/
	s_set_vgpr_msb 0                        ;  msbs: dst=0 src0=0 src1=0 src2=0
	v_lshrrev_b32_e32 v133, 8, v133
	s_set_vgpr_msb 0x44                     ;  msbs: dst=1 src0=0 src1=1 src2=0
	v_and_b32_e32 v17 /*v273*/, 0xf0f0f0f, v19 /*v275*/
	s_set_vgpr_msb 0                        ;  msbs: dst=0 src0=0 src1=0 src2=0
	v_and_b32_e32 v41, 16, v41
	s_set_vgpr_msb 0x45                     ;  msbs: dst=1 src0=1 src1=1 src2=0
	v_and_b32_e32 v16 /*v272*/, 0x1000, v16 /*v272*/
	v_lshrrev_b32_e32 v22 /*v278*/, v5 /*v261*/, v48 /*v304*/
	v_ashrrev_i16 v23 /*v279*/, 8, v23 /*v279*/
	s_set_vgpr_msb 0                        ;  msbs: dst=0 src0=0 src1=0 src2=0
	v_bfe_i32 v133, v133, 0, 8
	s_set_vgpr_msb 0x45                     ;  msbs: dst=1 src0=1 src1=1 src2=0
	v_lshrrev_b32_e32 v19 /*v275*/, v4 /*v260*/, v48 /*v304*/
	s_set_vgpr_msb 20                       ;  msbs: dst=0 src0=0 src1=1 src2=1
	v_or3_b32 v41, v41, v17 /*v273*/, v16 /*v272*/
	s_set_vgpr_msb 0x44                     ;  msbs: dst=1 src0=0 src1=1 src2=0
	v_lshlrev_b32_e32 v16 /*v272*/, 28, v22 /*v278*/
	s_set_vgpr_msb 0x41                     ;  msbs: dst=1 src0=1 src1=0 src2=0
	v_cvt_f16_i16_e64 v22 /*v278*/, v23 /*v279*/
	s_set_vgpr_msb 0                        ;  msbs: dst=0 src0=0 src1=0 src2=0
	v_cvt_f16_i16_e64 v133, v133
	s_set_vgpr_msb 0x44                     ;  msbs: dst=1 src0=0 src1=1 src2=0
	v_lshlrev_b32_e32 v19 /*v275*/, 20, v19 /*v275*/
	s_set_vgpr_msb 64                       ;  msbs: dst=1 src0=0 src1=0 src2=0
	v_lshlrev_b16 v23 /*v279*/, 8, v41
	s_set_vgpr_msb 0x44                     ;  msbs: dst=1 src0=0 src1=1 src2=0
	v_mul_u32_u24_e32 v18 /*v274*/, 0x10001, v53 /*v309*/
	v_and_b32_e32 v16 /*v272*/, 0x10000000, v16 /*v272*/
	s_set_vgpr_msb 1                        ;  msbs: dst=0 src0=1 src1=0 src2=0
	v_pack_b32_f16 v133, v22 /*v278*/, v133
	s_set_vgpr_msb 0x44                     ;  msbs: dst=1 src0=0 src1=1 src2=0
	v_and_b32_e32 v19 /*v275*/, 0x100000, v19 /*v275*/
	v_add_nc_u16 v22 /*v278*/, 0xf000, v23 /*v279*/
	s_set_vgpr_msb 4                        ;  msbs: dst=0 src0=0 src1=1 src2=0
	v_pk_mul_f16 v40, v40, v18 /*v274*/
	s_set_vgpr_msb 0x50                     ;  msbs: dst=1 src0=0 src1=0 src2=1
	v_pk_fma_f16 v11 /*v267*/, v227, v42, v11 /*v267*/
	s_set_vgpr_msb 4                        ;  msbs: dst=0 src0=0 src1=1 src2=0
	v_pk_mul_f16 v133, v133, v18 /*v274*/
	s_set_vgpr_msb 0x55                     ;  msbs: dst=1 src0=1 src1=1 src2=1
	v_or3_b32 v16 /*v272*/, v17 /*v273*/, v19 /*v275*/, v16 /*v272*/
	s_set_vgpr_msb 4                        ;  msbs: dst=0 src0=0 src1=1 src2=0
	v_lshrrev_b16 v227, 8, v22 /*v278*/
	s_set_vgpr_msb 0x50                     ;  msbs: dst=1 src0=0 src1=0 src2=1
	v_pk_fma_f16 v8 /*v264*/, v40, v46, v8 /*v264*/
	v_pk_fma_f16 v12 /*v268*/, v40, v42, v12 /*v268*/
	;; [unrolled: 1-line block ×3, first 2 shown]
	s_wait_loadcnt 0x14
	s_set_vgpr_msb 0x45                     ;  msbs: dst=1 src0=1 src1=1 src2=0
	v_dual_lshrrev_b32 v16 /*v272*/, 16, v16 /*v272*/ :: v_dual_ashrrev_i32 v17 /*v273*/, v2 /*v258*/, v57 /*v313*/
	s_set_vgpr_msb 0x50                     ;  msbs: dst=1 src0=0 src1=0 src2=1
	v_pk_fma_f16 v13 /*v269*/, v133, v42, v13 /*v269*/
	s_set_vgpr_msb 0                        ;  msbs: dst=0 src0=0 src1=0 src2=0
	v_bitop3_b16 v40, v41, v227, 0x1f00 bitop3:0xec
	s_wait_loadcnt 0x12
	s_set_vgpr_msb 4                        ;  msbs: dst=0 src0=0 src1=1 src2=0
	v_lshrrev_b32_e32 v133, v254, v59 /*v315*/
	s_set_vgpr_msb 5                        ;  msbs: dst=0 src0=1 src1=1 src2=0
	v_lshrrev_b32_e32 v227, v3 /*v259*/, v59 /*v315*/
	s_set_vgpr_msb 4                        ;  msbs: dst=0 src0=0 src1=1 src2=0
	ds_store_b128 v239, v[6:9] /*v[262:265]*/
	ds_store_b128 v239, v[10:13] /*v[266:269]*/ offset:16
	v_and_b32_e32 v42, 0x1f00, v16 /*v272*/
	s_set_vgpr_msb 0                        ;  msbs: dst=0 src0=0 src1=0 src2=0
	v_add_nc_u16 v40, 0xf000, v40
	v_lshlrev_b32_e32 v133, 4, v133
	s_set_vgpr_msb 0x41                     ;  msbs: dst=1 src0=1 src1=0 src2=0
	s_clause 0x2
	global_load_b32 v22 /*v278*/, v[20:21] /*v[276:277]*/, off offset:2
	s_set_vgpr_msb 64                       ;  msbs: dst=1 src0=0 src1=0 src2=0
	global_load_u16 v23 /*v279*/, v[44:45], off
	s_wait_xcnt 0x0
	s_set_vgpr_msb 5                        ;  msbs: dst=0 src0=1 src1=1 src2=0
	v_lshrrev_b32_e32 v45, v5 /*v261*/, v59 /*v315*/
	s_set_vgpr_msb 0                        ;  msbs: dst=0 src0=0 src1=0 src2=0
	v_lshlrev_b32_e32 v227, 12, v227
	s_set_vgpr_msb 4                        ;  msbs: dst=0 src0=0 src1=1 src2=0
	v_lshlrev_b16 v41, 8, v16 /*v272*/
	s_set_vgpr_msb 0                        ;  msbs: dst=0 src0=0 src1=0 src2=0
	v_add_nc_u16 v42, 0xf000, v42
	s_set_vgpr_msb 64                       ;  msbs: dst=1 src0=0 src1=0 src2=0
	v_lshrrev_b32_e32 v16 /*v272*/, 8, v40
	s_set_vgpr_msb 0x44                     ;  msbs: dst=1 src0=0 src1=1 src2=0
	v_and_b32_e32 v17 /*v273*/, 0xf0f0f0f, v17 /*v273*/
	s_set_vgpr_msb 0                        ;  msbs: dst=0 src0=0 src1=0 src2=0
	v_and_b32_e32 v133, 16, v133
	v_and_b32_e32 v227, 0x1000, v227
	s_set_vgpr_msb 5                        ;  msbs: dst=0 src0=1 src1=1 src2=0
	v_lshrrev_b32_e32 v44, v4 /*v260*/, v59 /*v315*/
	s_set_vgpr_msb 0                        ;  msbs: dst=0 src0=0 src1=0 src2=0
	v_add_nc_u16 v41, 0xf000, v41
	s_set_vgpr_msb 0x41                     ;  msbs: dst=1 src0=1 src1=0 src2=0
	v_bfe_i32 v16 /*v272*/, v16 /*v272*/, 0, 8
	s_set_vgpr_msb 0                        ;  msbs: dst=0 src0=0 src1=0 src2=0
	v_lshrrev_b32_e32 v42, 8, v42
	s_set_vgpr_msb 4                        ;  msbs: dst=0 src0=0 src1=1 src2=0
	v_or3_b32 v133, v133, v17 /*v273*/, v227
	s_set_vgpr_msb 0                        ;  msbs: dst=0 src0=0 src1=0 src2=0
	v_dual_lshlrev_b32 v44, 20, v44 :: v_dual_lshlrev_b32 v45, 28, v45
	v_bfe_i32 v40, v40, 0, 8
	s_set_vgpr_msb 1                        ;  msbs: dst=0 src0=1 src1=0 src2=0
	v_cvt_f16_i16_e64 v227, v16 /*v272*/
	s_set_vgpr_msb 64                       ;  msbs: dst=1 src0=0 src1=0 src2=0
	v_lshlrev_b16 v16 /*v272*/, 8, v133
	s_set_vgpr_msb 0                        ;  msbs: dst=0 src0=0 src1=0 src2=0
	v_ashrrev_i16 v41, 8, v41
	v_bfe_i32 v42, v42, 0, 8
	v_and_b32_e32 v44, 0x100000, v44
	v_and_b32_e32 v45, 0x10000000, v45
	v_cvt_f16_i16_e32 v40, v40
	s_set_vgpr_msb 0x44                     ;  msbs: dst=1 src0=0 src1=1 src2=0
	v_add_nc_u16 v16 /*v272*/, 0xf000, v16 /*v272*/
	s_set_vgpr_msb 0                        ;  msbs: dst=0 src0=0 src1=0 src2=0
	v_cvt_f16_i16_e32 v41, v41
	v_cvt_f16_i16_e32 v42, v42
	s_set_vgpr_msb 1                        ;  msbs: dst=0 src0=1 src1=0 src2=0
	v_or3_b32 v44, v17 /*v273*/, v44, v45
	s_set_vgpr_msb 4                        ;  msbs: dst=0 src0=0 src1=1 src2=0
	v_mul_u32_u24_e32 v46, 0x10001, v51 /*v307*/
	s_set_vgpr_msb 0                        ;  msbs: dst=0 src0=0 src1=0 src2=0
	v_pack_b32_f16 v40, v40, v227
	s_set_vgpr_msb 4                        ;  msbs: dst=0 src0=0 src1=1 src2=0
	v_lshrrev_b16 v45, 8, v16 /*v272*/
	s_set_vgpr_msb 0                        ;  msbs: dst=0 src0=0 src1=0 src2=0
	v_pack_b32_f16 v41, v41, v42
	v_lshrrev_b32_e32 v42, 16, v44
	s_set_vgpr_msb 4                        ;  msbs: dst=0 src0=0 src1=1 src2=0
	v_mul_u32_u24_e32 v227, 0x10001, v61 /*v317*/
	s_set_vgpr_msb 0                        ;  msbs: dst=0 src0=0 src1=0 src2=0
	v_pk_mul_f16 v40, v40, v46
	v_bitop3_b16 v45, v133, v45, 0x1f00 bitop3:0xec
	s_set_vgpr_msb 4                        ;  msbs: dst=0 src0=0 src1=1 src2=0
	v_mul_u32_u24_e32 v133, 0x10001, v64 /*v320*/
	s_set_vgpr_msb 16                       ;  msbs: dst=0 src0=0 src1=0 src2=1
	v_pk_mul_f16 v41, v41, v46
	v_and_b32_e32 v46, 0x1f00, v42
	v_pk_fma_f16 v44, v40, v227, v6 /*v262*/
	s_set_vgpr_msb 0x50                     ;  msbs: dst=1 src0=0 src1=0 src2=1
	v_add_nc_u16 v16 /*v272*/, 0xf000, v45
	v_pk_fma_f16 v6 /*v262*/, v40, v133, v10 /*v266*/
	s_set_vgpr_msb 16                       ;  msbs: dst=0 src0=0 src1=0 src2=1
	v_lshlrev_b16 v40, 8, v42
	v_add_nc_u16 v42, 0xf000, v46
	v_pk_fma_f16 v45, v41, v227, v7 /*v263*/
	s_set_vgpr_msb 0x50                     ;  msbs: dst=1 src0=0 src1=0 src2=1
	v_pk_fma_f16 v7 /*v263*/, v41, v133, v11 /*v267*/
	s_set_vgpr_msb 1                        ;  msbs: dst=0 src0=1 src1=0 src2=0
	v_bfe_i32 v41, v16 /*v272*/, 0, 8
	v_add_nc_u16 v40, 0xf000, v40
	v_lshrrev_b32_e32 v42, 8, v42
	s_set_vgpr_msb 4                        ;  msbs: dst=0 src0=0 src1=1 src2=0
	v_lshrrev_b32_e32 v46, 8, v16 /*v272*/
	s_set_vgpr_msb 0                        ;  msbs: dst=0 src0=0 src1=0 src2=0
	v_and_b32_e32 v43, 0xffff, v43
	s_set_vgpr_msb 64                       ;  msbs: dst=1 src0=0 src1=0 src2=0
	v_cvt_f16_i16_e64 v11 /*v267*/, v41
	s_set_vgpr_msb 0                        ;  msbs: dst=0 src0=0 src1=0 src2=0
	v_ashrrev_i16 v40, 8, v40
	v_bfe_i32 v41, v42, 0, 8
	s_wait_loadcnt 0x11
	s_set_vgpr_msb 0x45                     ;  msbs: dst=1 src0=1 src1=1 src2=0
	v_dual_ashrrev_i32 v19 /*v275*/, v2 /*v258*/, v29 /*v285*/ :: v_dual_lshrrev_b32 v17 /*v273*/, v3 /*v259*/, v31 /*v287*/
	s_wait_loadcnt 0x10
	v_mul_u32_u24_e32 v10 /*v266*/, 0x10001, v32 /*v288*/
	s_set_vgpr_msb 64                       ;  msbs: dst=1 src0=0 src1=0 src2=0
	v_cvt_f16_i16_e64 v16 /*v272*/, v40
	v_cvt_f16_i16_e64 v18 /*v274*/, v41
	s_set_vgpr_msb 1                        ;  msbs: dst=0 src0=1 src1=0 src2=0
	v_add_nc_u64_e32 v[40:41], v[20:21] /*v[276:277]*/, v[188:189]
	s_set_vgpr_msb 0x44                     ;  msbs: dst=1 src0=0 src1=1 src2=0
	v_lshlrev_b32_e32 v17 /*v273*/, 12, v17 /*v273*/
	v_mul_u32_u24_e32 v30 /*v286*/, 0x10001, v30 /*v286*/
	global_load_b32 v24 /*v280*/, v[40:41], off offset:6
	s_wait_xcnt 0x0
	s_set_vgpr_msb 5                        ;  msbs: dst=0 src0=1 src1=1 src2=0
	v_lshrrev_b32_e32 v41, v4 /*v260*/, v31 /*v287*/
	s_set_vgpr_msb 4                        ;  msbs: dst=0 src0=0 src1=1 src2=0
	v_bfe_i32 v46, v46, 0, 8
	s_delay_alu instid0(VALU_DEP_1) | instskip(SKIP_2) | instid1(VALU_DEP_2)
	v_cvt_f16_i16_e32 v42, v46
	v_lshrrev_b32_e32 v46, v254, v31 /*v287*/
	s_set_vgpr_msb 1                        ;  msbs: dst=0 src0=1 src1=0 src2=0
	v_pack_b32_f16 v42, v11 /*v267*/, v42
	s_delay_alu instid0(VALU_DEP_2)
	v_lshlrev_b32_e32 v46, 4, v46
	s_set_vgpr_msb 0x45                     ;  msbs: dst=1 src0=1 src1=1 src2=0
	v_pack_b32_f16 v11 /*v267*/, v16 /*v272*/, v18 /*v274*/
	v_and_b32_e32 v16 /*v272*/, 0xf0f0f0f, v19 /*v275*/
	s_wait_loadcnt 0x10
	v_ashrrev_i32_e32 v18 /*v274*/, v2 /*v258*/, v34 /*v290*/
	v_and_b32_e32 v17 /*v273*/, 0x1000, v17 /*v273*/
	s_set_vgpr_msb 0                        ;  msbs: dst=0 src0=0 src1=0 src2=0
	v_and_b32_e32 v46, 16, v46
	s_set_vgpr_msb 4                        ;  msbs: dst=0 src0=0 src1=1 src2=0
	v_pk_mul_f16 v40, v42, v10 /*v266*/
	s_set_vgpr_msb 5                        ;  msbs: dst=0 src0=1 src1=1 src2=0
	v_lshrrev_b32_e32 v42, v5 /*v261*/, v31 /*v287*/
	s_set_vgpr_msb 0x45                     ;  msbs: dst=1 src0=1 src1=1 src2=0
	v_pk_mul_f16 v10 /*v266*/, v11 /*v267*/, v10 /*v266*/
	v_and_b32_e32 v18 /*v274*/, 0xf0f0f0f, v18 /*v274*/
	s_set_vgpr_msb 0x54                     ;  msbs: dst=1 src0=0 src1=1 src2=1
	v_or3_b32 v17 /*v273*/, v46, v16 /*v272*/, v17 /*v273*/
	s_set_vgpr_msb 16                       ;  msbs: dst=0 src0=0 src1=0 src2=1
	v_pk_fma_f16 v46, v40, v227, v8 /*v264*/
	s_set_vgpr_msb 0x50                     ;  msbs: dst=1 src0=0 src1=0 src2=1
	v_pk_fma_f16 v8 /*v264*/, v40, v133, v12 /*v268*/
	s_set_vgpr_msb 17                       ;  msbs: dst=0 src0=1 src1=0 src2=1
	v_and_b32_e32 v40, 0xffff, v47
	v_pk_fma_f16 v47, v10 /*v266*/, v227, v9 /*v265*/
	s_set_vgpr_msb 0x44                     ;  msbs: dst=1 src0=0 src1=1 src2=0
	v_lshlrev_b16 v11 /*v267*/, 8, v17 /*v273*/
	s_wait_loadcnt 0x9
	s_set_vgpr_msb 5                        ;  msbs: dst=0 src0=1 src1=1 src2=0
	v_lshrrev_b32_e32 v227, v3 /*v259*/, v42 /*v298*/
	s_set_vgpr_msb 0                        ;  msbs: dst=0 src0=0 src1=0 src2=0
	v_dual_lshlrev_b32 v41, 20, v41 :: v_dual_lshlrev_b32 v42, 28, v42
	s_set_vgpr_msb 0x51                     ;  msbs: dst=1 src0=1 src1=0 src2=1
	v_pk_fma_f16 v9 /*v265*/, v10 /*v266*/, v133, v13 /*v269*/
	s_set_vgpr_msb 0x44                     ;  msbs: dst=1 src0=0 src1=1 src2=0
	v_add_nc_u16 v11 /*v267*/, 0xf000, v11 /*v267*/
	s_set_vgpr_msb 0                        ;  msbs: dst=0 src0=0 src1=0 src2=0
	v_lshlrev_b32_e32 v227, 12, v227
	v_and_b32_e32 v41, 0x100000, v41
	v_and_b32_e32 v42, 0x10000000, v42
	s_set_vgpr_msb 0x41                     ;  msbs: dst=1 src0=1 src1=0 src2=0
	v_add_nc_u64_e32 v[12:13] /*v[268:269]*/, v[14:15] /*v[270:271]*/, v[230:231]
	v_add_nc_u64_e32 v[14:15] /*v[270:271]*/, s[10:11], v[146:147]
	s_set_vgpr_msb 1                        ;  msbs: dst=0 src0=1 src1=0 src2=0
	v_mul_u32_u24_e32 v133, 0x10001, v40
	v_and_b32_e32 v227, 0x1000, v227
	v_or3_b32 v40, v16 /*v272*/, v41, v42
	s_set_vgpr_msb 4                        ;  msbs: dst=0 src0=0 src1=1 src2=0
	v_lshrrev_b16 v41, 8, v11 /*v267*/
	v_lshrrev_b32_e32 v42, v254, v42 /*v298*/
	s_set_vgpr_msb 0x45                     ;  msbs: dst=1 src0=1 src1=1 src2=0
	v_dual_lshrrev_b32 v20 /*v276*/, v4 /*v260*/, v42 /*v298*/ :: v_dual_lshrrev_b32 v21 /*v277*/, v5 /*v261*/, v42 /*v298*/
	s_set_vgpr_msb 0x41                     ;  msbs: dst=1 src0=1 src1=0 src2=0
	v_lshrrev_b32_e32 v10 /*v266*/, 16, v40
	v_bitop3_b16 v11 /*v267*/, v17 /*v273*/, v41, 0x1f00 bitop3:0xec
	s_set_vgpr_msb 1                        ;  msbs: dst=0 src0=1 src1=0 src2=0
	v_add_nc_u64_e32 v[40:41], v[12:13] /*v[268:269]*/, v[190:191]
	s_set_vgpr_msb 0x41                     ;  msbs: dst=1 src0=1 src1=0 src2=0
	v_add_nc_u64_e32 v[16:17] /*v[272:273]*/, v[14:15] /*v[270:271]*/, v[232:233]
	s_set_vgpr_msb 0                        ;  msbs: dst=0 src0=0 src1=0 src2=0
	v_lshlrev_b32_e32 v42, 4, v42
	s_set_vgpr_msb 64                       ;  msbs: dst=1 src0=0 src1=0 src2=0
	s_clause 0x3
	global_load_b32 v29 /*v285*/, v[40:41], off offset:6
	s_set_vgpr_msb 0x41                     ;  msbs: dst=1 src0=1 src1=0 src2=0
	global_load_u16 v31 /*v287*/, v[16:17] /*v[272:273]*/, off
	global_load_b32 v32 /*v288*/, v[12:13] /*v[268:269]*/, off offset:2
	s_wait_xcnt 0x2
	s_set_vgpr_msb 4                        ;  msbs: dst=0 src0=0 src1=1 src2=0
	v_and_b32_e32 v41, 0x1f00, v10 /*v266*/
	s_set_vgpr_msb 0x44                     ;  msbs: dst=1 src0=0 src1=1 src2=0
	v_add_nc_u16 v11 /*v267*/, 0xf000, v11 /*v267*/
	v_lshlrev_b16 v19 /*v275*/, 8, v10 /*v266*/
	v_dual_lshlrev_b32 v20 /*v276*/, 20, v20 /*v276*/ :: v_dual_lshlrev_b32 v21 /*v277*/, 28, v21 /*v277*/
	s_set_vgpr_msb 0                        ;  msbs: dst=0 src0=0 src1=0 src2=0
	v_add_nc_u16 v41, 0xf000, v41
	v_and_b32_e32 v42, 16, v42
	s_set_vgpr_msb 4                        ;  msbs: dst=0 src0=0 src1=1 src2=0
	v_lshrrev_b32_e32 v40, 8, v11 /*v267*/
	s_set_vgpr_msb 0x41                     ;  msbs: dst=1 src0=1 src1=0 src2=0
	v_bfe_i32 v10 /*v266*/, v11 /*v267*/, 0, 8
	s_set_vgpr_msb 0x44                     ;  msbs: dst=1 src0=0 src1=1 src2=0
	v_and_b32_e32 v20 /*v276*/, 0x100000, v20 /*v276*/
	s_set_vgpr_msb 0                        ;  msbs: dst=0 src0=0 src1=0 src2=0
	v_lshrrev_b32_e32 v41, 8, v41
	s_set_vgpr_msb 4                        ;  msbs: dst=0 src0=0 src1=1 src2=0
	v_or3_b32 v42, v42, v18 /*v274*/, v227
	v_add_nc_u16 v227, 0xf000, v19 /*v275*/
	v_bfe_i32 v40, v40, 0, 8
	s_set_vgpr_msb 0x41                     ;  msbs: dst=1 src0=1 src1=0 src2=0
	v_cvt_f16_i16_e64 v10 /*v266*/, v10 /*v266*/
	s_set_vgpr_msb 0                        ;  msbs: dst=0 src0=0 src1=0 src2=0
	v_bfe_i32 v41, v41, 0, 8
	s_set_vgpr_msb 64                       ;  msbs: dst=1 src0=0 src1=0 src2=0
	v_lshlrev_b16 v11 /*v267*/, 8, v42
	s_set_vgpr_msb 0                        ;  msbs: dst=0 src0=0 src1=0 src2=0
	v_ashrrev_i16 v227, 8, v227
	v_cvt_f16_i16_e32 v40, v40
	s_set_vgpr_msb 0x44                     ;  msbs: dst=1 src0=0 src1=1 src2=0
	v_mul_u32_u24_e32 v19 /*v275*/, 0x10001, v58 /*v314*/
	s_set_vgpr_msb 0                        ;  msbs: dst=0 src0=0 src1=0 src2=0
	v_cvt_f16_i16_e32 v41, v41
	s_set_vgpr_msb 0x44                     ;  msbs: dst=1 src0=0 src1=1 src2=0
	v_add_nc_u16 v11 /*v267*/, 0xf000, v11 /*v267*/
	s_set_vgpr_msb 0                        ;  msbs: dst=0 src0=0 src1=0 src2=0
	v_cvt_f16_i16_e64 v227, v227
	s_set_vgpr_msb 1                        ;  msbs: dst=0 src0=1 src1=0 src2=0
	v_pack_b32_f16 v40, v10 /*v266*/, v40
	s_set_vgpr_msb 0x41                     ;  msbs: dst=1 src0=1 src1=0 src2=0
	v_mul_u32_u24_e32 v34 /*v290*/, 0x10001, v43
	v_add_nc_u64_e32 v[14:15] /*v[270:271]*/, v[14:15] /*v[270:271]*/, v[230:231]
	s_set_vgpr_msb 0x44                     ;  msbs: dst=1 src0=0 src1=1 src2=0
	v_lshrrev_b16 v11 /*v267*/, 8, v11 /*v267*/
	s_set_vgpr_msb 0                        ;  msbs: dst=0 src0=0 src1=0 src2=0
	v_pack_b32_f16 v41, v227, v41
	s_set_vgpr_msb 4                        ;  msbs: dst=0 src0=0 src1=1 src2=0
	v_pk_mul_f16 v227, v40, v19 /*v275*/
	v_bitop3_b16 v42, v42, v11 /*v267*/, 0x1f00 bitop3:0xec
	s_set_vgpr_msb 0x44                     ;  msbs: dst=1 src0=0 src1=1 src2=0
	v_and_b32_e32 v11 /*v267*/, 0x10000000, v21 /*v277*/
	s_set_vgpr_msb 0                        ;  msbs: dst=0 src0=0 src1=0 src2=0
	v_pk_fma_f16 v40, v227, v133, v44
	v_add_nc_u16 v42, 0xf000, v42
	s_set_vgpr_msb 0x55                     ;  msbs: dst=1 src0=1 src1=1 src2=1
	v_or3_b32 v10 /*v266*/, v18 /*v274*/, v20 /*v276*/, v11 /*v267*/
	s_set_vgpr_msb 0x54                     ;  msbs: dst=1 src0=0 src1=1 src2=1
	v_pk_mul_f16 v18 /*v274*/, v41, v19 /*v275*/
	s_delay_alu instid0(VALU_DEP_2) | instskip(SKIP_2) | instid1(VALU_DEP_3)
	v_lshrrev_b32_e32 v11 /*v267*/, 16, v10 /*v266*/
	v_pk_fma_f16 v10 /*v266*/, v227, v34 /*v290*/, v6 /*v262*/
	s_set_vgpr_msb 1                        ;  msbs: dst=0 src0=1 src1=0 src2=0
	v_pk_fma_f16 v41, v18 /*v274*/, v133, v45
	s_set_vgpr_msb 0x44                     ;  msbs: dst=1 src0=0 src1=1 src2=0
	v_and_b32_e32 v19 /*v275*/, 0x1f00, v11 /*v267*/
	s_set_vgpr_msb 4                        ;  msbs: dst=0 src0=0 src1=1 src2=0
	s_delay_alu instid0(VALU_DEP_1)
	v_add_nc_u16 v227, 0xf000, v19 /*v275*/
	s_set_vgpr_msb 0                        ;  msbs: dst=0 src0=0 src1=0 src2=0
	v_lshrrev_b32_e32 v43, 8, v42
	v_bfe_i32 v42, v42, 0, 8
	s_set_vgpr_msb 0x55                     ;  msbs: dst=1 src0=1 src1=1 src2=1
	v_lshlrev_b16 v19 /*v275*/, 8, v11 /*v267*/
	v_pk_fma_f16 v11 /*v267*/, v18 /*v274*/, v34 /*v290*/, v7 /*v263*/
	s_set_vgpr_msb 0                        ;  msbs: dst=0 src0=0 src1=0 src2=0
	v_lshrrev_b32_e32 v227, 8, v227
	v_bfe_i32 v43, v43, 0, 8
	v_cvt_f16_i16_e32 v42, v42
	s_set_vgpr_msb 0x44                     ;  msbs: dst=1 src0=0 src1=1 src2=0
	v_add_nc_u16 v19 /*v275*/, 0xf000, v19 /*v275*/
	s_set_vgpr_msb 0                        ;  msbs: dst=0 src0=0 src1=0 src2=0
	v_bfe_i32 v227, v227, 0, 8
	v_cvt_f16_i16_e32 v43, v43
	s_delay_alu instid0(VALU_DEP_2) | instskip(SKIP_1) | instid1(VALU_DEP_2)
	v_cvt_f16_i16_e64 v227, v227
	s_set_vgpr_msb 64                       ;  msbs: dst=1 src0=0 src1=0 src2=0
	v_pack_b32_f16 v18 /*v274*/, v42, v43
	s_set_vgpr_msb 1                        ;  msbs: dst=0 src0=1 src1=0 src2=0
	v_add_nc_u64_e32 v[42:43], v[16:17] /*v[272:273]*/, v[188:189]
	s_set_vgpr_msb 64                       ;  msbs: dst=1 src0=0 src1=0 src2=0
	s_clause 0x4
	global_load_b32 v43 /*v299*/, v[42:43], off offset:6
	s_set_vgpr_msb 0x45                     ;  msbs: dst=1 src0=1 src1=1 src2=0
	global_load_u16 v44 /*v300*/, v[14:15] /*v[270:271]*/, off
	global_load_b32 v45 /*v301*/, v[16:17] /*v[272:273]*/, off offset:2
	global_load_u16 v46 /*v302*/, v[12:13] /*v[268:269]*/, off
	v_pk_mul_f16 v42 /*v298*/, v18 /*v274*/, v30 /*v286*/
	v_ashrrev_i16 v18 /*v274*/, 8, v19 /*v275*/
	s_set_vgpr_msb 0x44                     ;  msbs: dst=1 src0=0 src1=1 src2=0
	v_lshrrev_b32_e32 v19 /*v275*/, v254, v39 /*v295*/
	s_wait_xcnt 0x3
	s_set_vgpr_msb 0                        ;  msbs: dst=0 src0=0 src1=0 src2=0
	v_add_nc_u64_e32 v[42:43], s[10:11], v[152:153]
	s_wait_xcnt 0x1
	s_set_vgpr_msb 0x41                     ;  msbs: dst=1 src0=1 src1=0 src2=0
	v_cvt_f16_i16_e64 v16 /*v272*/, v18 /*v274*/
	s_wait_xcnt 0x0
	s_set_vgpr_msb 0x45                     ;  msbs: dst=1 src0=1 src1=1 src2=0
	v_lshlrev_b32_e32 v13 /*v269*/, 4, v19 /*v275*/
	v_lshrrev_b32_e32 v19 /*v275*/, v4 /*v260*/, v39 /*v295*/
	s_set_vgpr_msb 1                        ;  msbs: dst=0 src0=1 src1=0 src2=0
	v_pack_b32_f16 v227, v16 /*v272*/, v227
	s_set_vgpr_msb 0x45                     ;  msbs: dst=1 src0=1 src1=1 src2=0
	s_delay_alu instid0(VALU_DEP_2)
	v_lshlrev_b32_e32 v47 /*v303*/, 20, v19 /*v275*/
	v_dual_lshrrev_b32 v20 /*v276*/, v3 /*v259*/, v39 /*v295*/ :: v_dual_bitop2_b32 v18 /*v274*/, 16, v13 /*v269*/ bitop3:0x40
	v_ashrrev_i32_e32 v12 /*v268*/, v2 /*v258*/, v35 /*v291*/
	s_set_vgpr_msb 4                        ;  msbs: dst=0 src0=0 src1=1 src2=0
	v_pk_mul_f16 v227, v227, v30 /*v286*/
	s_set_vgpr_msb 0x45                     ;  msbs: dst=1 src0=1 src1=1 src2=0
	v_and_b32_e32 v30 /*v286*/, 0x100000, v47 /*v303*/
	v_dual_lshlrev_b32 v17 /*v273*/, 12, v20 /*v276*/ :: v_dual_lshrrev_b32 v20 /*v276*/, v5 /*v261*/, v39 /*v295*/
	v_and_b32_e32 v35 /*v291*/, 0xf0f0f0f, v12 /*v268*/
	s_set_vgpr_msb 64                       ;  msbs: dst=1 src0=0 src1=0 src2=0
	v_add_nc_u64_e32 v[12:13] /*v[268:269]*/, v[42:43], v[232:233]
	s_set_vgpr_msb 0                        ;  msbs: dst=0 src0=0 src1=0 src2=0
	v_add_nc_u64_e32 v[42:43], v[42:43], v[230:231]
	s_set_vgpr_msb 0x55                     ;  msbs: dst=1 src0=1 src1=1 src2=1
	v_and_b32_e32 v17 /*v273*/, 0x1000, v17 /*v273*/
	v_lshlrev_b32_e32 v48 /*v304*/, 28, v20 /*v276*/
	s_delay_alu instid0(VALU_DEP_2)
	v_or3_b32 v39 /*v295*/, v18 /*v274*/, v35 /*v291*/, v17 /*v273*/
	s_set_vgpr_msb 0x41                     ;  msbs: dst=1 src0=1 src1=0 src2=0
	v_add_nc_u64_e32 v[16:17] /*v[272:273]*/, v[14:15] /*v[270:271]*/, v[190:191]
	v_add_nc_u64_e32 v[18:19] /*v[274:275]*/, v[12:13] /*v[268:269]*/, v[188:189]
	s_set_vgpr_msb 64                       ;  msbs: dst=1 src0=0 src1=0 src2=0
	v_add_nc_u64_e32 v[20:21] /*v[276:277]*/, v[42:43], v[190:191]
	s_set_vgpr_msb 0x44                     ;  msbs: dst=1 src0=0 src1=1 src2=0
	v_and_b32_e32 v47 /*v303*/, 0x10000000, v48 /*v304*/
	v_lshlrev_b16 v48 /*v304*/, 8, v39 /*v295*/
	s_set_vgpr_msb 0x41                     ;  msbs: dst=1 src0=1 src1=0 src2=0
	s_clause 0x9
	global_load_b32 v49 /*v305*/, v[16:17] /*v[272:273]*/, off offset:6
	global_load_b32 v50 /*v306*/, v[18:19] /*v[274:275]*/, off offset:6
	;; [unrolled: 1-line block ×3, first 2 shown]
	s_set_vgpr_msb 64                       ;  msbs: dst=1 src0=0 src1=0 src2=0
	global_load_b32 v52 /*v308*/, v[42:43], off offset:2
	global_load_u16 v53 /*v309*/, v[42:43], off
	s_set_vgpr_msb 0x41                     ;  msbs: dst=1 src0=1 src1=0 src2=0
	global_load_b32 v54 /*v310*/, v[12:13] /*v[268:269]*/, off offset:2
	global_load_u16 v55 /*v311*/, v[12:13] /*v[268:269]*/, off
	global_load_b32 v56 /*v312*/, v[14:15] /*v[270:271]*/, off offset:2
	s_wait_xcnt 0x3
	s_set_vgpr_msb 1                        ;  msbs: dst=0 src0=1 src1=0 src2=0
	v_pk_fma_f16 v42, v42 /*v298*/, v133, v46
	s_wait_xcnt 0x1
	s_set_vgpr_msb 0x44                     ;  msbs: dst=1 src0=0 src1=1 src2=0
	v_add_nc_u16 v13 /*v269*/, 0xf000, v48 /*v304*/
	s_set_vgpr_msb 0                        ;  msbs: dst=0 src0=0 src1=0 src2=0
	v_pk_fma_f16 v43, v227, v133, v47
	s_set_vgpr_msb 21                       ;  msbs: dst=0 src0=1 src1=1 src2=1
	v_or3_b32 v133, v35 /*v291*/, v30 /*v286*/, v47 /*v303*/
	s_set_vgpr_msb 0                        ;  msbs: dst=0 src0=0 src1=0 src2=0
	ds_store_b128 v239, v[44:47]
	s_set_vgpr_msb 4                        ;  msbs: dst=0 src0=0 src1=1 src2=0
	ds_store_b128 v239, v[6:9] /*v[262:265]*/ offset:16
	v_lshrrev_b32_e32 v46, v254, v37 /*v293*/
	s_set_vgpr_msb 5                        ;  msbs: dst=0 src0=1 src1=1 src2=0
	v_lshrrev_b32_e32 v47, v3 /*v259*/, v37 /*v293*/
	s_wait_xcnt 0x0
	s_set_vgpr_msb 0x54                     ;  msbs: dst=1 src0=0 src1=1 src2=1
	v_lshrrev_b16 v14 /*v270*/, 8, v13 /*v269*/
	v_pk_fma_f16 v13 /*v269*/, v227, v34 /*v290*/, v9 /*v265*/
	s_set_vgpr_msb 0                        ;  msbs: dst=0 src0=0 src1=0 src2=0
	v_dual_lshrrev_b32 v44, 16, v133 :: v_dual_lshlrev_b32 v46, 4, v46
	s_set_vgpr_msb 5                        ;  msbs: dst=0 src0=1 src1=1 src2=0
	v_ashrrev_i32_e32 v227, v2 /*v258*/, v36 /*v292*/
	s_set_vgpr_msb 0                        ;  msbs: dst=0 src0=0 src1=0 src2=0
	v_lshlrev_b32_e32 v47, 12, v47
	s_set_vgpr_msb 5                        ;  msbs: dst=0 src0=1 src1=1 src2=0
	v_bitop3_b16 v45, v39 /*v295*/, v14 /*v270*/, 0x1f00 bitop3:0xec
	s_set_vgpr_msb 0x55                     ;  msbs: dst=1 src0=1 src1=1 src2=1
	v_pk_fma_f16 v12 /*v268*/, v42 /*v298*/, v34 /*v290*/, v8 /*v264*/
	s_set_vgpr_msb 0                        ;  msbs: dst=0 src0=0 src1=0 src2=0
	v_and_b32_e32 v46, 16, v46
	v_and_b32_e32 v227, 0xf0f0f0f, v227
	;; [unrolled: 1-line block ×3, first 2 shown]
	v_add_nc_u16 v45, 0xf000, v45
	v_lshlrev_b16 v133, 8, v44
	v_and_b32_e32 v44, 0x1f00, v44
	s_set_vgpr_msb 0x44                     ;  msbs: dst=1 src0=0 src1=1 src2=0
	v_mul_u32_u24_e32 v7 /*v263*/, 0x10001, v40 /*v296*/
	s_set_vgpr_msb 0                        ;  msbs: dst=0 src0=0 src1=0 src2=0
	v_or3_b32 v46, v46, v227, v47
	s_set_vgpr_msb 64                       ;  msbs: dst=1 src0=0 src1=0 src2=0
	v_lshrrev_b32_e32 v6 /*v262*/, 8, v45
	s_set_vgpr_msb 0                        ;  msbs: dst=0 src0=0 src1=0 src2=0
	v_bfe_i32 v45, v45, 0, 8
	v_add_nc_u16 v44, 0xf000, v44
	v_add_nc_u16 v133, 0xf000, v133
	s_set_vgpr_msb 64                       ;  msbs: dst=1 src0=0 src1=0 src2=0
	v_lshlrev_b16 v9 /*v265*/, 8, v46
	s_set_vgpr_msb 1                        ;  msbs: dst=0 src0=1 src1=0 src2=0
	v_bfe_i32 v47, v6 /*v262*/, 0, 8
	s_set_vgpr_msb 0x45                     ;  msbs: dst=1 src0=1 src1=1 src2=0
	v_dual_lshrrev_b32 v6 /*v262*/, v4 /*v260*/, v37 /*v293*/ :: v_dual_lshrrev_b32 v8 /*v264*/, v5 /*v261*/, v37 /*v293*/
	s_set_vgpr_msb 0                        ;  msbs: dst=0 src0=0 src1=0 src2=0
	v_cvt_f16_i16_e32 v45, v45
	s_set_vgpr_msb 0x44                     ;  msbs: dst=1 src0=0 src1=1 src2=0
	v_add_nc_u16 v9 /*v265*/, 0xf000, v9 /*v265*/
	s_set_vgpr_msb 0                        ;  msbs: dst=0 src0=0 src1=0 src2=0
	v_cvt_f16_i16_e32 v47, v47
	s_set_vgpr_msb 0x44                     ;  msbs: dst=1 src0=0 src1=1 src2=0
	v_dual_lshlrev_b32 v6 /*v262*/, 20, v6 /*v262*/ :: v_dual_lshlrev_b32 v8 /*v264*/, 28, v8 /*v264*/
	s_set_vgpr_msb 0                        ;  msbs: dst=0 src0=0 src1=0 src2=0
	v_ashrrev_i16 v133, 8, v133
	s_set_vgpr_msb 0x44                     ;  msbs: dst=1 src0=0 src1=1 src2=0
	v_lshrrev_b16 v9 /*v265*/, 8, v9 /*v265*/
	s_set_vgpr_msb 0                        ;  msbs: dst=0 src0=0 src1=0 src2=0
	v_pack_b32_f16 v45, v45, v47
	s_set_vgpr_msb 0x44                     ;  msbs: dst=1 src0=0 src1=1 src2=0
	v_and_b32_e32 v6 /*v262*/, 0x100000, v6 /*v262*/
	s_set_vgpr_msb 0                        ;  msbs: dst=0 src0=0 src1=0 src2=0
	ds_store_b128 v239, v[40:43]
	s_set_vgpr_msb 4                        ;  msbs: dst=0 src0=0 src1=1 src2=0
	ds_store_b128 v239, v[10:13] /*v[266:269]*/ offset:16
	v_cvt_f16_i16_e64 v133, v133
	v_bitop3_b16 v46, v46, v9 /*v265*/, 0x1f00 bitop3:0xec
	s_wait_loadcnt 0x12
	s_set_vgpr_msb 0x44                     ;  msbs: dst=1 src0=0 src1=1 src2=0
	v_lshrrev_b32_e32 v9 /*v265*/, v254, v41 /*v297*/
	v_and_b32_e32 v8 /*v264*/, 0x10000000, v8 /*v264*/
	s_set_vgpr_msb 4                        ;  msbs: dst=0 src0=0 src1=1 src2=0
	v_pk_mul_f16 v45, v45, v7 /*v263*/
	s_wait_dscnt 0x10
	s_set_vgpr_msb 64                       ;  msbs: dst=1 src0=0 src1=0 src2=0
	v_lshrrev_b32_e32 v18 /*v274*/, 16, v36
	s_set_vgpr_msb 0                        ;  msbs: dst=0 src0=0 src1=0 src2=0
	v_add_nc_u16 v46, 0xf000, v46
	v_and_b32_e32 v36, 0xffff, v36
	s_set_vgpr_msb 20                       ;  msbs: dst=0 src0=0 src1=1 src2=1
	v_or3_b32 v47, v227, v6 /*v262*/, v8 /*v264*/
	s_set_vgpr_msb 0                        ;  msbs: dst=0 src0=0 src1=0 src2=0
	v_lshrrev_b32_e32 v44, 8, v44
	s_set_vgpr_msb 4                        ;  msbs: dst=0 src0=0 src1=1 src2=0
	v_mul_u32_u24_e32 v227, 0x10001, v62 /*v318*/
	s_wait_dscnt 0xf
	s_set_vgpr_msb 64                       ;  msbs: dst=1 src0=0 src1=0 src2=0
	v_dual_lshrrev_b32 v8 /*v264*/, 8, v46 :: v_dual_lshrrev_b32 v21 /*v277*/, 16, v32
	s_set_vgpr_msb 0                        ;  msbs: dst=0 src0=0 src1=0 src2=0
	v_lshrrev_b32_e32 v47, 16, v47
	v_bfe_i32 v44, v44, 0, 8
	v_pk_fma_f16 v40, v45, v227, v40
	v_and_b32_e32 v32, 0xffff, v32
	v_mul_u32_u24_e32 v36, 0x10001, v36
	s_set_vgpr_msb 64                       ;  msbs: dst=1 src0=0 src1=0 src2=0
	v_dual_lshrrev_b32 v19 /*v275*/, 16, v38 :: v_dual_lshrrev_b32 v20 /*v276*/, 16, v39
	s_set_vgpr_msb 0                        ;  msbs: dst=0 src0=0 src1=0 src2=0
	v_cvt_f16_i16_e32 v44, v44
	v_mul_u32_u24_e32 v32, 0x10001, v32
	s_set_vgpr_msb 64                       ;  msbs: dst=1 src0=0 src1=0 src2=0
	v_lshrrev_b32_e32 v30 /*v286*/, 16, v34
	s_set_vgpr_msb 0                        ;  msbs: dst=0 src0=0 src1=0 src2=0
	v_and_b32_e32 v34, 0xffff, v34
	v_pack_b32_f16 v44, v133, v44
	s_set_vgpr_msb 4                        ;  msbs: dst=0 src0=0 src1=1 src2=0
	v_mul_u32_u24_e32 v133, 0x10001, v65 /*v321*/
	s_set_vgpr_msb 0                        ;  msbs: dst=0 src0=0 src1=0 src2=0
	v_mul_u32_u24_e32 v34, 0x10001, v34
	s_set_vgpr_msb 0x44                     ;  msbs: dst=1 src0=0 src1=1 src2=0
	v_pk_mul_f16 v6 /*v262*/, v44, v7 /*v263*/
	s_set_vgpr_msb 64                       ;  msbs: dst=1 src0=0 src1=0 src2=0
	v_and_b32_e32 v7 /*v263*/, 0x1f00, v47
	s_set_vgpr_msb 16                       ;  msbs: dst=0 src0=0 src1=0 src2=1
	v_lshlrev_b16 v47, 8, v47
	v_pk_fma_f16 v44, v45, v133, v10 /*v266*/
	v_bfe_i32 v45, v46, 0, 8
	s_set_vgpr_msb 0x45                     ;  msbs: dst=1 src0=1 src1=1 src2=0
	v_lshrrev_b32_e32 v10 /*v266*/, v3 /*v259*/, v41 /*v297*/
	s_set_vgpr_msb 4                        ;  msbs: dst=0 src0=0 src1=1 src2=0
	v_add_nc_u16 v46, 0xf000, v7 /*v263*/
	s_set_vgpr_msb 0                        ;  msbs: dst=0 src0=0 src1=0 src2=0
	v_add_nc_u16 v47, 0xf000, v47
	s_set_vgpr_msb 0x41                     ;  msbs: dst=1 src0=1 src1=0 src2=0
	v_bfe_i32 v7 /*v263*/, v8 /*v264*/, 0, 8
	s_set_vgpr_msb 0                        ;  msbs: dst=0 src0=0 src1=0 src2=0
	v_cvt_f16_i16_e32 v45, v45
	s_set_vgpr_msb 0x44                     ;  msbs: dst=1 src0=0 src1=1 src2=0
	v_mul_u32_u24_e32 v8 /*v264*/, 0x10001, v38 /*v294*/
	s_set_vgpr_msb 0                        ;  msbs: dst=0 src0=0 src1=0 src2=0
	v_lshrrev_b32_e32 v46, 8, v46
	v_ashrrev_i16 v47, 8, v47
	s_set_vgpr_msb 0x41                     ;  msbs: dst=1 src0=1 src1=0 src2=0
	v_cvt_f16_i16_e64 v7 /*v263*/, v7 /*v263*/
	s_set_vgpr_msb 1                        ;  msbs: dst=0 src0=1 src1=0 src2=0
	v_pk_fma_f16 v41, v6 /*v262*/, v227, v41
	s_set_vgpr_msb 0                        ;  msbs: dst=0 src0=0 src1=0 src2=0
	v_bfe_i32 v46, v46, 0, 8
	v_cvt_f16_i16_e32 v47, v47
	s_set_vgpr_msb 0x44                     ;  msbs: dst=1 src0=0 src1=1 src2=0
	v_pack_b32_f16 v7 /*v263*/, v45, v7 /*v263*/
	s_set_vgpr_msb 17                       ;  msbs: dst=0 src0=1 src1=0 src2=1
	v_pk_fma_f16 v45, v6 /*v262*/, v133, v11 /*v267*/
	s_set_vgpr_msb 0x45                     ;  msbs: dst=1 src0=1 src1=1 src2=0
	v_ashrrev_i32_e32 v11 /*v267*/, v2 /*v258*/, v26 /*v282*/
	s_set_vgpr_msb 0                        ;  msbs: dst=0 src0=0 src1=0 src2=0
	v_cvt_f16_i16_e32 v46, v46
	s_delay_alu instid0(VALU_DEP_1) | instskip(SKIP_3) | instid1(VALU_DEP_2)
	v_pack_b32_f16 v46, v47, v46
	s_set_vgpr_msb 5                        ;  msbs: dst=0 src0=1 src1=1 src2=0
	v_pk_mul_f16 v47, v7 /*v263*/, v8 /*v264*/
	s_set_vgpr_msb 0x44                     ;  msbs: dst=1 src0=0 src1=1 src2=0
	v_pk_mul_f16 v7 /*v263*/, v46, v8 /*v264*/
	s_set_vgpr_msb 0x45                     ;  msbs: dst=1 src0=1 src1=1 src2=0
	v_lshrrev_b32_e32 v8 /*v264*/, v4 /*v260*/, v41 /*v297*/
	v_dual_ashrrev_i32 v14 /*v270*/, v2 /*v258*/, v25 /*v281*/ :: v_dual_lshlrev_b32 v10 /*v266*/, 12, v10 /*v266*/
	v_lshlrev_b32_e32 v9 /*v265*/, 4, v9 /*v265*/
	s_set_vgpr_msb 0                        ;  msbs: dst=0 src0=0 src1=0 src2=0
	v_pk_fma_f16 v42, v47, v227, v42
	s_set_vgpr_msb 0x44                     ;  msbs: dst=1 src0=0 src1=1 src2=0
	v_lshlrev_b32_e32 v8 /*v264*/, 20, v8 /*v264*/
	v_and_b32_e32 v14 /*v270*/, 0xf0f0f0f, v14 /*v270*/
	v_and_b32_e32 v10 /*v266*/, 0x1000, v10 /*v266*/
	;; [unrolled: 1-line block ×3, first 2 shown]
	s_set_vgpr_msb 16                       ;  msbs: dst=0 src0=0 src1=0 src2=1
	v_pk_fma_f16 v46, v47, v133, v12 /*v268*/
	s_set_vgpr_msb 1                        ;  msbs: dst=0 src0=1 src1=0 src2=0
	v_pk_fma_f16 v43, v7 /*v263*/, v227, v43
	s_set_vgpr_msb 17                       ;  msbs: dst=0 src0=1 src1=0 src2=1
	v_pk_fma_f16 v47, v7 /*v263*/, v133, v13 /*v269*/
	s_set_vgpr_msb 4                        ;  msbs: dst=0 src0=0 src1=1 src2=0
	v_and_b32_e32 v133, 0x100000, v8 /*v264*/
	s_set_vgpr_msb 0x55                     ;  msbs: dst=1 src0=1 src1=1 src2=1
	v_or3_b32 v6 /*v262*/, v9 /*v265*/, v14 /*v270*/, v10 /*v266*/
	v_dual_lshrrev_b32 v9 /*v265*/, v5 /*v261*/, v41 /*v297*/ :: v_dual_lshrrev_b32 v13 /*v269*/, v5 /*v261*/, v28 /*v284*/
	s_wait_loadcnt 0x10
	v_mul_u32_u24_e32 v12 /*v268*/, 0x10001, v23 /*v279*/
	s_set_vgpr_msb 0                        ;  msbs: dst=0 src0=0 src1=0 src2=0
	ds_store_b128 v239, v[40:43]
	ds_store_b128 v239, v[44:47] offset:16
	s_set_vgpr_msb 0x44                     ;  msbs: dst=1 src0=0 src1=1 src2=0
	v_lshlrev_b16 v10 /*v266*/, 8, v6 /*v262*/
	s_set_vgpr_msb 64                       ;  msbs: dst=1 src0=0 src1=0 src2=0
	v_lshrrev_b32_e32 v25 /*v281*/, 16, v33
	s_set_vgpr_msb 0                        ;  msbs: dst=0 src0=0 src1=0 src2=0
	v_and_b32_e32 v33, 0xffff, v33
	s_set_vgpr_msb 0x45                     ;  msbs: dst=1 src0=1 src1=1 src2=0
	v_add_nc_u16 v10 /*v266*/, 0xf000, v10 /*v266*/
	s_delay_alu instid0(VALU_DEP_1) | instskip(SKIP_1) | instid1(VALU_DEP_2)
	v_lshrrev_b16 v7 /*v263*/, 8, v10 /*v266*/
	v_dual_lshrrev_b32 v10 /*v266*/, v3 /*v259*/, v28 /*v284*/ :: v_dual_lshlrev_b32 v9 /*v265*/, 28, v9 /*v265*/
	v_bitop3_b16 v6 /*v262*/, v6 /*v262*/, v7 /*v263*/, 0x1f00 bitop3:0xec
	s_delay_alu instid0(VALU_DEP_2) | instskip(SKIP_1) | instid1(VALU_DEP_3)
	v_lshlrev_b32_e32 v10 /*v266*/, 12, v10 /*v266*/
	s_set_vgpr_msb 4                        ;  msbs: dst=0 src0=0 src1=1 src2=0
	v_and_b32_e32 v227, 0x10000000, v9 /*v265*/
	s_set_vgpr_msb 0x44                     ;  msbs: dst=1 src0=0 src1=1 src2=0
	v_lshrrev_b32_e32 v9 /*v265*/, v254, v28 /*v284*/
	v_add_nc_u16 v6 /*v262*/, 0xf000, v6 /*v262*/
	v_and_b32_e32 v10 /*v266*/, 0x1000, v10 /*v266*/
	s_set_vgpr_msb 1                        ;  msbs: dst=0 src0=1 src1=0 src2=0
	v_or3_b32 v133, v14 /*v270*/, v133, v227
	s_set_vgpr_msb 0x44                     ;  msbs: dst=1 src0=0 src1=1 src2=0
	v_lshlrev_b32_e32 v9 /*v265*/, 4, v9 /*v265*/
	s_set_vgpr_msb 0                        ;  msbs: dst=0 src0=0 src1=0 src2=0
	v_lshrrev_b32_e32 v227, 16, v37
	s_set_vgpr_msb 0x44                     ;  msbs: dst=1 src0=0 src1=1 src2=0
	v_lshrrev_b32_e32 v8 /*v264*/, 8, v6 /*v262*/
	s_set_vgpr_msb 0x41                     ;  msbs: dst=1 src0=1 src1=0 src2=0
	v_bfe_i32 v6 /*v262*/, v6 /*v262*/, 0, 8
	s_set_vgpr_msb 0                        ;  msbs: dst=0 src0=0 src1=0 src2=0
	v_lshrrev_b32_e32 v133, 16, v133
	s_set_vgpr_msb 0x41                     ;  msbs: dst=1 src0=1 src1=0 src2=0
	v_bfe_i32 v8 /*v264*/, v8 /*v264*/, 0, 8
	v_cvt_f16_i16_e64 v6 /*v262*/, v6 /*v262*/
	s_delay_alu instid0(VALU_DEP_3)
	v_lshlrev_b16 v7 /*v263*/, 8, v133
	s_set_vgpr_msb 0                        ;  msbs: dst=0 src0=0 src1=0 src2=0
	v_and_b32_e32 v133, 0x1f00, v133
	s_set_vgpr_msb 0x41                     ;  msbs: dst=1 src0=1 src1=0 src2=0
	v_cvt_f16_i16_e64 v8 /*v264*/, v8 /*v264*/
	s_set_vgpr_msb 0x44                     ;  msbs: dst=1 src0=0 src1=1 src2=0
	v_add_nc_u16 v7 /*v263*/, 0xf000, v7 /*v263*/
	s_set_vgpr_msb 0                        ;  msbs: dst=0 src0=0 src1=0 src2=0
	v_add_nc_u16 v133, 0xf000, v133
	s_set_vgpr_msb 0x45                     ;  msbs: dst=1 src0=1 src1=1 src2=0
	v_pack_b32_f16 v6 /*v262*/, v6 /*v262*/, v8 /*v264*/
	v_and_b32_e32 v8 /*v264*/, 0xf0f0f0f, v11 /*v267*/
	v_dual_lshrrev_b32 v11 /*v267*/, v4 /*v260*/, v28 /*v284*/ :: v_dual_bitop2_b32 v9 /*v265*/, 16, v9 /*v265*/ bitop3:0x40
	s_set_vgpr_msb 0                        ;  msbs: dst=0 src0=0 src1=0 src2=0
	v_lshrrev_b32_e32 v133, 8, v133
	s_set_vgpr_msb 0x55                     ;  msbs: dst=1 src0=1 src1=1 src2=1
	v_ashrrev_i16 v7 /*v263*/, 8, v7 /*v263*/
	v_pk_mul_f16 v14 /*v270*/, v6 /*v262*/, v12 /*v268*/
	v_or3_b32 v9 /*v265*/, v9 /*v265*/, v8 /*v264*/, v10 /*v266*/
	v_dual_lshlrev_b32 v10 /*v266*/, 20, v11 /*v267*/ :: v_dual_lshlrev_b32 v11 /*v267*/, 28, v13 /*v269*/
	s_set_vgpr_msb 0                        ;  msbs: dst=0 src0=0 src1=0 src2=0
	v_bfe_i32 v133, v133, 0, 8
	s_set_vgpr_msb 0x41                     ;  msbs: dst=1 src0=1 src1=0 src2=0
	v_cvt_f16_i16_e64 v7 /*v263*/, v7 /*v263*/
	s_set_vgpr_msb 0x44                     ;  msbs: dst=1 src0=0 src1=1 src2=0
	v_lshlrev_b16 v13 /*v269*/, 8, v9 /*v265*/
	v_and_b32_e32 v10 /*v266*/, 0x100000, v10 /*v266*/
	v_and_b32_e32 v11 /*v267*/, 0x10000000, v11 /*v267*/
	s_set_vgpr_msb 0                        ;  msbs: dst=0 src0=0 src1=0 src2=0
	v_cvt_f16_i16_e64 v133, v133
	s_set_vgpr_msb 1                        ;  msbs: dst=0 src0=1 src1=0 src2=0
	v_pk_fma_f16 v40, v14 /*v270*/, v36, v40
	s_set_vgpr_msb 0x44                     ;  msbs: dst=1 src0=0 src1=1 src2=0
	v_add_nc_u16 v13 /*v269*/, 0xf000, v13 /*v269*/
	s_set_vgpr_msb 1                        ;  msbs: dst=0 src0=1 src1=0 src2=0
	v_pk_fma_f16 v44, v14 /*v270*/, v32, v44
	s_set_vgpr_msb 0x55                     ;  msbs: dst=1 src0=1 src1=1 src2=1
	v_or3_b32 v8 /*v264*/, v8 /*v264*/, v10 /*v266*/, v11 /*v267*/
	s_set_vgpr_msb 1                        ;  msbs: dst=0 src0=1 src1=0 src2=0
	v_pack_b32_f16 v133, v7 /*v263*/, v133
	s_set_vgpr_msb 64                       ;  msbs: dst=1 src0=0 src1=0 src2=0
	v_add_nc_u64_e32 v[6:7] /*v[262:263]*/, s[10:11], v[156:157]
	s_set_vgpr_msb 0x44                     ;  msbs: dst=1 src0=0 src1=1 src2=0
	v_lshrrev_b16 v10 /*v266*/, 8, v13 /*v269*/
	s_set_vgpr_msb 4                        ;  msbs: dst=0 src0=0 src1=1 src2=0
	v_pk_mul_f16 v133, v133, v12 /*v268*/
	s_set_vgpr_msb 0x45                     ;  msbs: dst=1 src0=1 src1=1 src2=0
	s_delay_alu instid0(VALU_DEP_2)
	v_bitop3_b16 v13 /*v269*/, v9 /*v265*/, v10 /*v266*/, 0x1f00 bitop3:0xec
	s_set_vgpr_msb 64                       ;  msbs: dst=1 src0=0 src1=0 src2=0
	v_add_nc_u64_e32 v[10:11] /*v[266:267]*/, s[10:11], v[160:161]
	s_set_vgpr_msb 0                        ;  msbs: dst=0 src0=0 src1=0 src2=0
	v_pk_fma_f16 v45, v133, v32, v45
	v_pk_fma_f16 v41, v133, v36, v41
	s_set_vgpr_msb 0x44                     ;  msbs: dst=1 src0=0 src1=1 src2=0
	v_add_nc_u16 v23 /*v279*/, 0xf000, v13 /*v269*/
	v_lshrrev_b32_e32 v12 /*v268*/, 16, v8 /*v264*/
	s_set_vgpr_msb 0x41                     ;  msbs: dst=1 src0=1 src1=0 src2=0
	v_add_nc_u64_e32 v[8:9] /*v[264:265]*/, v[6:7] /*v[262:263]*/, v[232:233]
	v_add_nc_u64_e32 v[6:7] /*v[262:263]*/, v[6:7] /*v[262:263]*/, v[230:231]
	;; [unrolled: 1-line block ×3, first 2 shown]
	s_set_vgpr_msb 0x44                     ;  msbs: dst=1 src0=0 src1=1 src2=0
	v_lshrrev_b32_e32 v34 /*v290*/, 8, v23 /*v279*/
	v_lshlrev_b16 v26 /*v282*/, 8, v12 /*v268*/
	v_and_b32_e32 v28 /*v284*/, 0x1f00, v12 /*v268*/
	s_set_vgpr_msb 0x41                     ;  msbs: dst=1 src0=1 src1=0 src2=0
	v_add_nc_u64_e32 v[12:13] /*v[268:269]*/, v[8:9] /*v[264:265]*/, v[188:189]
	v_add_nc_u64_e32 v[14:15] /*v[270:271]*/, v[6:7] /*v[262:263]*/, v[190:191]
	s_clause 0x5
	global_load_b32 v35 /*v291*/, v[12:13] /*v[268:269]*/, off offset:6
	global_load_b32 v36 /*v292*/, v[14:15] /*v[270:271]*/, off offset:6
	global_load_u16 v37 /*v293*/, v[16:17] /*v[272:273]*/, off
	global_load_b32 v38 /*v294*/, v[6:7] /*v[262:263]*/, off offset:2
	global_load_u16 v39 /*v295*/, v[6:7] /*v[262:263]*/, off
	global_load_b32 v40 /*v296*/, v[8:9] /*v[264:265]*/, off offset:2
	s_set_vgpr_msb 0x44                     ;  msbs: dst=1 src0=0 src1=1 src2=0
	v_add_nc_u16 v28 /*v284*/, 0xf000, v28 /*v284*/
	s_wait_xcnt 0x5
	v_lshrrev_b32_e32 v13 /*v269*/, v254, v22 /*v278*/
	s_wait_loadcnt 0x15
	s_wait_xcnt 0x4
	s_set_vgpr_msb 0x55                     ;  msbs: dst=1 src0=1 src1=1 src2=1
	v_dual_lshrrev_b32 v14 /*v270*/, v3 /*v259*/, v22 /*v278*/ :: v_dual_ashrrev_i32 v15 /*v271*/, v2 /*v258*/, v24 /*v280*/
	s_wait_xcnt 0x1
	v_bfe_i32 v6 /*v262*/, v23 /*v279*/, 0, 8
	v_dual_lshrrev_b32 v23 /*v279*/, 8, v28 /*v284*/ :: v_dual_lshlrev_b32 v13 /*v269*/, 4, v13 /*v269*/
	s_delay_alu instid0(VALU_DEP_3)
	v_lshlrev_b32_e32 v14 /*v270*/, 12, v14 /*v270*/
	v_add_nc_u16 v26 /*v282*/, 0xf000, v26 /*v282*/
	v_bfe_i32 v7 /*v263*/, v34 /*v290*/, 0, 8
	v_and_b32_e32 v15 /*v271*/, 0xf0f0f0f, v15 /*v271*/
	v_and_b32_e32 v13 /*v269*/, 16, v13 /*v269*/
	;; [unrolled: 1-line block ×3, first 2 shown]
	v_cvt_f16_i16_e64 v6 /*v262*/, v6 /*v262*/
	v_cvt_f16_i16_e64 v7 /*v263*/, v7 /*v263*/
	v_ashrrev_i16 v24 /*v280*/, 8, v26 /*v282*/
	v_lshrrev_b32_e32 v26 /*v282*/, v4 /*v260*/, v22 /*v278*/
	v_bfe_i32 v23 /*v279*/, v23 /*v279*/, 0, 8
	v_or3_b32 v13 /*v269*/, v13 /*v269*/, v15 /*v271*/, v14 /*v270*/
	v_pack_b32_f16 v6 /*v262*/, v6 /*v262*/, v7 /*v263*/
	v_cvt_f16_i16_e64 v24 /*v280*/, v24 /*v280*/
	v_mul_u32_u24_e32 v12 /*v268*/, 0x10001, v33 /*v289*/
	v_cvt_f16_i16_e64 v23 /*v279*/, v23 /*v279*/
	v_lshlrev_b16 v7 /*v263*/, 8, v13 /*v269*/
	v_lshrrev_b32_e32 v22 /*v278*/, v5 /*v261*/, v22 /*v278*/
	v_lshlrev_b32_e32 v14 /*v270*/, 20, v26 /*v282*/
	v_pk_mul_f16 v6 /*v262*/, v6 /*v262*/, v12 /*v268*/
	v_pack_b32_f16 v23 /*v279*/, v24 /*v280*/, v23 /*v279*/
	v_add_nc_u16 v7 /*v263*/, 0xf000, v7 /*v263*/
	s_set_vgpr_msb 64                       ;  msbs: dst=1 src0=0 src1=0 src2=0
	v_mul_u32_u24_e32 v28 /*v284*/, 0x10001, v33
	s_set_vgpr_msb 1                        ;  msbs: dst=0 src0=1 src1=0 src2=0
	v_pk_fma_f16 v46, v6 /*v262*/, v32, v46
	s_set_vgpr_msb 0x45                     ;  msbs: dst=1 src0=1 src1=1 src2=0
	v_pk_mul_f16 v12 /*v268*/, v23 /*v279*/, v12 /*v268*/
	v_lshrrev_b16 v7 /*v263*/, 8, v7 /*v263*/
	s_set_vgpr_msb 1                        ;  msbs: dst=0 src0=1 src1=0 src2=0
	v_pk_fma_f16 v42, v6 /*v262*/, v36, v42
	s_wait_loadcnt 0x12
	s_set_vgpr_msb 0x44                     ;  msbs: dst=1 src0=0 src1=1 src2=0
	v_lshrrev_b32_e32 v6 /*v262*/, v254, v32 /*v288*/
	v_and_b32_e32 v14 /*v270*/, 0x100000, v14 /*v270*/
	s_set_vgpr_msb 1                        ;  msbs: dst=0 src0=1 src1=0 src2=0
	v_pk_fma_f16 v47, v12 /*v268*/, v32, v47
	s_set_vgpr_msb 5                        ;  msbs: dst=0 src0=1 src1=1 src2=0
	v_bitop3_b16 v32, v13 /*v269*/, v7 /*v263*/, 0x1f00 bitop3:0xec
	s_set_vgpr_msb 0x45                     ;  msbs: dst=1 src0=1 src1=1 src2=0
	v_dual_lshrrev_b32 v7 /*v263*/, v3 /*v259*/, v32 /*v288*/ :: v_dual_lshlrev_b32 v22 /*v278*/, 28, v22 /*v278*/
	s_set_vgpr_msb 1                        ;  msbs: dst=0 src0=1 src1=0 src2=0
	v_pk_fma_f16 v43, v12 /*v268*/, v36, v43
	s_set_vgpr_msb 0x45                     ;  msbs: dst=1 src0=1 src1=1 src2=0
	v_dual_ashrrev_i32 v12 /*v268*/, v2 /*v258*/, v29 /*v285*/ :: v_dual_lshlrev_b32 v6 /*v262*/, 4, v6 /*v262*/
	v_lshlrev_b32_e32 v7 /*v263*/, 12, v7 /*v263*/
	v_and_b32_e32 v22 /*v278*/, 0x10000000, v22 /*v278*/
	s_set_vgpr_msb 0                        ;  msbs: dst=0 src0=0 src1=0 src2=0
	ds_store_b128 v239, v[40:43]
	ds_store_b128 v239, v[44:47] offset:16
	s_set_vgpr_msb 0x41                     ;  msbs: dst=1 src0=1 src1=0 src2=0
	s_clause 0x1
	global_load_b32 v23 /*v279*/, v[16:17] /*v[272:273]*/, off offset:2
	global_load_u16 v24 /*v280*/, v[8:9] /*v[264:265]*/, off
	s_wait_xcnt 0x0
	s_set_vgpr_msb 0x45                     ;  msbs: dst=1 src0=1 src1=1 src2=0
	v_and_b32_e32 v9 /*v265*/, 0xf0f0f0f, v12 /*v268*/
	v_dual_lshrrev_b32 v12 /*v268*/, v4 /*v260*/, v32 /*v288*/ :: v_dual_bitop2_b32 v6 /*v262*/, 16, v6 /*v262*/ bitop3:0x40
	s_set_vgpr_msb 21                       ;  msbs: dst=0 src0=1 src1=1 src2=1
	v_or3_b32 v133, v15 /*v271*/, v14 /*v270*/, v22 /*v278*/
	s_set_vgpr_msb 0x45                     ;  msbs: dst=1 src0=1 src1=1 src2=0
	v_and_b32_e32 v7 /*v263*/, 0x1000, v7 /*v263*/
	v_lshrrev_b32_e32 v13 /*v269*/, v5 /*v261*/, v32 /*v288*/
	s_set_vgpr_msb 0                        ;  msbs: dst=0 src0=0 src1=0 src2=0
	v_add_nc_u16 v32, 0xf000, v32
	s_set_vgpr_msb 0x44                     ;  msbs: dst=1 src0=0 src1=1 src2=0
	v_mul_u32_u24_e32 v14 /*v270*/, 0x10001, v27 /*v283*/
	s_set_vgpr_msb 0                        ;  msbs: dst=0 src0=0 src1=0 src2=0
	v_lshrrev_b32_e32 v133, 16, v133
	s_set_vgpr_msb 0x55                     ;  msbs: dst=1 src0=1 src1=1 src2=1
	v_or3_b32 v6 /*v262*/, v6 /*v262*/, v9 /*v265*/, v7 /*v263*/
	v_dual_lshlrev_b32 v7 /*v263*/, 20, v12 /*v268*/ :: v_dual_lshlrev_b32 v12 /*v268*/, 28, v13 /*v269*/
	s_set_vgpr_msb 64                       ;  msbs: dst=1 src0=0 src1=0 src2=0
	v_lshrrev_b32_e32 v8 /*v264*/, 8, v32
	s_set_vgpr_msb 0                        ;  msbs: dst=0 src0=0 src1=0 src2=0
	v_lshlrev_b16 v36, 8, v133
	v_and_b32_e32 v133, 0x1f00, v133
	s_set_vgpr_msb 0x44                     ;  msbs: dst=1 src0=0 src1=1 src2=0
	v_lshlrev_b16 v13 /*v269*/, 8, v6 /*v262*/
	v_and_b32_e32 v7 /*v263*/, 0x100000, v7 /*v263*/
	v_and_b32_e32 v12 /*v268*/, 0x10000000, v12 /*v268*/
	s_set_vgpr_msb 0                        ;  msbs: dst=0 src0=0 src1=0 src2=0
	v_add_nc_u16 v36, 0xf000, v36
	v_add_nc_u16 v133, 0xf000, v133
	s_set_vgpr_msb 0x44                     ;  msbs: dst=1 src0=0 src1=1 src2=0
	v_add_nc_u16 v13 /*v269*/, 0xf000, v13 /*v269*/
	s_set_vgpr_msb 0x41                     ;  msbs: dst=1 src0=1 src1=0 src2=0
	v_bfe_i32 v8 /*v264*/, v8 /*v264*/, 0, 8
	s_set_vgpr_msb 0                        ;  msbs: dst=0 src0=0 src1=0 src2=0
	v_bfe_i32 v32, v32, 0, 8
	v_ashrrev_i16 v36, 8, v36
	v_lshrrev_b32_e32 v133, 8, v133
	s_set_vgpr_msb 0x55                     ;  msbs: dst=1 src0=1 src1=1 src2=1
	v_or3_b32 v7 /*v263*/, v9 /*v265*/, v7 /*v263*/, v12 /*v268*/
	v_lshrrev_b16 v9 /*v265*/, 8, v13 /*v269*/
	s_set_vgpr_msb 0                        ;  msbs: dst=0 src0=0 src1=0 src2=0
	v_cvt_f16_i16_e32 v32, v32
	s_set_vgpr_msb 0x41                     ;  msbs: dst=1 src0=1 src1=0 src2=0
	v_cvt_f16_i16_e64 v8 /*v264*/, v8 /*v264*/
	s_set_vgpr_msb 0                        ;  msbs: dst=0 src0=0 src1=0 src2=0
	v_bfe_i32 v133, v133, 0, 8
	v_cvt_f16_i16_e32 v36, v36
	s_set_vgpr_msb 0x45                     ;  msbs: dst=1 src0=1 src1=1 src2=0
	v_bitop3_b16 v6 /*v262*/, v6 /*v262*/, v9 /*v265*/, 0x1f00 bitop3:0xec
	v_lshrrev_b32_e32 v7 /*v263*/, 16, v7 /*v263*/
	s_set_vgpr_msb 4                        ;  msbs: dst=0 src0=0 src1=1 src2=0
	v_pack_b32_f16 v32, v32, v8 /*v264*/
	v_cvt_f16_i16_e64 v133, v133
	s_set_vgpr_msb 0x44                     ;  msbs: dst=1 src0=0 src1=1 src2=0
	v_mul_u32_u24_e32 v8 /*v264*/, 0x10001, v18 /*v274*/
	v_add_nc_u16 v6 /*v262*/, 0xf000, v6 /*v262*/
	v_lshlrev_b16 v12 /*v268*/, 8, v7 /*v263*/
	s_set_vgpr_msb 4                        ;  msbs: dst=0 src0=0 src1=1 src2=0
	v_pk_mul_f16 v32, v32, v14 /*v270*/
	s_set_vgpr_msb 0                        ;  msbs: dst=0 src0=0 src1=0 src2=0
	v_pack_b32_f16 v36, v36, v133
	s_set_vgpr_msb 4                        ;  msbs: dst=0 src0=0 src1=1 src2=0
	v_and_b32_e32 v133, 0x1f00, v7 /*v263*/
	s_set_vgpr_msb 0x44                     ;  msbs: dst=1 src0=0 src1=1 src2=0
	v_lshrrev_b32_e32 v13 /*v269*/, 8, v6 /*v262*/
	v_add_nc_u16 v12 /*v268*/, 0xf000, v12 /*v268*/
	v_mul_u32_u24_e32 v9 /*v265*/, 0x10001, v21 /*v277*/
	s_set_vgpr_msb 4                        ;  msbs: dst=0 src0=0 src1=1 src2=0
	v_pk_mul_f16 v36, v36, v14 /*v270*/
	s_set_vgpr_msb 0x41                     ;  msbs: dst=1 src0=1 src1=0 src2=0
	v_bfe_i32 v14 /*v270*/, v6 /*v262*/, 0, 8
	v_add_nc_u64_e32 v[6:7] /*v[262:263]*/, v[16:17] /*v[272:273]*/, v[188:189]
	s_set_vgpr_msb 0                        ;  msbs: dst=0 src0=0 src1=0 src2=0
	v_add_nc_u16 v133, 0xf000, v133
	s_set_vgpr_msb 0x44                     ;  msbs: dst=1 src0=0 src1=1 src2=0
	v_ashrrev_i16 v12 /*v268*/, 8, v12 /*v268*/
	s_set_vgpr_msb 4                        ;  msbs: dst=0 src0=0 src1=1 src2=0
	v_pk_fma_f16 v40, v32, v8 /*v264*/, v40
	v_pk_fma_f16 v44, v32, v9 /*v265*/, v44
	;; [unrolled: 1-line block ×3, first 2 shown]
	s_set_vgpr_msb 0                        ;  msbs: dst=0 src0=0 src1=0 src2=0
	v_lshrrev_b32_e32 v133, 8, v133
	s_set_vgpr_msb 0x45                     ;  msbs: dst=1 src0=1 src1=1 src2=0
	global_load_b32 v18 /*v274*/, v[6:7] /*v[262:263]*/, off offset:6
	s_wait_xcnt 0x0
	v_cvt_f16_i16_e64 v7 /*v263*/, v12 /*v268*/
	s_wait_loadcnt 0x12
	v_lshrrev_b32_e32 v12 /*v268*/, v3 /*v259*/, v45 /*v301*/
	s_set_vgpr_msb 1                        ;  msbs: dst=0 src0=1 src1=0 src2=0
	v_bfe_i32 v32, v13 /*v269*/, 0, 8
	s_set_vgpr_msb 0                        ;  msbs: dst=0 src0=0 src1=0 src2=0
	v_bfe_i32 v133, v133, 0, 8
	s_set_vgpr_msb 0x41                     ;  msbs: dst=1 src0=1 src1=0 src2=0
	v_cvt_f16_i16_e64 v13 /*v269*/, v14 /*v270*/
	s_set_vgpr_msb 4                        ;  msbs: dst=0 src0=0 src1=1 src2=0
	v_pk_fma_f16 v45, v36, v9 /*v265*/, v45
	v_lshrrev_b32_e32 v36, v254, v45 /*v301*/
	v_cvt_f16_i16_e32 v32, v32
	v_cvt_f16_i16_e64 v133, v133
	s_wait_loadcnt 0x11
	s_set_vgpr_msb 0x44                     ;  msbs: dst=1 src0=0 src1=1 src2=0
	v_mul_u32_u24_e32 v6 /*v262*/, 0x10001, v46 /*v302*/
	v_lshlrev_b32_e32 v12 /*v268*/, 12, v12 /*v268*/
	s_set_vgpr_msb 1                        ;  msbs: dst=0 src0=1 src1=0 src2=0
	v_lshlrev_b32_e32 v36, 4, v36
	v_pack_b32_f16 v32, v13 /*v269*/, v32
	v_pack_b32_f16 v133, v7 /*v263*/, v133
	s_wait_loadcnt 0x9
	s_set_vgpr_msb 0x45                     ;  msbs: dst=1 src0=1 src1=1 src2=0
	v_dual_ashrrev_i32 v7 /*v263*/, v2 /*v258*/, v43 /*v299*/ :: v_dual_lshrrev_b32 v17 /*v273*/, v3 /*v259*/, v56 /*v312*/
	s_set_vgpr_msb 0                        ;  msbs: dst=0 src0=0 src1=0 src2=0
	v_and_b32_e32 v36, 16, v36
	s_set_vgpr_msb 4                        ;  msbs: dst=0 src0=0 src1=1 src2=0
	v_pk_mul_f16 v32, v32, v6 /*v262*/
	v_pk_mul_f16 v133, v133, v6 /*v262*/
	s_set_vgpr_msb 0x45                     ;  msbs: dst=1 src0=1 src1=1 src2=0
	v_and_b32_e32 v13 /*v269*/, 0xf0f0f0f, v7 /*v263*/
	v_and_b32_e32 v6 /*v262*/, 0x1000, v12 /*v268*/
	v_lshrrev_b32_e32 v7 /*v263*/, v5 /*v261*/, v45 /*v301*/
	s_set_vgpr_msb 4                        ;  msbs: dst=0 src0=0 src1=1 src2=0
	v_pk_fma_f16 v42, v32, v8 /*v264*/, v42
	v_pk_fma_f16 v46, v32, v9 /*v265*/, v46
	s_set_vgpr_msb 5                        ;  msbs: dst=0 src0=1 src1=1 src2=0
	v_lshrrev_b32_e32 v32, v4 /*v260*/, v45 /*v301*/
	s_set_vgpr_msb 0x54                     ;  msbs: dst=1 src0=0 src1=1 src2=1
	v_or3_b32 v12 /*v268*/, v36, v13 /*v269*/, v6 /*v262*/
	s_set_vgpr_msb 4                        ;  msbs: dst=0 src0=0 src1=1 src2=0
	v_pk_fma_f16 v43, v133, v8 /*v264*/, v43
	v_pk_fma_f16 v47, v133, v9 /*v265*/, v47
	s_set_vgpr_msb 0x44                     ;  msbs: dst=1 src0=0 src1=1 src2=0
	v_dual_lshlrev_b32 v8 /*v264*/, 28, v7 /*v263*/ :: v_dual_lshrrev_b32 v16 /*v272*/, v254, v56 /*v312*/
	s_set_vgpr_msb 0                        ;  msbs: dst=0 src0=0 src1=0 src2=0
	v_lshlrev_b32_e32 v32, 20, v32
	s_set_vgpr_msb 0x44                     ;  msbs: dst=1 src0=0 src1=1 src2=0
	v_lshlrev_b16 v9 /*v265*/, 8, v12 /*v268*/
	s_set_vgpr_msb 1                        ;  msbs: dst=0 src0=1 src1=0 src2=0
	v_and_b32_e32 v133, 0xffff, v37
	v_add_nc_u64_e32 v[36:37], v[10:11] /*v[266:267]*/, v[230:231]
	s_set_vgpr_msb 64                       ;  msbs: dst=1 src0=0 src1=0 src2=0
	v_add_nc_u64_e32 v[6:7] /*v[262:263]*/, s[10:11], v[164:165]
	s_set_vgpr_msb 0                        ;  msbs: dst=0 src0=0 src1=0 src2=0
	v_and_b32_e32 v32, 0x100000, v32
	s_set_vgpr_msb 0x44                     ;  msbs: dst=1 src0=0 src1=1 src2=0
	v_and_b32_e32 v14 /*v270*/, 0x10000000, v8 /*v264*/
	v_add_nc_u16 v15 /*v271*/, 0xf000, v9 /*v265*/
	v_mul_u32_u24_e32 v41 /*v297*/, 0x10001, v44 /*v300*/
	s_set_vgpr_msb 0                        ;  msbs: dst=0 src0=0 src1=0 src2=0
	v_mul_u32_u24_e32 v133, 0x10001, v133
	s_set_vgpr_msb 64                       ;  msbs: dst=1 src0=0 src1=0 src2=0
	v_add_nc_u64_e32 v[8:9] /*v[264:265]*/, v[36:37], v[190:191]
	s_set_vgpr_msb 0x41                     ;  msbs: dst=1 src0=1 src1=0 src2=0
	v_add_nc_u64_e32 v[10:11] /*v[266:267]*/, v[6:7] /*v[262:263]*/, v[232:233]
	s_set_vgpr_msb 17                       ;  msbs: dst=0 src0=1 src1=0 src2=1
	v_or3_b32 v32, v13 /*v269*/, v32, v14 /*v270*/
	s_set_vgpr_msb 0x45                     ;  msbs: dst=1 src0=1 src1=1 src2=0
	v_lshrrev_b16 v13 /*v269*/, 8, v15 /*v271*/
	v_dual_ashrrev_i32 v14 /*v270*/, v2 /*v258*/, v49 /*v305*/ :: v_dual_lshlrev_b32 v15 /*v271*/, 4, v16 /*v272*/
	v_lshlrev_b32_e32 v16 /*v272*/, 12, v17 /*v273*/
	s_clause 0x3
	global_load_b32 v21 /*v277*/, v[8:9] /*v[264:265]*/, off offset:6
	global_load_u16 v26 /*v282*/, v[10:11] /*v[266:267]*/, off
	s_set_vgpr_msb 64                       ;  msbs: dst=1 src0=0 src1=0 src2=0
	global_load_b32 v27 /*v283*/, v[36:37], off offset:2
	s_wait_xcnt 0x2
	s_set_vgpr_msb 0x45                     ;  msbs: dst=1 src0=1 src1=1 src2=0
	v_bitop3_b16 v8 /*v264*/, v12 /*v268*/, v13 /*v269*/, 0x1f00 bitop3:0xec
	v_and_b32_e32 v9 /*v265*/, 0xf0f0f0f, v14 /*v270*/
	v_and_b32_e32 v12 /*v268*/, 16, v15 /*v271*/
	;; [unrolled: 1-line block ×3, first 2 shown]
	s_set_vgpr_msb 0                        ;  msbs: dst=0 src0=0 src1=0 src2=0
	v_lshrrev_b32_e32 v32, 16, v32
	s_set_vgpr_msb 0x55                     ;  msbs: dst=1 src0=1 src1=1 src2=1
	v_add_nc_u16 v8 /*v264*/, 0xf000, v8 /*v264*/
	v_dual_lshrrev_b32 v16 /*v272*/, v4 /*v260*/, v56 /*v312*/ :: v_dual_lshrrev_b32 v17 /*v273*/, v5 /*v261*/, v56 /*v312*/
	v_or3_b32 v12 /*v268*/, v12 /*v268*/, v9 /*v265*/, v13 /*v269*/
	s_set_vgpr_msb 64                       ;  msbs: dst=1 src0=0 src1=0 src2=0
	v_lshlrev_b16 v14 /*v270*/, 8, v32
	s_set_vgpr_msb 0                        ;  msbs: dst=0 src0=0 src1=0 src2=0
	v_and_b32_e32 v32, 0x1f00, v32
	s_set_vgpr_msb 0x44                     ;  msbs: dst=1 src0=0 src1=1 src2=0
	v_dual_lshrrev_b32 v13 /*v269*/, 8, v8 /*v264*/ :: v_dual_lshlrev_b32 v17 /*v273*/, 28, v17 /*v273*/
	v_lshlrev_b16 v15 /*v271*/, 8, v12 /*v268*/
	v_lshlrev_b32_e32 v16 /*v272*/, 20, v16 /*v272*/
	s_set_vgpr_msb 0                        ;  msbs: dst=0 src0=0 src1=0 src2=0
	v_add_nc_u16 v32, 0xf000, v32
	s_set_vgpr_msb 0x44                     ;  msbs: dst=1 src0=0 src1=1 src2=0
	v_add_nc_u16 v14 /*v270*/, 0xf000, v14 /*v270*/
	s_set_vgpr_msb 0x41                     ;  msbs: dst=1 src0=1 src1=0 src2=0
	v_bfe_i32 v13 /*v269*/, v13 /*v269*/, 0, 8
	s_set_vgpr_msb 0x44                     ;  msbs: dst=1 src0=0 src1=1 src2=0
	v_add_nc_u16 v15 /*v271*/, 0xf000, v15 /*v271*/
	s_set_vgpr_msb 0x41                     ;  msbs: dst=1 src0=1 src1=0 src2=0
	v_bfe_i32 v8 /*v264*/, v8 /*v264*/, 0, 8
	s_set_vgpr_msb 0                        ;  msbs: dst=0 src0=0 src1=0 src2=0
	v_lshrrev_b32_e32 v32, 8, v32
	s_set_vgpr_msb 0x44                     ;  msbs: dst=1 src0=0 src1=1 src2=0
	v_and_b32_e32 v16 /*v272*/, 0x100000, v16 /*v272*/
	v_and_b32_e32 v17 /*v273*/, 0x10000000, v17 /*v273*/
	v_lshrrev_b16 v15 /*v271*/, 8, v15 /*v271*/
	v_ashrrev_i16 v14 /*v270*/, 8, v14 /*v270*/
	s_set_vgpr_msb 0                        ;  msbs: dst=0 src0=0 src1=0 src2=0
	v_bfe_i32 v32, v32, 0, 8
	s_set_vgpr_msb 0x55                     ;  msbs: dst=1 src0=1 src1=1 src2=1
	v_cvt_f16_i16_e64 v8 /*v264*/, v8 /*v264*/
	v_cvt_f16_i16_e64 v13 /*v269*/, v13 /*v269*/
	v_bitop3_b16 v12 /*v268*/, v12 /*v268*/, v15 /*v271*/, 0x1f00 bitop3:0xec
	v_or3_b32 v9 /*v265*/, v9 /*v265*/, v16 /*v272*/, v17 /*v273*/
	v_cvt_f16_i16_e64 v14 /*v270*/, v14 /*v270*/
	s_set_vgpr_msb 0                        ;  msbs: dst=0 src0=0 src1=0 src2=0
	v_cvt_f16_i16_e32 v32, v32
	s_set_vgpr_msb 0x45                     ;  msbs: dst=1 src0=1 src1=1 src2=0
	v_pack_b32_f16 v8 /*v264*/, v8 /*v264*/, v13 /*v269*/
	v_add_nc_u16 v12 /*v268*/, 0xf000, v12 /*v268*/
	v_lshrrev_b32_e32 v13 /*v269*/, 16, v9 /*v265*/
	v_mul_u32_u24_e32 v15 /*v271*/, 0x10001, v31 /*v287*/
	s_set_vgpr_msb 1                        ;  msbs: dst=0 src0=1 src1=0 src2=0
	v_pack_b32_f16 v32, v14 /*v270*/, v32
	s_set_vgpr_msb 64                       ;  msbs: dst=1 src0=0 src1=0 src2=0
	v_lshrrev_b32_e32 v22 /*v278*/, 16, v35
	s_set_vgpr_msb 0x44                     ;  msbs: dst=1 src0=0 src1=1 src2=0
	v_lshrrev_b32_e32 v9 /*v265*/, 8, v12 /*v268*/
	s_set_vgpr_msb 0x45                     ;  msbs: dst=1 src0=1 src1=1 src2=0
	v_bfe_i32 v12 /*v268*/, v12 /*v268*/, 0, 8
	v_pk_mul_f16 v14 /*v270*/, v8 /*v264*/, v15 /*v271*/
	s_set_vgpr_msb 0x44                     ;  msbs: dst=1 src0=0 src1=1 src2=0
	v_pk_mul_f16 v29 /*v285*/, v32, v15 /*v271*/
	s_set_vgpr_msb 1                        ;  msbs: dst=0 src0=1 src1=0 src2=0
	v_add_nc_u64_e32 v[32:33], v[10:11] /*v[266:267]*/, v[188:189]
	s_set_vgpr_msb 0x41                     ;  msbs: dst=1 src0=1 src1=0 src2=0
	v_bfe_i32 v16 /*v272*/, v9 /*v265*/, 0, 8
	v_add_nc_u64_e32 v[8:9] /*v[264:265]*/, v[6:7] /*v[262:263]*/, v[230:231]
	s_set_vgpr_msb 0x44                     ;  msbs: dst=1 src0=0 src1=1 src2=0
	v_and_b32_e32 v15 /*v271*/, 0x1f00, v13 /*v269*/
	s_set_vgpr_msb 0x41                     ;  msbs: dst=1 src0=1 src1=0 src2=0
	v_cvt_f16_i16_e64 v7 /*v263*/, v12 /*v268*/
	s_set_vgpr_msb 64                       ;  msbs: dst=1 src0=0 src1=0 src2=0
	s_clause 0x5
	global_load_b32 v31 /*v287*/, v[32:33], off offset:6
	s_set_vgpr_msb 0x41                     ;  msbs: dst=1 src0=1 src1=0 src2=0
	global_load_u16 v32 /*v288*/, v[8:9] /*v[264:265]*/, off
	global_load_b32 v33 /*v289*/, v[10:11] /*v[266:267]*/, off offset:2
	s_set_vgpr_msb 64                       ;  msbs: dst=1 src0=0 src1=0 src2=0
	global_load_u16 v34 /*v290*/, v[36:37], off
	s_set_vgpr_msb 0x41                     ;  msbs: dst=1 src0=1 src1=0 src2=0
	v_cvt_f16_i16_e64 v12 /*v268*/, v16 /*v272*/
	s_set_vgpr_msb 0x44                     ;  msbs: dst=1 src0=0 src1=1 src2=0
	v_add_nc_u16 v15 /*v271*/, 0xf000, v15 /*v271*/
	v_lshlrev_b16 v13 /*v269*/, 8, v13 /*v269*/
	s_wait_xcnt 0x0
	s_set_vgpr_msb 5                        ;  msbs: dst=0 src0=1 src1=1 src2=0
	v_lshrrev_b32_e32 v37, v3 /*v259*/, v54 /*v310*/
	s_set_vgpr_msb 0x41                     ;  msbs: dst=1 src0=1 src1=0 src2=0
	v_pk_fma_f16 v6 /*v262*/, v14 /*v270*/, v133, v40
	s_set_vgpr_msb 5                        ;  msbs: dst=0 src0=1 src1=1 src2=0
	v_pack_b32_f16 v32, v7 /*v263*/, v12 /*v268*/
	v_lshrrev_b32_e32 v33, 8, v15 /*v271*/
	v_add_nc_u16 v36, 0xf000, v13 /*v269*/
	s_set_vgpr_msb 0x45                     ;  msbs: dst=1 src0=1 src1=1 src2=0
	v_ashrrev_i32_e32 v12 /*v268*/, v2 /*v258*/, v50 /*v306*/
	s_set_vgpr_msb 0                        ;  msbs: dst=0 src0=0 src1=0 src2=0
	v_lshlrev_b32_e32 v37, 12, v37
	s_set_vgpr_msb 0x44                     ;  msbs: dst=1 src0=0 src1=1 src2=0
	v_pk_mul_f16 v42 /*v298*/, v32, v41 /*v297*/
	s_set_vgpr_msb 4                        ;  msbs: dst=0 src0=0 src1=1 src2=0
	v_lshrrev_b32_e32 v32, v254, v54 /*v310*/
	s_set_vgpr_msb 64                       ;  msbs: dst=1 src0=0 src1=0 src2=0
	v_bfe_i32 v11 /*v267*/, v33, 0, 8
	s_set_vgpr_msb 0                        ;  msbs: dst=0 src0=0 src1=0 src2=0
	v_ashrrev_i16 v36, 8, v36
	s_set_vgpr_msb 0x45                     ;  msbs: dst=1 src0=1 src1=1 src2=0
	v_pk_fma_f16 v10 /*v266*/, v14 /*v270*/, v28 /*v284*/, v44
	v_and_b32_e32 v44 /*v300*/, 0xf0f0f0f, v12 /*v268*/
	s_set_vgpr_msb 64                       ;  msbs: dst=1 src0=0 src1=0 src2=0
	v_lshlrev_b32_e32 v13 /*v269*/, 4, v32
	s_set_vgpr_msb 0                        ;  msbs: dst=0 src0=0 src1=0 src2=0
	v_add_nc_u64_e32 v[32:33], s[10:11], v[166:167]
	s_set_vgpr_msb 0x45                     ;  msbs: dst=1 src0=1 src1=1 src2=0
	v_dual_lshrrev_b32 v14 /*v270*/, v4 /*v260*/, v54 /*v310*/ :: v_dual_lshrrev_b32 v15 /*v271*/, v5 /*v261*/, v54 /*v310*/
	s_set_vgpr_msb 0x44                     ;  msbs: dst=1 src0=0 src1=1 src2=0
	v_cvt_f16_i16_e64 v43 /*v299*/, v36
	v_and_b32_e32 v12 /*v268*/, 16, v13 /*v269*/
	s_set_vgpr_msb 0x41                     ;  msbs: dst=1 src0=1 src1=0 src2=0
	v_and_b32_e32 v13 /*v269*/, 0x1000, v37
	v_cvt_f16_i16_e64 v11 /*v267*/, v11 /*v267*/
	s_set_vgpr_msb 0                        ;  msbs: dst=0 src0=0 src1=0 src2=0
	v_add_nc_u64_e32 v[36:37], v[32:33], v[232:233]
	v_add_nc_u64_e32 v[32:33], v[32:33], v[230:231]
	s_set_vgpr_msb 0x55                     ;  msbs: dst=1 src0=1 src1=1 src2=1
	v_dual_lshlrev_b32 v46 /*v302*/, 20, v14 /*v270*/ :: v_dual_lshlrev_b32 v47 /*v303*/, 28, v15 /*v271*/
	v_or3_b32 v45 /*v301*/, v12 /*v268*/, v44 /*v300*/, v13 /*v269*/
	s_set_vgpr_msb 0x41                     ;  msbs: dst=1 src0=1 src1=0 src2=0
	v_add_nc_u64_e32 v[12:13] /*v[268:269]*/, v[8:9] /*v[264:265]*/, v[190:191]
	s_set_vgpr_msb 0x45                     ;  msbs: dst=1 src0=1 src1=1 src2=0
	v_pack_b32_f16 v43 /*v299*/, v43 /*v299*/, v11 /*v267*/
	s_set_vgpr_msb 64                       ;  msbs: dst=1 src0=0 src1=0 src2=0
	v_add_nc_u64_e32 v[14:15] /*v[270:271]*/, v[36:37], v[188:189]
	v_add_nc_u64_e32 v[16:17] /*v[272:273]*/, v[32:33], v[190:191]
	s_set_vgpr_msb 0x44                     ;  msbs: dst=1 src0=0 src1=1 src2=0
	v_and_b32_e32 v46 /*v302*/, 0x100000, v46 /*v302*/
	v_and_b32_e32 v47 /*v303*/, 0x10000000, v47 /*v303*/
	v_lshlrev_b16 v11 /*v267*/, 8, v45 /*v301*/
	s_set_vgpr_msb 0x41                     ;  msbs: dst=1 src0=1 src1=0 src2=0
	s_clause 0x9
	global_load_b32 v48 /*v304*/, v[12:13] /*v[268:269]*/, off offset:6
	global_load_b32 v49 /*v305*/, v[14:15] /*v[270:271]*/, off offset:6
	;; [unrolled: 1-line block ×3, first 2 shown]
	s_set_vgpr_msb 64                       ;  msbs: dst=1 src0=0 src1=0 src2=0
	global_load_b32 v54 /*v310*/, v[32:33], off offset:2
	global_load_u16 v56 /*v312*/, v[32:33], off
	global_load_b32 v57 /*v313*/, v[36:37], off offset:2
	global_load_u16 v58 /*v314*/, v[36:37], off
	s_set_vgpr_msb 0x41                     ;  msbs: dst=1 src0=1 src1=0 src2=0
	global_load_b32 v59 /*v315*/, v[8:9] /*v[264:265]*/, off offset:2
	s_wait_xcnt 0x3
	s_set_vgpr_msb 21                       ;  msbs: dst=0 src0=1 src1=1 src2=1
	v_pk_mul_f16 v33, v43 /*v299*/, v41 /*v297*/
	s_wait_xcnt 0x1
	v_or3_b32 v36, v44 /*v300*/, v46 /*v302*/, v47 /*v303*/
	v_add_nc_u16 v32, 0xf000, v11 /*v267*/
	s_set_vgpr_msb 0                        ;  msbs: dst=0 src0=0 src1=0 src2=0
	ds_store_b128 v239, v[40:43]
	ds_store_b128 v239, v[44:47] offset:16
	s_set_vgpr_msb 4                        ;  msbs: dst=0 src0=0 src1=1 src2=0
	v_lshrrev_b32_e32 v37, v254, v52 /*v308*/
	s_wait_xcnt 0x0
	s_set_vgpr_msb 64                       ;  msbs: dst=1 src0=0 src1=0 src2=0
	v_pk_fma_f16 v9 /*v265*/, v33, v133, v43
	s_set_vgpr_msb 0                        ;  msbs: dst=0 src0=0 src1=0 src2=0
	v_lshrrev_b32_e32 v36, 16, v36
	v_lshrrev_b16 v32, 8, v32
	s_set_vgpr_msb 0x44                     ;  msbs: dst=1 src0=0 src1=1 src2=0
	v_pk_fma_f16 v13 /*v269*/, v33, v28 /*v284*/, v47
	s_set_vgpr_msb 5                        ;  msbs: dst=0 src0=1 src1=1 src2=0
	v_lshrrev_b32_e32 v40, v3 /*v259*/, v52 /*v308*/
	s_set_vgpr_msb 0x41                     ;  msbs: dst=1 src0=1 src1=0 src2=0
	v_pk_fma_f16 v7 /*v263*/, v29 /*v285*/, v133, v41
	s_set_vgpr_msb 1                        ;  msbs: dst=0 src0=1 src1=0 src2=0
	v_lshlrev_b16 v33, 8, v36
	v_bitop3_b16 v32, v45 /*v301*/, v32, 0x1f00 bitop3:0xec
	v_and_b32_e32 v36, 0x1f00, v36
	s_set_vgpr_msb 5                        ;  msbs: dst=0 src0=1 src1=1 src2=0
	v_ashrrev_i32_e32 v41, v2 /*v258*/, v51 /*v307*/
	s_set_vgpr_msb 0                        ;  msbs: dst=0 src0=0 src1=0 src2=0
	v_dual_lshlrev_b32 v37, 4, v37 :: v_dual_lshlrev_b32 v40, 12, v40
	v_add_nc_u16 v32, 0xf000, v32
	v_add_nc_u16 v36, 0xf000, v36
	s_set_vgpr_msb 0x41                     ;  msbs: dst=1 src0=1 src1=0 src2=0
	v_pk_fma_f16 v8 /*v264*/, v42 /*v298*/, v133, v42
	s_set_vgpr_msb 0                        ;  msbs: dst=0 src0=0 src1=0 src2=0
	v_add_nc_u16 v33, 0xf000, v33
	v_and_b32_e32 v41, 0xf0f0f0f, v41
	v_dual_lshrrev_b32 v42, 8, v32 :: v_dual_bitop2_b32 v37, 16, v37 bitop3:0x40
	v_and_b32_e32 v40, 0x1000, v40
	v_lshrrev_b32_e32 v36, 8, v36
	v_ashrrev_i16 v33, 8, v33
	s_set_vgpr_msb 0x45                     ;  msbs: dst=1 src0=1 src1=1 src2=0
	v_pk_fma_f16 v11 /*v267*/, v29 /*v285*/, v28 /*v284*/, v45
	s_set_vgpr_msb 5                        ;  msbs: dst=0 src0=1 src1=1 src2=0
	v_lshrrev_b32_e32 v44, v5 /*v261*/, v52 /*v308*/
	s_set_vgpr_msb 0                        ;  msbs: dst=0 src0=0 src1=0 src2=0
	v_or3_b32 v37, v37, v41, v40
	v_bfe_i32 v36, v36, 0, 8
	s_set_vgpr_msb 5                        ;  msbs: dst=0 src0=1 src1=1 src2=0
	v_lshrrev_b32_e32 v40, v4 /*v260*/, v52 /*v308*/
	s_set_vgpr_msb 0                        ;  msbs: dst=0 src0=0 src1=0 src2=0
	v_cvt_f16_i16_e32 v33, v33
	s_set_vgpr_msb 0x45                     ;  msbs: dst=1 src0=1 src1=1 src2=0
	v_pk_fma_f16 v12 /*v268*/, v42 /*v298*/, v28 /*v284*/, v46
	s_set_vgpr_msb 0                        ;  msbs: dst=0 src0=0 src1=0 src2=0
	v_lshlrev_b16 v45, 8, v37
	v_cvt_f16_i16_e32 v36, v36
	s_set_vgpr_msb 4                        ;  msbs: dst=0 src0=0 src1=1 src2=0
	v_mul_u32_u24_e32 v43, 0x10001, v55 /*v311*/
	s_set_vgpr_msb 0                        ;  msbs: dst=0 src0=0 src1=0 src2=0
	v_lshlrev_b32_e32 v44, 28, v44
	v_mul_u32_u24_e32 v47, 0x10001, v227
	v_add_nc_u16 v45, 0xf000, v45
	v_pack_b32_f16 v33, v33, v36
	s_set_vgpr_msb 4                        ;  msbs: dst=0 src0=0 src1=1 src2=0
	ds_store_b128 v239, v[6:9] /*v[262:265]*/
	ds_store_b128 v239, v[10:13] /*v[266:269]*/ offset:16
	s_set_vgpr_msb 0                        ;  msbs: dst=0 src0=0 src1=0 src2=0
	v_and_b32_e32 v44, 0x10000000, v44
	v_bfe_i32 v32, v32, 0, 8
	v_lshrrev_b16 v45, 8, v45
	v_pk_mul_f16 v33, v33, v43
	v_bfe_i32 v42, v42, 0, 8
	s_set_vgpr_msb 4                        ;  msbs: dst=0 src0=0 src1=1 src2=0
	v_mul_u32_u24_e32 v133, 0x10001, v25 /*v281*/
	v_cvt_f16_i16_e32 v32, v32
	s_set_vgpr_msb 0                        ;  msbs: dst=0 src0=0 src1=0 src2=0
	v_bitop3_b16 v36, v37, v45, 0x1f00 bitop3:0xec
	s_set_vgpr_msb 64                       ;  msbs: dst=1 src0=0 src1=0 src2=0
	v_add_nc_u64_e32 v[14:15] /*v[270:271]*/, s[10:11], v[170:171]
	s_set_vgpr_msb 0                        ;  msbs: dst=0 src0=0 src1=0 src2=0
	v_cvt_f16_i16_e32 v42, v42
	v_and_b32_e32 v35, 0xffff, v35
	v_add_nc_u16 v36, 0xf000, v36
	s_delay_alu instid0(VALU_DEP_3) | instskip(SKIP_3) | instid1(VALU_DEP_2)
	v_pack_b32_f16 v32, v32, v42
	s_set_vgpr_msb 0x41                     ;  msbs: dst=1 src0=1 src1=0 src2=0
	v_add_nc_u64_e32 v[16:17] /*v[272:273]*/, v[14:15] /*v[270:271]*/, v[232:233]
	s_set_vgpr_msb 0                        ;  msbs: dst=0 src0=0 src1=0 src2=0
	v_pk_mul_f16 v32, v32, v43
	s_set_vgpr_msb 5                        ;  msbs: dst=0 src0=1 src1=1 src2=0
	v_mul_u32_u24_e32 v43, 0x10001, v53 /*v309*/
	s_wait_loadcnt 0x17
	v_ashrrev_i32_e32 v227, v2 /*v258*/, v35 /*v291*/
	s_wait_loadcnt 0x13
	s_set_vgpr_msb 0x44                     ;  msbs: dst=1 src0=0 src1=1 src2=0
	v_mul_u32_u24_e32 v25 /*v281*/, 0x10001, v39 /*v295*/
	s_wait_loadcnt 0x12
	s_set_vgpr_msb 5                        ;  msbs: dst=0 src0=1 src1=1 src2=0
	v_lshrrev_b32_e32 v46, v3 /*v259*/, v40 /*v296*/
	s_set_vgpr_msb 0                        ;  msbs: dst=0 src0=0 src1=0 src2=0
	v_lshlrev_b32_e32 v40, 20, v40
	v_and_b32_e32 v227, 0xf0f0f0f, v227
	s_delay_alu instid0(VALU_DEP_3) | instskip(NEXT) | instid1(VALU_DEP_3)
	v_lshlrev_b32_e32 v46, 12, v46
	v_and_b32_e32 v40, 0x100000, v40
	s_delay_alu instid0(VALU_DEP_2) | instskip(NEXT) | instid1(VALU_DEP_2)
	v_and_b32_e32 v46, 0x1000, v46
	v_or3_b32 v40, v41, v40, v44
	s_set_vgpr_msb 16                       ;  msbs: dst=0 src0=0 src1=0 src2=1
	v_pk_fma_f16 v41, v33, v47, v7 /*v263*/
	s_set_vgpr_msb 0x45                     ;  msbs: dst=1 src0=1 src1=1 src2=0
	v_lshrrev_b32_e32 v7 /*v263*/, v5 /*v261*/, v40 /*v296*/
	s_set_vgpr_msb 4                        ;  msbs: dst=0 src0=0 src1=1 src2=0
	v_lshrrev_b32_e32 v45, v254, v40 /*v296*/
	s_set_vgpr_msb 16                       ;  msbs: dst=0 src0=0 src1=0 src2=1
	v_pk_fma_f16 v44, v32, v133, v10 /*v266*/
	s_delay_alu instid0(VALU_DEP_2)
	v_dual_lshlrev_b32 v45, 4, v45 :: v_dual_lshrrev_b32 v37, 16, v40
	v_pk_fma_f16 v40, v32, v47, v6 /*v262*/
	s_set_vgpr_msb 0x45                     ;  msbs: dst=1 src0=1 src1=1 src2=0
	v_lshrrev_b32_e32 v6 /*v262*/, v4 /*v260*/, v40 /*v296*/
	s_set_vgpr_msb 0                        ;  msbs: dst=0 src0=0 src1=0 src2=0
	v_and_b32_e32 v45, 16, v45
	v_lshlrev_b16 v42, 8, v37
	v_and_b32_e32 v37, 0x1f00, v37
	s_set_vgpr_msb 64                       ;  msbs: dst=1 src0=0 src1=0 src2=0
	s_delay_alu instid0(VALU_DEP_3)
	v_or3_b32 v10 /*v266*/, v45, v227, v46
	s_set_vgpr_msb 0                        ;  msbs: dst=0 src0=0 src1=0 src2=0
	v_add_nc_u16 v42, 0xf000, v42
	v_add_nc_u16 v37, 0xf000, v37
	s_set_vgpr_msb 4                        ;  msbs: dst=0 src0=0 src1=1 src2=0
	v_dual_lshlrev_b32 v45, 20, v6 /*v262*/ :: v_dual_lshlrev_b32 v46, 28, v7 /*v263*/
	s_set_vgpr_msb 0                        ;  msbs: dst=0 src0=0 src1=0 src2=0
	v_ashrrev_i16 v42, 8, v42
	v_lshrrev_b32_e32 v37, 8, v37
	s_delay_alu instid0(VALU_DEP_3) | instskip(NEXT) | instid1(VALU_DEP_3)
	v_and_b32_e32 v46, 0x10000000, v46
	v_cvt_f16_i16_e32 v42, v42
	s_delay_alu instid0(VALU_DEP_3) | instskip(NEXT) | instid1(VALU_DEP_1)
	v_bfe_i32 v37, v37, 0, 8
	v_cvt_f16_i16_e32 v37, v37
	s_wait_loadcnt 0x11
	s_set_vgpr_msb 0x44                     ;  msbs: dst=1 src0=0 src1=1 src2=0
	v_lshrrev_b32_e32 v29 /*v285*/, v254, v23 /*v279*/
	s_wait_loadcnt 0x10
	v_mul_u32_u24_e32 v7 /*v263*/, 0x10001, v24 /*v280*/
	s_set_vgpr_msb 16                       ;  msbs: dst=0 src0=0 src1=0 src2=1
	v_pack_b32_f16 v37, v42, v37
	v_and_b32_e32 v42, 0x100000, v45
	v_pk_fma_f16 v45, v33, v133, v11 /*v267*/
	s_set_vgpr_msb 0x45                     ;  msbs: dst=1 src0=1 src1=1 src2=0
	v_dual_lshlrev_b32 v29 /*v285*/, 4, v29 /*v285*/ :: v_dual_lshrrev_b32 v35 /*v291*/, v3 /*v259*/, v23 /*v279*/
	s_set_vgpr_msb 0                        ;  msbs: dst=0 src0=0 src1=0 src2=0
	v_pk_mul_f16 v33, v37, v43
	v_or3_b32 v37, v227, v42, v46
	v_lshrrev_b32_e32 v32, 8, v36
	v_bfe_i32 v36, v36, 0, 8
	s_set_vgpr_msb 5                        ;  msbs: dst=0 src0=1 src1=1 src2=0
	v_ashrrev_i32_e32 v227, v2 /*v258*/, v36 /*v292*/
	s_set_vgpr_msb 0                        ;  msbs: dst=0 src0=0 src1=0 src2=0
	v_lshrrev_b32_e32 v37, 16, v37
	v_bfe_i32 v32, v32, 0, 8
	v_cvt_f16_i16_e32 v36, v36
	v_and_b32_e32 v227, 0xf0f0f0f, v227
	s_delay_alu instid0(VALU_DEP_3) | instskip(NEXT) | instid1(VALU_DEP_1)
	v_cvt_f16_i16_e32 v32, v32
	v_pack_b32_f16 v32, v36, v32
	s_set_vgpr_msb 4                        ;  msbs: dst=0 src0=0 src1=1 src2=0
	v_lshlrev_b16 v36, 8, v10 /*v266*/
	s_set_vgpr_msb 16                       ;  msbs: dst=0 src0=0 src1=0 src2=1
	s_delay_alu instid0(VALU_DEP_2) | instskip(NEXT) | instid1(VALU_DEP_2)
	v_pk_mul_f16 v32, v32, v43
	v_add_nc_u16 v36, 0xf000, v36
	v_pk_fma_f16 v43, v33, v47, v9 /*v265*/
	s_delay_alu instid0(VALU_DEP_3)
	v_pk_fma_f16 v42, v32, v47, v8 /*v264*/
	s_set_vgpr_msb 0x45                     ;  msbs: dst=1 src0=1 src1=1 src2=0
	v_lshrrev_b32_e32 v8 /*v264*/, v4 /*v260*/, v38 /*v294*/
	s_set_vgpr_msb 16                       ;  msbs: dst=0 src0=0 src1=0 src2=1
	v_pk_fma_f16 v46, v32, v133, v12 /*v268*/
	v_and_b32_e32 v32, 0xffff, v38
	v_lshrrev_b16 v36, 8, v36
	v_pk_fma_f16 v47, v33, v133, v13 /*v269*/
	s_set_vgpr_msb 0x44                     ;  msbs: dst=1 src0=0 src1=1 src2=0
	v_lshlrev_b32_e32 v8 /*v264*/, 20, v8 /*v264*/
	s_set_vgpr_msb 0                        ;  msbs: dst=0 src0=0 src1=0 src2=0
	v_and_b32_e32 v33, 0x1f00, v37
	v_mul_u32_u24_e32 v38, 0x10001, v32
	v_lshlrev_b16 v32, 8, v37
	s_set_vgpr_msb 4                        ;  msbs: dst=0 src0=0 src1=1 src2=0
	v_lshrrev_b32_e32 v37, v254, v38 /*v294*/
	s_set_vgpr_msb 5                        ;  msbs: dst=0 src0=1 src1=1 src2=0
	v_lshrrev_b32_e32 v133, v3 /*v259*/, v38 /*v294*/
	s_set_vgpr_msb 1                        ;  msbs: dst=0 src0=1 src1=0 src2=0
	v_bitop3_b16 v36, v10 /*v266*/, v36, 0x1f00 bitop3:0xec
	v_add_nc_u16 v33, 0xf000, v33
	v_add_nc_u16 v32, 0xf000, v32
	v_lshlrev_b32_e32 v37, 4, v37
	v_lshlrev_b32_e32 v133, 12, v133
	v_add_nc_u16 v36, 0xf000, v36
	v_lshrrev_b32_e32 v33, 8, v33
	s_wait_loadcnt 0xf
	s_set_vgpr_msb 0x45                     ;  msbs: dst=1 src0=1 src1=1 src2=0
	v_ashrrev_i32_e32 v18 /*v274*/, v2 /*v258*/, v18 /*v274*/
	s_set_vgpr_msb 0                        ;  msbs: dst=0 src0=0 src1=0 src2=0
	v_and_b32_e32 v37, 16, v37
	v_and_b32_e32 v133, 0x1000, v133
	s_set_vgpr_msb 64                       ;  msbs: dst=1 src0=0 src1=0 src2=0
	v_lshrrev_b32_e32 v6 /*v262*/, 8, v36
	s_set_vgpr_msb 0                        ;  msbs: dst=0 src0=0 src1=0 src2=0
	v_bfe_i32 v36, v36, 0, 8
	v_ashrrev_i16 v32, 8, v32
	v_bfe_i32 v33, v33, 0, 8
	v_or3_b32 v37, v37, v227, v133
	s_set_vgpr_msb 5                        ;  msbs: dst=0 src0=1 src1=1 src2=0
	v_lshrrev_b32_e32 v133, v5 /*v261*/, v38 /*v294*/
	s_set_vgpr_msb 0x41                     ;  msbs: dst=1 src0=1 src1=0 src2=0
	v_bfe_i32 v6 /*v262*/, v6 /*v262*/, 0, 8
	s_set_vgpr_msb 0                        ;  msbs: dst=0 src0=0 src1=0 src2=0
	v_cvt_f16_i16_e32 v36, v36
	s_set_vgpr_msb 0x44                     ;  msbs: dst=1 src0=0 src1=1 src2=0
	v_and_b32_e32 v8 /*v264*/, 0x100000, v8 /*v264*/
	s_set_vgpr_msb 64                       ;  msbs: dst=1 src0=0 src1=0 src2=0
	v_lshlrev_b16 v9 /*v265*/, 8, v37
	s_set_vgpr_msb 0                        ;  msbs: dst=0 src0=0 src1=0 src2=0
	v_lshlrev_b32_e32 v133, 28, v133
	s_set_vgpr_msb 0x41                     ;  msbs: dst=1 src0=1 src1=0 src2=0
	v_cvt_f16_i16_e64 v6 /*v262*/, v6 /*v262*/
	s_set_vgpr_msb 0                        ;  msbs: dst=0 src0=0 src1=0 src2=0
	v_cvt_f16_i16_e32 v32, v32
	v_cvt_f16_i16_e32 v33, v33
	s_set_vgpr_msb 0x44                     ;  msbs: dst=1 src0=0 src1=1 src2=0
	v_add_nc_u16 v9 /*v265*/, 0xf000, v9 /*v265*/
	s_set_vgpr_msb 0                        ;  msbs: dst=0 src0=0 src1=0 src2=0
	v_and_b32_e32 v133, 0x10000000, v133
	s_set_vgpr_msb 4                        ;  msbs: dst=0 src0=0 src1=1 src2=0
	v_pack_b32_f16 v36, v36, v6 /*v262*/
	s_set_vgpr_msb 0                        ;  msbs: dst=0 src0=0 src1=0 src2=0
	v_pack_b32_f16 v32, v32, v33
	s_set_vgpr_msb 0x44                     ;  msbs: dst=1 src0=0 src1=1 src2=0
	v_lshrrev_b16 v6 /*v262*/, 8, v9 /*v265*/
	s_set_vgpr_msb 4                        ;  msbs: dst=0 src0=0 src1=1 src2=0
	v_or3_b32 v133, v227, v8 /*v264*/, v133
	v_pk_mul_f16 v36, v36, v7 /*v263*/
	s_delay_alu instid0(VALU_DEP_3) | instskip(SKIP_1) | instid1(VALU_DEP_3)
	v_bitop3_b16 v33, v37, v6 /*v262*/, 0x1f00 bitop3:0xec
	s_set_vgpr_msb 0                        ;  msbs: dst=0 src0=0 src1=0 src2=0
	v_lshrrev_b32_e32 v37, 16, v133
	s_set_vgpr_msb 4                        ;  msbs: dst=0 src0=0 src1=1 src2=0
	v_pk_mul_f16 v133, v32, v7 /*v263*/
	s_set_vgpr_msb 64                       ;  msbs: dst=1 src0=0 src1=0 src2=0
	v_pk_fma_f16 v6 /*v262*/, v36, v38, v40
	v_pk_fma_f16 v10 /*v266*/, v36, v34, v44
	s_set_vgpr_msb 0                        ;  msbs: dst=0 src0=0 src1=0 src2=0
	v_add_nc_u16 v227, 0xf000, v33
	v_add_nc_u64_e32 v[32:33], s[10:11], v[168:169]
	s_set_vgpr_msb 64                       ;  msbs: dst=1 src0=0 src1=0 src2=0
	v_lshlrev_b16 v8 /*v264*/, 8, v37
	s_set_vgpr_msb 0                        ;  msbs: dst=0 src0=0 src1=0 src2=0
	v_and_b32_e32 v37, 0x1f00, v37
	s_set_vgpr_msb 64                       ;  msbs: dst=1 src0=0 src1=0 src2=0
	v_pk_fma_f16 v7 /*v263*/, v133, v38, v41
	s_set_vgpr_msb 0x44                     ;  msbs: dst=1 src0=0 src1=1 src2=0
	v_add_nc_u16 v11 /*v267*/, 0xf000, v8 /*v264*/
	s_set_vgpr_msb 64                       ;  msbs: dst=1 src0=0 src1=0 src2=0
	v_add_nc_u16 v24 /*v280*/, 0xf000, v37
	s_set_vgpr_msb 0                        ;  msbs: dst=0 src0=0 src1=0 src2=0
	v_add_nc_u64_e32 v[36:37], v[32:33], v[232:233]
	v_add_nc_u64_e32 v[32:33], v[32:33], v[230:231]
	s_set_vgpr_msb 64                       ;  msbs: dst=1 src0=0 src1=0 src2=0
	v_lshrrev_b32_e32 v8 /*v264*/, 8, v227
	s_set_vgpr_msb 0                        ;  msbs: dst=0 src0=0 src1=0 src2=0
	v_bfe_i32 v227, v227, 0, 8
	s_set_vgpr_msb 0x44                     ;  msbs: dst=1 src0=0 src1=1 src2=0
	v_ashrrev_i16 v11 /*v267*/, 8, v11 /*v267*/
	s_set_vgpr_msb 0x41                     ;  msbs: dst=1 src0=1 src1=0 src2=0
	v_bfe_i32 v28 /*v284*/, v8 /*v264*/, 0, 8
	s_set_vgpr_msb 64                       ;  msbs: dst=1 src0=0 src1=0 src2=0
	v_add_nc_u64_e32 v[8:9] /*v[264:265]*/, v[36:37], v[188:189]
	v_add_nc_u64_e32 v[12:13] /*v[268:269]*/, v[32:33], v[190:191]
	s_set_vgpr_msb 0x41                     ;  msbs: dst=1 src0=1 src1=0 src2=0
	s_clause 0x6
	global_load_b32 v36 /*v292*/, v[8:9] /*v[264:265]*/, off offset:6
	global_load_b32 v38 /*v294*/, v[12:13] /*v[268:269]*/, off offset:6
	global_load_u16 v39 /*v295*/, v[16:17] /*v[272:273]*/, off
	s_set_vgpr_msb 64                       ;  msbs: dst=1 src0=0 src1=0 src2=0
	global_load_b32 v40 /*v296*/, v[32:33], off offset:2
	global_load_u16 v41 /*v297*/, v[32:33], off
	global_load_b32 v42 /*v298*/, v[36:37], off offset:2
	s_set_vgpr_msb 0                        ;  msbs: dst=0 src0=0 src1=0 src2=0
	v_cvt_f16_i16_e64 v227, v227
	s_set_vgpr_msb 0x41                     ;  msbs: dst=1 src0=1 src1=0 src2=0
	v_cvt_f16_i16_e64 v28 /*v284*/, v28 /*v284*/
	s_wait_xcnt 0x5
	s_set_vgpr_msb 0x44                     ;  msbs: dst=1 src0=0 src1=1 src2=0
	v_and_b32_e32 v8 /*v264*/, 16, v29 /*v285*/
	s_wait_xcnt 0x1
	s_set_vgpr_msb 4                        ;  msbs: dst=0 src0=0 src1=1 src2=0
	v_lshlrev_b32_e32 v32, 12, v35 /*v291*/
	s_set_vgpr_msb 0x45                     ;  msbs: dst=1 src0=1 src1=1 src2=0
	v_and_b32_e32 v9 /*v265*/, 0xf0f0f0f, v18 /*v274*/
	v_dual_lshrrev_b32 v12 /*v268*/, v4 /*v260*/, v23 /*v279*/ :: v_dual_lshrrev_b32 v13 /*v269*/, v5 /*v261*/, v23 /*v279*/
	s_set_vgpr_msb 4                        ;  msbs: dst=0 src0=0 src1=1 src2=0
	v_pack_b32_f16 v33, v227, v28 /*v284*/
	v_lshrrev_b32_e32 v227, 8, v24 /*v280*/
	s_set_vgpr_msb 0                        ;  msbs: dst=0 src0=0 src1=0 src2=0
	v_and_b32_e32 v32, 0x1000, v32
	s_set_vgpr_msb 4                        ;  msbs: dst=0 src0=0 src1=1 src2=0
	v_pk_mul_f16 v33, v33, v25 /*v281*/
	v_bfe_i32 v227, v227, 0, 8
	s_set_vgpr_msb 5                        ;  msbs: dst=0 src0=1 src1=1 src2=0
	v_or3_b32 v32, v8 /*v264*/, v9 /*v265*/, v32
	s_set_vgpr_msb 0x41                     ;  msbs: dst=1 src0=1 src1=0 src2=0
	v_cvt_f16_i16_e64 v8 /*v264*/, v11 /*v267*/
	s_set_vgpr_msb 0x44                     ;  msbs: dst=1 src0=0 src1=1 src2=0
	v_dual_lshlrev_b32 v11 /*v267*/, 20, v12 /*v268*/ :: v_dual_lshlrev_b32 v12 /*v268*/, 28, v13 /*v269*/
	s_set_vgpr_msb 0                        ;  msbs: dst=0 src0=0 src1=0 src2=0
	v_cvt_f16_i16_e64 v227, v227
	s_set_vgpr_msb 64                       ;  msbs: dst=1 src0=0 src1=0 src2=0
	v_lshlrev_b16 v13 /*v269*/, 8, v32
	s_set_vgpr_msb 0x44                     ;  msbs: dst=1 src0=0 src1=1 src2=0
	v_and_b32_e32 v18 /*v274*/, 0x100000, v11 /*v267*/
	v_and_b32_e32 v12 /*v268*/, 0x10000000, v12 /*v268*/
	s_set_vgpr_msb 1                        ;  msbs: dst=0 src0=1 src1=0 src2=0
	v_pack_b32_f16 v227, v8 /*v264*/, v227
	s_set_vgpr_msb 0x44                     ;  msbs: dst=1 src0=0 src1=1 src2=0
	v_add_nc_u16 v13 /*v269*/, 0xf000, v13 /*v269*/
	s_set_vgpr_msb 64                       ;  msbs: dst=1 src0=0 src1=0 src2=0
	v_pk_fma_f16 v11 /*v267*/, v133, v34, v45
	v_pk_fma_f16 v8 /*v264*/, v33, v38, v42
	s_set_vgpr_msb 4                        ;  msbs: dst=0 src0=0 src1=1 src2=0
	v_pk_mul_f16 v133, v227, v25 /*v281*/
	s_set_vgpr_msb 21                       ;  msbs: dst=0 src0=1 src1=1 src2=1
	v_or3_b32 v227, v9 /*v265*/, v18 /*v274*/, v12 /*v268*/
	s_set_vgpr_msb 0x44                     ;  msbs: dst=1 src0=0 src1=1 src2=0
	v_lshrrev_b16 v18 /*v274*/, 8, v13 /*v269*/
	s_set_vgpr_msb 64                       ;  msbs: dst=1 src0=0 src1=0 src2=0
	v_pk_fma_f16 v12 /*v268*/, v33, v34, v46
	v_pk_fma_f16 v9 /*v265*/, v133, v38, v43
	v_pk_fma_f16 v13 /*v269*/, v133, v34, v47
	s_set_vgpr_msb 4                        ;  msbs: dst=0 src0=0 src1=1 src2=0
	v_bitop3_b16 v32, v32, v18 /*v274*/, 0x1f00 bitop3:0xec
	s_set_vgpr_msb 0                        ;  msbs: dst=0 src0=0 src1=0 src2=0
	ds_store_b128 v239, v[40:43]
	ds_store_b128 v239, v[44:47] offset:16
	s_set_vgpr_msb 4                        ;  msbs: dst=0 src0=0 src1=1 src2=0
	ds_store_b128 v239, v[6:9] /*v[262:265]*/
	ds_store_b128 v239, v[10:13] /*v[266:269]*/ offset:16
	s_wait_loadcnt 0x12
	v_lshrrev_b32_e32 v38, v254, v27 /*v283*/
	s_set_vgpr_msb 5                        ;  msbs: dst=0 src0=1 src1=1 src2=0
	v_lshrrev_b32_e32 v40, v3 /*v259*/, v27 /*v283*/
	s_set_vgpr_msb 0                        ;  msbs: dst=0 src0=0 src1=0 src2=0
	v_lshrrev_b32_e32 v33, 16, v227
	v_add_nc_u16 v32, 0xf000, v32
	s_set_vgpr_msb 5                        ;  msbs: dst=0 src0=1 src1=1 src2=0
	v_dual_ashrrev_i32 v41, v2 /*v258*/, v21 /*v277*/ :: v_dual_lshrrev_b32 v44, v4 /*v260*/, v27 /*v283*/
	s_set_vgpr_msb 0                        ;  msbs: dst=0 src0=0 src1=0 src2=0
	v_dual_lshlrev_b32 v38, 4, v38 :: v_dual_lshlrev_b32 v40, 12, v40
	v_lshlrev_b16 v34, 8, v33
	v_and_b32_e32 v33, 0x1f00, v33
	v_lshrrev_b32_e32 v42, 8, v32
	v_and_b32_e32 v41, 0xf0f0f0f, v41
	v_and_b32_e32 v38, 16, v38
	;; [unrolled: 1-line block ×3, first 2 shown]
	v_add_nc_u16 v33, 0xf000, v33
	v_bfe_i32 v42, v42, 0, 8
	v_add_nc_u16 v34, 0xf000, v34
	v_bfe_i32 v32, v32, 0, 8
	v_or3_b32 v38, v38, v41, v40
	v_lshrrev_b32_e32 v33, 8, v33
	v_cvt_f16_i16_e32 v40, v42
	v_ashrrev_i16 v34, 8, v34
	s_set_vgpr_msb 1                        ;  msbs: dst=0 src0=1 src1=0 src2=0
	s_clause 0x2
	global_load_b32 v133, v[16:17] /*v[272:273]*/, off offset:2
	s_set_vgpr_msb 0                        ;  msbs: dst=0 src0=0 src1=0 src2=0
	global_load_u16 v227, v[36:37], off
	v_lshlrev_b16 v42, 8, v38
	s_wait_xcnt 0x0
	v_lshlrev_b32_e32 v37, 20, v44
	v_bfe_i32 v33, v33, 0, 8
	v_cvt_f16_i16_e32 v32, v32
	v_cvt_f16_i16_e32 v34, v34
	v_add_nc_u16 v36, 0xf000, v42
	s_set_vgpr_msb 4                        ;  msbs: dst=0 src0=0 src1=1 src2=0
	v_mul_u32_u24_e32 v43, 0x10001, v37 /*v293*/
	v_cvt_f16_i16_e32 v33, v33
	s_set_vgpr_msb 5                        ;  msbs: dst=0 src0=1 src1=1 src2=0
	v_lshrrev_b32_e32 v45, v5 /*v261*/, v27 /*v283*/
	s_set_vgpr_msb 0                        ;  msbs: dst=0 src0=0 src1=0 src2=0
	v_pack_b32_f16 v32, v32, v40
	v_lshrrev_b16 v36, 8, v36
	v_and_b32_e32 v37, 0x100000, v37
	v_pack_b32_f16 v33, v34, v33
	s_set_vgpr_msb 4                        ;  msbs: dst=0 src0=0 src1=1 src2=0
	v_mul_u32_u24_e32 v47, 0x10001, v19 /*v275*/
	s_set_vgpr_msb 0                        ;  msbs: dst=0 src0=0 src1=0 src2=0
	v_pk_mul_f16 v32, v32, v43
	v_bitop3_b16 v36, v38, v36, 0x1f00 bitop3:0xec
	v_pk_mul_f16 v33, v33, v43
	s_wait_loadcnt 0x11
	s_set_vgpr_msb 5                        ;  msbs: dst=0 src0=1 src1=1 src2=0
	v_lshrrev_b32_e32 v43, v3 /*v259*/, v33 /*v289*/
	s_set_vgpr_msb 16                       ;  msbs: dst=0 src0=0 src1=0 src2=1
	v_pk_fma_f16 v40, v32, v47, v6 /*v262*/
	v_add_nc_u16 v36, 0xf000, v36
	s_delay_alu instid0(VALU_DEP_3) | instskip(NEXT) | instid1(VALU_DEP_1)
	v_dual_lshlrev_b32 v42, 28, v45 :: v_dual_lshlrev_b32 v43, 12, v43
	v_and_b32_e32 v42, 0x10000000, v42
	s_delay_alu instid0(VALU_DEP_2) | instskip(SKIP_1) | instid1(VALU_DEP_2)
	v_and_b32_e32 v43, 0x1000, v43
	s_set_vgpr_msb 0                        ;  msbs: dst=0 src0=0 src1=0 src2=0
	v_or3_b32 v34, v41, v37, v42
	s_set_vgpr_msb 4                        ;  msbs: dst=0 src0=0 src1=1 src2=0
	v_mul_u32_u24_e32 v37, 0x10001, v30 /*v286*/
	v_lshrrev_b32_e32 v42, v254, v33 /*v289*/
	s_set_vgpr_msb 16                       ;  msbs: dst=0 src0=0 src1=0 src2=1
	v_pk_fma_f16 v41, v33, v47, v7 /*v263*/
	s_set_vgpr_msb 0x45                     ;  msbs: dst=1 src0=1 src1=1 src2=0
	v_lshrrev_b32_e32 v7 /*v263*/, v4 /*v260*/, v33 /*v289*/
	s_set_vgpr_msb 16                       ;  msbs: dst=0 src0=0 src1=0 src2=1
	v_lshrrev_b32_e32 v34, 16, v34
	v_pk_fma_f16 v44, v32, v37, v10 /*v266*/
	v_lshrrev_b32_e32 v32, 8, v36
	v_bfe_i32 v36, v36, 0, 8
	v_pk_fma_f16 v45, v33, v37, v11 /*v267*/
	v_lshlrev_b16 v38, 8, v34
	v_and_b32_e32 v34, 0x1f00, v34
	v_bfe_i32 v32, v32, 0, 8
	v_cvt_f16_i16_e32 v36, v36
	v_lshlrev_b32_e32 v42, 4, v42
	v_add_nc_u16 v33, 0xf000, v38
	v_add_nc_u16 v34, 0xf000, v34
	v_cvt_f16_i16_e32 v32, v32
	s_set_vgpr_msb 0x45                     ;  msbs: dst=1 src0=1 src1=1 src2=0
	v_lshrrev_b32_e32 v10 /*v266*/, v5 /*v261*/, v33 /*v289*/
	s_set_vgpr_msb 0                        ;  msbs: dst=0 src0=0 src1=0 src2=0
	v_and_b32_e32 v42, 16, v42
	v_ashrrev_i16 v46, 8, v33
	v_lshrrev_b32_e32 v34, 8, v34
	v_pack_b32_f16 v36, v36, v32
	s_set_vgpr_msb 5                        ;  msbs: dst=0 src0=1 src1=1 src2=0
	v_ashrrev_i32_e32 v32, v2 /*v258*/, v31 /*v287*/
	s_wait_loadcnt 0x10
	v_mul_u32_u24_e32 v38, 0x10001, v34 /*v290*/
	s_set_vgpr_msb 0                        ;  msbs: dst=0 src0=0 src1=0 src2=0
	v_cvt_f16_i16_e32 v46, v46
	v_bfe_i32 v34, v34, 0, 8
	s_set_vgpr_msb 64                       ;  msbs: dst=1 src0=0 src1=0 src2=0
	v_and_b32_e32 v6 /*v262*/, 0xf0f0f0f, v32
	s_set_vgpr_msb 1                        ;  msbs: dst=0 src0=1 src1=0 src2=0
	v_add_nc_u64_e32 v[32:33], v[16:17] /*v[272:273]*/, v[188:189]
	s_set_vgpr_msb 0                        ;  msbs: dst=0 src0=0 src1=0 src2=0
	v_cvt_f16_i16_e32 v34, v34
	s_set_vgpr_msb 0x44                     ;  msbs: dst=1 src0=0 src1=1 src2=0
	v_or3_b32 v11 /*v267*/, v42, v6 /*v262*/, v43
	s_set_vgpr_msb 4                        ;  msbs: dst=0 src0=0 src1=1 src2=0
	v_dual_lshlrev_b32 v42, 20, v7 /*v263*/ :: v_dual_lshlrev_b32 v43, 28, v10 /*v266*/
	s_set_vgpr_msb 64                       ;  msbs: dst=1 src0=0 src1=0 src2=0
	global_load_b32 v27 /*v283*/, v[32:33], off offset:6
	s_wait_xcnt 0x0
	s_set_vgpr_msb 0                        ;  msbs: dst=0 src0=0 src1=0 src2=0
	v_pack_b32_f16 v32, v46, v34
	v_pk_mul_f16 v33, v36, v38
	v_and_b32_e32 v34, 0x100000, v42
	s_set_vgpr_msb 4                        ;  msbs: dst=0 src0=0 src1=1 src2=0
	v_lshlrev_b16 v36, 8, v11 /*v267*/
	s_set_vgpr_msb 16                       ;  msbs: dst=0 src0=0 src1=0 src2=1
	v_and_b32_e32 v43, 0x10000000, v43
	v_pk_mul_f16 v32, v32, v38
	v_pk_fma_f16 v42, v33, v47, v8 /*v264*/
	v_pk_fma_f16 v46, v33, v37, v12 /*v268*/
	v_add_nc_u16 v33, 0xf000, v36
	s_set_vgpr_msb 1                        ;  msbs: dst=0 src0=1 src1=0 src2=0
	v_or3_b32 v34, v6 /*v262*/, v34, v43
	s_wait_loadcnt 0x9
	s_set_vgpr_msb 4                        ;  msbs: dst=0 src0=0 src1=1 src2=0
	v_lshrrev_b32_e32 v36, v254, v59 /*v315*/
	s_set_vgpr_msb 16                       ;  msbs: dst=0 src0=0 src1=0 src2=1
	v_pk_fma_f16 v43, v32, v47, v9 /*v265*/
	v_pk_fma_f16 v47, v32, v37, v13 /*v269*/
	v_and_b32_e32 v32, 0xffff, v39
	v_lshrrev_b16 v33, 8, v33
	v_dual_lshlrev_b32 v36, 4, v36 :: v_dual_lshrrev_b32 v34, 16, v34
	s_set_vgpr_msb 1                        ;  msbs: dst=0 src0=1 src1=0 src2=0
	v_add_nc_u64_e32 v[38:39], v[14:15] /*v[270:271]*/, v[230:231]
	s_set_vgpr_msb 64                       ;  msbs: dst=1 src0=0 src1=0 src2=0
	v_add_nc_u64_e32 v[6:7] /*v[262:263]*/, s[10:11], v[176:177]
	v_mul_u32_u24_e32 v10 /*v266*/, 0x10001, v32
	s_set_vgpr_msb 1                        ;  msbs: dst=0 src0=1 src1=0 src2=0
	v_bitop3_b16 v32, v11 /*v267*/, v33, 0x1f00 bitop3:0xec
	v_and_b32_e32 v36, 16, v36
	v_lshlrev_b16 v33, 8, v34
	s_set_vgpr_msb 0x45                     ;  msbs: dst=1 src0=1 src1=1 src2=0
	v_dual_ashrrev_i32 v12 /*v268*/, v2 /*v258*/, v48 /*v304*/ :: v_dual_lshrrev_b32 v13 /*v269*/, v3 /*v259*/, v59 /*v315*/
	s_set_vgpr_msb 0                        ;  msbs: dst=0 src0=0 src1=0 src2=0
	v_add_nc_u16 v37, 0xf000, v32
	s_set_vgpr_msb 0x41                     ;  msbs: dst=1 src0=1 src1=0 src2=0
	v_add_nc_u64_e32 v[8:9] /*v[264:265]*/, v[6:7] /*v[262:263]*/, v[232:233]
	v_add_nc_u16 v11 /*v267*/, 0xf000, v33
	s_set_vgpr_msb 0                        ;  msbs: dst=0 src0=0 src1=0 src2=0
	v_add_nc_u64_e32 v[32:33], v[38:39], v[190:191]
	s_set_vgpr_msb 0x44                     ;  msbs: dst=1 src0=0 src1=1 src2=0
	v_lshlrev_b32_e32 v13 /*v269*/, 12, v13 /*v269*/
	s_set_vgpr_msb 0                        ;  msbs: dst=0 src0=0 src1=0 src2=0
	ds_store_b128 v239, v[40:43]
	ds_store_b128 v239, v[44:47] offset:16
	s_set_vgpr_msb 0x44                     ;  msbs: dst=1 src0=0 src1=1 src2=0
	v_and_b32_e32 v12 /*v268*/, 0xf0f0f0f, v12 /*v268*/
	s_clause 0x4
	global_load_b32 v28 /*v284*/, v[32:33], off offset:6
	s_set_vgpr_msb 0x41                     ;  msbs: dst=1 src0=1 src1=0 src2=0
	global_load_u16 v29 /*v285*/, v[8:9] /*v[264:265]*/, off
	s_set_vgpr_msb 64                       ;  msbs: dst=1 src0=0 src1=0 src2=0
	global_load_b32 v30 /*v286*/, v[38:39], off offset:2
	s_wait_xcnt 0x2
	s_set_vgpr_msb 4                        ;  msbs: dst=0 src0=0 src1=1 src2=0
	v_and_b32_e32 v32, 0x1000, v13 /*v269*/
	s_set_vgpr_msb 0                        ;  msbs: dst=0 src0=0 src1=0 src2=0
	v_and_b32_e32 v34, 0x1f00, v34
	s_set_vgpr_msb 0x44                     ;  msbs: dst=1 src0=0 src1=1 src2=0
	v_ashrrev_i16 v11 /*v267*/, 8, v11 /*v267*/
	s_set_vgpr_msb 0                        ;  msbs: dst=0 src0=0 src1=0 src2=0
	v_bfe_i32 v33, v37, 0, 8
	s_set_vgpr_msb 0x41                     ;  msbs: dst=1 src0=1 src1=0 src2=0
	v_add_nc_u64_e32 v[6:7] /*v[262:263]*/, v[6:7] /*v[262:263]*/, v[230:231]
	s_set_vgpr_msb 4                        ;  msbs: dst=0 src0=0 src1=1 src2=0
	v_or3_b32 v32, v36, v12 /*v268*/, v32
	s_set_vgpr_msb 0                        ;  msbs: dst=0 src0=0 src1=0 src2=0
	v_add_nc_u16 v34, 0xf000, v34
	s_set_vgpr_msb 0x41                     ;  msbs: dst=1 src0=1 src1=0 src2=0
	v_cvt_f16_i16_e64 v11 /*v267*/, v11 /*v267*/
	s_set_vgpr_msb 5                        ;  msbs: dst=0 src0=1 src1=1 src2=0
	v_lshrrev_b32_e32 v36, v4 /*v260*/, v59 /*v315*/
	s_set_vgpr_msb 0                        ;  msbs: dst=0 src0=0 src1=0 src2=0
	v_cvt_f16_i16_e32 v33, v33
	s_set_vgpr_msb 64                       ;  msbs: dst=1 src0=0 src1=0 src2=0
	v_lshlrev_b16 v15 /*v271*/, 8, v32
	s_set_vgpr_msb 0                        ;  msbs: dst=0 src0=0 src1=0 src2=0
	v_dual_lshrrev_b32 v34, 8, v34 :: v_dual_lshlrev_b32 v36, 20, v36
	s_set_vgpr_msb 0x44                     ;  msbs: dst=1 src0=0 src1=1 src2=0
	s_delay_alu instid0(VALU_DEP_2) | instskip(SKIP_1) | instid1(VALU_DEP_2)
	v_add_nc_u16 v15 /*v271*/, 0xf000, v15 /*v271*/
	s_set_vgpr_msb 0                        ;  msbs: dst=0 src0=0 src1=0 src2=0
	v_bfe_i32 v34, v34, 0, 8
	v_and_b32_e32 v36, 0x100000, v36
	s_set_vgpr_msb 0x44                     ;  msbs: dst=1 src0=0 src1=1 src2=0
	v_lshrrev_b16 v15 /*v271*/, 8, v15 /*v271*/
	s_set_vgpr_msb 4                        ;  msbs: dst=0 src0=0 src1=1 src2=0
	v_cvt_f16_i16_e32 v34, v34
	s_delay_alu instid0(VALU_DEP_2) | instskip(SKIP_1) | instid1(VALU_DEP_2)
	v_bitop3_b16 v32, v32, v15 /*v271*/, 0x1f00 bitop3:0xec
	s_set_vgpr_msb 1                        ;  msbs: dst=0 src0=1 src1=0 src2=0
	v_pack_b32_f16 v34, v11 /*v267*/, v34
	s_set_vgpr_msb 64                       ;  msbs: dst=1 src0=0 src1=0 src2=0
	v_mul_u32_u24_e32 v11 /*v267*/, 0x10001, v35
	s_set_vgpr_msb 0x45                     ;  msbs: dst=1 src0=1 src1=1 src2=0
	v_lshrrev_b32_e32 v15 /*v271*/, v3 /*v259*/, v57 /*v313*/
	s_set_vgpr_msb 0                        ;  msbs: dst=0 src0=0 src1=0 src2=0
	v_add_nc_u16 v35, 0xf000, v32
	s_set_vgpr_msb 64                       ;  msbs: dst=1 src0=0 src1=0 src2=0
	v_lshrrev_b32_e32 v14 /*v270*/, 8, v37
	s_set_vgpr_msb 4                        ;  msbs: dst=0 src0=0 src1=1 src2=0
	v_mul_u32_u24_e32 v37, 0x10001, v26 /*v282*/
	s_set_vgpr_msb 0x45                     ;  msbs: dst=1 src0=1 src1=1 src2=0
	s_delay_alu instid0(VALU_DEP_2) | instskip(SKIP_1) | instid1(VALU_DEP_2)
	v_bfe_i32 v13 /*v269*/, v14 /*v270*/, 0, 8
	v_lshrrev_b32_e32 v14 /*v270*/, v5 /*v261*/, v59 /*v315*/
	v_cvt_f16_i16_e64 v13 /*v269*/, v13 /*v269*/
	s_delay_alu instid0(VALU_DEP_2) | instskip(SKIP_1) | instid1(VALU_DEP_2)
	v_lshlrev_b32_e32 v14 /*v270*/, 28, v14 /*v270*/
	s_set_vgpr_msb 4                        ;  msbs: dst=0 src0=0 src1=1 src2=0
	v_pack_b32_f16 v33, v33, v13 /*v269*/
	s_set_vgpr_msb 0x44                     ;  msbs: dst=1 src0=0 src1=1 src2=0
	s_delay_alu instid0(VALU_DEP_2)
	v_and_b32_e32 v14 /*v270*/, 0x10000000, v14 /*v270*/
	v_mul_u32_u24_e32 v13 /*v269*/, 0x10001, v32 /*v288*/
	s_set_vgpr_msb 0                        ;  msbs: dst=0 src0=0 src1=0 src2=0
	v_pk_mul_f16 v33, v33, v37
	s_set_vgpr_msb 17                       ;  msbs: dst=0 src0=1 src1=0 src2=1
	v_or3_b32 v36, v12 /*v268*/, v36, v14 /*v270*/
	s_set_vgpr_msb 0                        ;  msbs: dst=0 src0=0 src1=0 src2=0
	v_pk_mul_f16 v37, v34, v37
	s_set_vgpr_msb 64                       ;  msbs: dst=1 src0=0 src1=0 src2=0
	v_lshrrev_b32_e32 v12 /*v268*/, 8, v35
	s_set_vgpr_msb 0x44                     ;  msbs: dst=1 src0=0 src1=1 src2=0
	v_lshrrev_b32_e32 v14 /*v270*/, v254, v57 /*v313*/
	s_set_vgpr_msb 4                        ;  msbs: dst=0 src0=0 src1=1 src2=0
	v_pk_fma_f16 v32, v33, v10 /*v266*/, v40
	s_set_vgpr_msb 0                        ;  msbs: dst=0 src0=0 src1=0 src2=0
	v_lshrrev_b32_e32 v36, 16, v36
	s_set_vgpr_msb 0x41                     ;  msbs: dst=1 src0=1 src1=0 src2=0
	v_bfe_i32 v12 /*v268*/, v12 /*v268*/, 0, 8
	s_set_vgpr_msb 0                        ;  msbs: dst=0 src0=0 src1=0 src2=0
	s_delay_alu instid0(VALU_DEP_2)
	v_lshlrev_b16 v34, 8, v36
	v_and_b32_e32 v40, 0x1f00, v36
	s_set_vgpr_msb 4                        ;  msbs: dst=0 src0=0 src1=1 src2=0
	v_pk_fma_f16 v36, v33, v11 /*v267*/, v44
	v_bfe_i32 v33, v35, 0, 8
	s_set_vgpr_msb 0x41                     ;  msbs: dst=1 src0=1 src1=0 src2=0
	v_cvt_f16_i16_e64 v12 /*v268*/, v12 /*v268*/
	s_set_vgpr_msb 1                        ;  msbs: dst=0 src0=1 src1=0 src2=0
	v_add_nc_u16 v44, 0xf000, v34
	v_add_nc_u64_e32 v[34:35], v[8:9] /*v[264:265]*/, v[188:189]
	s_set_vgpr_msb 64                       ;  msbs: dst=1 src0=0 src1=0 src2=0
	s_clause 0x5
	global_load_b32 v26 /*v282*/, v[34:35], off offset:6
	s_set_vgpr_msb 0x41                     ;  msbs: dst=1 src0=1 src1=0 src2=0
	global_load_u16 v31 /*v287*/, v[6:7] /*v[262:263]*/, off
	global_load_b32 v32 /*v288*/, v[8:9] /*v[264:265]*/, off offset:2
	s_set_vgpr_msb 64                       ;  msbs: dst=1 src0=0 src1=0 src2=0
	global_load_u16 v33 /*v289*/, v[38:39], off
	s_set_vgpr_msb 0                        ;  msbs: dst=0 src0=0 src1=0 src2=0
	v_add_nc_u16 v40, 0xf000, v40
	s_wait_xcnt 0x0
	s_set_vgpr_msb 5                        ;  msbs: dst=0 src0=1 src1=1 src2=0
	v_dual_ashrrev_i32 v38, v2 /*v258*/, v49 /*v305*/ :: v_dual_lshlrev_b32 v39, 4, v14 /*v270*/
	s_set_vgpr_msb 0                        ;  msbs: dst=0 src0=0 src1=0 src2=0
	v_cvt_f16_i16_e32 v33, v33
	v_ashrrev_i16 v44, 8, v44
	v_lshrrev_b32_e32 v40, 8, v40
	s_set_vgpr_msb 64                       ;  msbs: dst=1 src0=0 src1=0 src2=0
	v_and_b32_e32 v8 /*v264*/, 0xf0f0f0f, v38
	s_set_vgpr_msb 0                        ;  msbs: dst=0 src0=0 src1=0 src2=0
	v_and_b32_e32 v38, 16, v39
	s_set_vgpr_msb 0x45                     ;  msbs: dst=1 src0=1 src1=1 src2=0
	v_lshrrev_b32_e32 v14 /*v270*/, v3 /*v259*/, v54 /*v310*/
	s_set_vgpr_msb 4                        ;  msbs: dst=0 src0=0 src1=1 src2=0
	v_cvt_f16_i16_e32 v35, v44
	v_bfe_i32 v34, v40, 0, 8
	v_lshlrev_b32_e32 v40, 12, v15 /*v271*/
	v_pack_b32_f16 v44, v33, v12 /*v268*/
	v_pk_fma_f16 v33, v37, v10 /*v266*/, v41
	s_set_vgpr_msb 5                        ;  msbs: dst=0 src0=1 src1=1 src2=0
	v_lshrrev_b32_e32 v41, v5 /*v261*/, v57 /*v313*/
	s_set_vgpr_msb 0                        ;  msbs: dst=0 src0=0 src1=0 src2=0
	v_cvt_f16_i16_e32 v34, v34
	v_and_b32_e32 v39, 0x1000, v40
	s_set_vgpr_msb 5                        ;  msbs: dst=0 src0=1 src1=1 src2=0
	v_lshrrev_b32_e32 v40, v4 /*v260*/, v57 /*v313*/
	s_set_vgpr_msb 4                        ;  msbs: dst=0 src0=0 src1=1 src2=0
	v_pk_fma_f16 v37, v37, v11 /*v267*/, v45
	s_set_vgpr_msb 0x44                     ;  msbs: dst=1 src0=0 src1=1 src2=0
	v_lshrrev_b32_e32 v12 /*v268*/, v254, v54 /*v310*/
	s_set_vgpr_msb 0                        ;  msbs: dst=0 src0=0 src1=0 src2=0
	v_pack_b32_f16 v34, v35, v34
	s_set_vgpr_msb 4                        ;  msbs: dst=0 src0=0 src1=1 src2=0
	v_pk_mul_f16 v35, v44, v13 /*v269*/
	v_or3_b32 v44, v38, v8 /*v264*/, v39
	s_set_vgpr_msb 0                        ;  msbs: dst=0 src0=0 src1=0 src2=0
	v_lshlrev_b32_e32 v45, 20, v40
	s_set_vgpr_msb 4                        ;  msbs: dst=0 src0=0 src1=1 src2=0
	v_pk_mul_f16 v39, v34, v13 /*v269*/
	v_pk_fma_f16 v34, v35, v10 /*v266*/, v42
	s_set_vgpr_msb 0                        ;  msbs: dst=0 src0=0 src1=0 src2=0
	v_lshlrev_b16 v42, 8, v44
	s_set_vgpr_msb 4                        ;  msbs: dst=0 src0=0 src1=1 src2=0
	v_pk_fma_f16 v38, v35, v11 /*v267*/, v46
	s_set_vgpr_msb 0                        ;  msbs: dst=0 src0=0 src1=0 src2=0
	v_lshlrev_b32_e32 v46, 28, v41
	v_add_nc_u64_e32 v[40:41], s[10:11], v[178:179]
	s_set_vgpr_msb 4                        ;  msbs: dst=0 src0=0 src1=1 src2=0
	v_pk_fma_f16 v35, v39, v10 /*v266*/, v43
	s_set_vgpr_msb 0                        ;  msbs: dst=0 src0=0 src1=0 src2=0
	v_add_nc_u16 v42, 0xf000, v42
	s_set_vgpr_msb 4                        ;  msbs: dst=0 src0=0 src1=1 src2=0
	v_pk_fma_f16 v39, v39, v11 /*v267*/, v47
	s_set_vgpr_msb 0                        ;  msbs: dst=0 src0=0 src1=0 src2=0
	v_and_b32_e32 v45, 0x100000, v45
	v_and_b32_e32 v46, 0x10000000, v46
	ds_store_b128 v239, v[32:35]
	ds_store_b128 v239, v[36:39] offset:16
	v_lshrrev_b16 v47, 8, v42
	v_add_nc_u64_e32 v[42:43], v[40:41], v[232:233]
	v_add_nc_u64_e32 v[40:41], v[40:41], v[230:231]
	s_set_vgpr_msb 0x41                     ;  msbs: dst=1 src0=1 src1=0 src2=0
	v_or3_b32 v10 /*v266*/, v8 /*v264*/, v45, v46
	s_set_vgpr_msb 0x44                     ;  msbs: dst=1 src0=0 src1=1 src2=0
	v_mul_u32_u24_e32 v13 /*v269*/, 0x10001, v20 /*v276*/
	s_set_vgpr_msb 64                       ;  msbs: dst=1 src0=0 src1=0 src2=0
	v_bitop3_b16 v11 /*v267*/, v44, v47, 0x1f00 bitop3:0xec
	s_set_vgpr_msb 1                        ;  msbs: dst=0 src0=1 src1=0 src2=0
	v_add_nc_u64_e32 v[44:45], v[6:7] /*v[262:263]*/, v[190:191]
	s_set_vgpr_msb 0                        ;  msbs: dst=0 src0=0 src1=0 src2=0
	v_add_nc_u64_e32 v[46:47], v[42:43], v[188:189]
	s_set_vgpr_msb 64                       ;  msbs: dst=1 src0=0 src1=0 src2=0
	v_add_nc_u64_e32 v[8:9] /*v[264:265]*/, v[40:41], v[190:191]
	s_clause 0xa
	global_load_b32 v34 /*v290*/, v[44:45], off offset:6
	global_load_b32 v35 /*v291*/, v[46:47], off offset:6
	s_set_vgpr_msb 0x41                     ;  msbs: dst=1 src0=1 src1=0 src2=0
	global_load_b32 v37 /*v293*/, v[8:9] /*v[264:265]*/, off offset:6
	s_set_vgpr_msb 64                       ;  msbs: dst=1 src0=0 src1=0 src2=0
	global_load_b32 v43 /*v299*/, v[40:41], off offset:2
	global_load_u16 v44 /*v300*/, v[40:41], off
	global_load_b32 v45 /*v301*/, v[42:43], off offset:2
	global_load_u16 v46 /*v302*/, v[42:43], off
	s_set_vgpr_msb 0x41                     ;  msbs: dst=1 src0=1 src1=0 src2=0
	global_load_b32 v47 /*v303*/, v[6:7] /*v[262:263]*/, off offset:2
	s_wait_xcnt 0x3
	s_set_vgpr_msb 5                        ;  msbs: dst=0 src0=1 src1=1 src2=0
	v_dual_ashrrev_i32 v40, v2 /*v258*/, v50 /*v306*/ :: v_dual_lshlrev_b32 v41, 4, v12 /*v268*/
	s_set_vgpr_msb 0x44                     ;  msbs: dst=1 src0=0 src1=1 src2=0
	v_lshrrev_b32_e32 v10 /*v266*/, 16, v10 /*v266*/
	s_set_vgpr_msb 5                        ;  msbs: dst=0 src0=1 src1=1 src2=0
	v_dual_lshrrev_b32 v45, v4 /*v260*/, v54 /*v310*/ :: v_dual_lshrrev_b32 v46, v5 /*v261*/, v54 /*v310*/
	s_set_vgpr_msb 0                        ;  msbs: dst=0 src0=0 src1=0 src2=0
	v_and_b32_e32 v40, 0xf0f0f0f, v40
	v_and_b32_e32 v41, 16, v41
	s_set_vgpr_msb 4                        ;  msbs: dst=0 src0=0 src1=1 src2=0
	v_and_b32_e32 v44, 0x1f00, v10 /*v266*/
	s_wait_xcnt 0x1
	v_lshlrev_b16 v43, 8, v10 /*v266*/
	s_set_vgpr_msb 0                        ;  msbs: dst=0 src0=0 src1=0 src2=0
	v_lshlrev_b32_e32 v46, 28, v46
	s_set_vgpr_msb 0x44                     ;  msbs: dst=1 src0=0 src1=1 src2=0
	v_add_nc_u16 v11 /*v267*/, 0xf000, v11 /*v267*/
	s_set_vgpr_msb 4                        ;  msbs: dst=0 src0=0 src1=1 src2=0
	v_mul_u32_u24_e32 v47, 0x10001, v58 /*v314*/
	s_set_vgpr_msb 0                        ;  msbs: dst=0 src0=0 src1=0 src2=0
	v_add_nc_u16 v44, 0xf000, v44
	v_lshlrev_b32_e32 v45, 20, v45
	v_and_b32_e32 v46, 0x10000000, v46
	v_add_nc_u16 v43, 0xf000, v43
	s_wait_xcnt 0x0
	s_set_vgpr_msb 0x41                     ;  msbs: dst=1 src0=1 src1=0 src2=0
	v_bfe_i32 v7 /*v263*/, v11 /*v267*/, 0, 8
	s_set_vgpr_msb 0                        ;  msbs: dst=0 src0=0 src1=0 src2=0
	v_lshrrev_b32_e32 v44, 8, v44
	v_and_b32_e32 v45, 0x100000, v45
	v_ashrrev_i16 v43, 8, v43
	s_set_vgpr_msb 0x41                     ;  msbs: dst=1 src0=1 src1=0 src2=0
	v_cvt_f16_i16_e64 v7 /*v263*/, v7 /*v263*/
	s_set_vgpr_msb 0                        ;  msbs: dst=0 src0=0 src1=0 src2=0
	v_bfe_i32 v44, v44, 0, 8
	s_wait_loadcnt 0x14
	s_set_vgpr_msb 0x45                     ;  msbs: dst=1 src0=1 src1=1 src2=0
	v_lshrrev_b32_e32 v19 /*v275*/, v3 /*v259*/, v40 /*v296*/
	s_set_vgpr_msb 4                        ;  msbs: dst=0 src0=0 src1=1 src2=0
	v_lshlrev_b32_e32 v42, 12, v14 /*v270*/
	v_cvt_f16_i16_e32 v43, v43
	v_cvt_f16_i16_e32 v44, v44
	s_set_vgpr_msb 0x44                     ;  msbs: dst=1 src0=0 src1=1 src2=0
	v_mul_u32_u24_e32 v14 /*v270*/, 0x10001, v22 /*v278*/
	v_lshrrev_b32_e32 v18 /*v274*/, v254, v40 /*v296*/
	s_set_vgpr_msb 0                        ;  msbs: dst=0 src0=0 src1=0 src2=0
	v_and_b32_e32 v42, 0x1000, v42
	s_set_vgpr_msb 0x45                     ;  msbs: dst=1 src0=1 src1=1 src2=0
	v_dual_ashrrev_i32 v20 /*v276*/, v2 /*v258*/, v38 /*v294*/ :: v_dual_lshlrev_b32 v19 /*v275*/, 12, v19 /*v275*/
	s_set_vgpr_msb 0                        ;  msbs: dst=0 src0=0 src1=0 src2=0
	v_pack_b32_f16 v43, v43, v44
	s_set_vgpr_msb 0x44                     ;  msbs: dst=1 src0=0 src1=1 src2=0
	v_lshlrev_b32_e32 v18 /*v274*/, 4, v18 /*v274*/
	s_set_vgpr_msb 0                        ;  msbs: dst=0 src0=0 src1=0 src2=0
	v_or3_b32 v41, v41, v40, v42
	v_or3_b32 v40, v40, v45, v46
	s_set_vgpr_msb 4                        ;  msbs: dst=0 src0=0 src1=1 src2=0
	v_lshrrev_b32_e32 v42, 8, v11 /*v267*/
	s_set_vgpr_msb 0                        ;  msbs: dst=0 src0=0 src1=0 src2=0
	v_pk_mul_f16 v43, v43, v47
	s_set_vgpr_msb 0x44                     ;  msbs: dst=1 src0=0 src1=1 src2=0
	v_and_b32_e32 v20 /*v276*/, 0xf0f0f0f, v20 /*v276*/
	s_set_vgpr_msb 64                       ;  msbs: dst=1 src0=0 src1=0 src2=0
	v_lshlrev_b16 v6 /*v262*/, 8, v41
	s_set_vgpr_msb 0x44                     ;  msbs: dst=1 src0=0 src1=1 src2=0
	v_and_b32_e32 v18 /*v274*/, 16, v18 /*v274*/
	s_set_vgpr_msb 0                        ;  msbs: dst=0 src0=0 src1=0 src2=0
	v_bfe_i32 v42, v42, 0, 8
	s_set_vgpr_msb 0x44                     ;  msbs: dst=1 src0=0 src1=1 src2=0
	v_pk_fma_f16 v11 /*v267*/, v43, v14 /*v270*/, v37
	v_and_b32_e32 v19 /*v275*/, 0x1000, v19 /*v275*/
	v_add_nc_u16 v6 /*v262*/, 0xf000, v6 /*v262*/
	s_set_vgpr_msb 4                        ;  msbs: dst=0 src0=0 src1=1 src2=0
	v_cvt_f16_i16_e32 v42, v42
	s_delay_alu instid0(VALU_DEP_2) | instskip(SKIP_1) | instid1(VALU_DEP_2)
	v_lshrrev_b16 v45, 8, v6 /*v262*/
	s_set_vgpr_msb 1                        ;  msbs: dst=0 src0=1 src1=0 src2=0
	v_pack_b32_f16 v42, v7 /*v263*/, v42
	s_set_vgpr_msb 0x44                     ;  msbs: dst=1 src0=0 src1=1 src2=0
	v_pk_fma_f16 v7 /*v263*/, v43, v13 /*v269*/, v33
	s_wait_loadcnt 0x12
	s_set_vgpr_msb 4                        ;  msbs: dst=0 src0=0 src1=1 src2=0
	v_lshrrev_b32_e32 v33, v254, v42 /*v298*/
	s_set_vgpr_msb 0                        ;  msbs: dst=0 src0=0 src1=0 src2=0
	v_bitop3_b16 v41, v41, v45, 0x1f00 bitop3:0xec
	v_pk_mul_f16 v42, v42, v47
	s_delay_alu instid0(VALU_DEP_3) | instskip(NEXT) | instid1(VALU_DEP_3)
	v_lshlrev_b32_e32 v33, 4, v33
	v_add_nc_u16 v41, 0xf000, v41
	v_lshrrev_b32_e32 v40, 16, v40
	s_set_vgpr_msb 0x44                     ;  msbs: dst=1 src0=0 src1=1 src2=0
	v_pk_fma_f16 v6 /*v262*/, v42, v13 /*v269*/, v32
	v_pk_fma_f16 v10 /*v266*/, v42, v14 /*v270*/, v36
	s_set_vgpr_msb 5                        ;  msbs: dst=0 src0=1 src1=1 src2=0
	v_lshrrev_b32_e32 v42, v3 /*v259*/, v42 /*v298*/
	v_mul_u32_u24_e32 v36, 0x10001, v56 /*v312*/
	s_set_vgpr_msb 0                        ;  msbs: dst=0 src0=0 src1=0 src2=0
	v_and_b32_e32 v45, 0x1f00, v40
	s_delay_alu instid0(VALU_DEP_3) | instskip(NEXT) | instid1(VALU_DEP_2)
	v_dual_lshlrev_b32 v42, 12, v42 :: v_dual_bitop2_b32 v33, 16, v33 bitop3:0x40
	v_add_nc_u16 v44, 0xf000, v45
	v_lshrrev_b32_e32 v45, 8, v41
	v_lshlrev_b16 v40, 8, v40
	v_bfe_i32 v41, v41, 0, 8
	s_delay_alu instid0(VALU_DEP_4) | instskip(NEXT) | instid1(VALU_DEP_4)
	v_lshrrev_b32_e32 v44, 8, v44
	v_bfe_i32 v45, v45, 0, 8
	s_delay_alu instid0(VALU_DEP_4) | instskip(NEXT) | instid1(VALU_DEP_4)
	v_add_nc_u16 v40, 0xf000, v40
	v_cvt_f16_i16_e32 v32, v41
	s_delay_alu instid0(VALU_DEP_4) | instskip(NEXT) | instid1(VALU_DEP_4)
	v_bfe_i32 v41, v44, 0, 8
	v_cvt_f16_i16_e32 v44, v45
	s_delay_alu instid0(VALU_DEP_4) | instskip(NEXT) | instid1(VALU_DEP_3)
	v_ashrrev_i16 v40, 8, v40
	v_cvt_f16_i16_e32 v41, v41
	s_delay_alu instid0(VALU_DEP_3) | instskip(NEXT) | instid1(VALU_DEP_3)
	v_pack_b32_f16 v32, v32, v44
	v_cvt_f16_i16_e32 v40, v40
	ds_load_b128 v[44:47], v246 offset:32
	s_wait_loadcnt 0x10
	v_mul_u32_u24_e32 v227, 0x10001, v227
	v_pk_mul_f16 v32, v32, v36
	v_pack_b32_f16 v40, v40, v41
	s_set_vgpr_msb 5                        ;  msbs: dst=0 src0=1 src1=1 src2=0
	v_ashrrev_i32_e32 v41, v2 /*v258*/, v36 /*v292*/
	s_set_vgpr_msb 0x44                     ;  msbs: dst=1 src0=0 src1=1 src2=0
	v_pk_fma_f16 v8 /*v264*/, v32, v13 /*v269*/, v34
	s_set_vgpr_msb 0                        ;  msbs: dst=0 src0=0 src1=0 src2=0
	v_pk_mul_f16 v36, v40, v36
	s_set_vgpr_msb 64                       ;  msbs: dst=1 src0=0 src1=0 src2=0
	v_and_b32_e32 v15 /*v271*/, 0xf0f0f0f, v41
	s_set_vgpr_msb 0                        ;  msbs: dst=0 src0=0 src1=0 src2=0
	v_and_b32_e32 v40, 0x1000, v42
	s_set_vgpr_msb 0x44                     ;  msbs: dst=1 src0=0 src1=1 src2=0
	v_pk_fma_f16 v12 /*v268*/, v32, v14 /*v270*/, v38
	s_set_vgpr_msb 5                        ;  msbs: dst=0 src0=1 src1=1 src2=0
	v_lshrrev_b32_e32 v34, v5 /*v261*/, v42 /*v298*/
	s_set_vgpr_msb 0x44                     ;  msbs: dst=1 src0=0 src1=1 src2=0
	v_pk_fma_f16 v9 /*v265*/, v36, v13 /*v269*/, v35
	v_pk_fma_f16 v13 /*v269*/, v36, v14 /*v270*/, v39
	s_set_vgpr_msb 4                        ;  msbs: dst=0 src0=0 src1=1 src2=0
	v_or3_b32 v32, v33, v15 /*v271*/, v40
	s_set_vgpr_msb 5                        ;  msbs: dst=0 src0=1 src1=1 src2=0
	v_lshrrev_b32_e32 v33, v4 /*v260*/, v42 /*v298*/
	s_set_vgpr_msb 0                        ;  msbs: dst=0 src0=0 src1=0 src2=0
	v_lshlrev_b32_e32 v34, 28, v34
	ds_load_b128 v[40:43], v246 offset:288
	s_wait_dscnt 0x1
	s_set_vgpr_msb 64                       ;  msbs: dst=1 src0=0 src1=0 src2=0
	v_dual_lshrrev_b32 v36 /*v292*/, 16, v44 :: v_dual_lshrrev_b32 v42 /*v298*/, 16, v45
	s_set_vgpr_msb 0                        ;  msbs: dst=0 src0=0 src1=0 src2=0
	v_lshlrev_b16 v35, 8, v32
	v_lshlrev_b32_e32 v33, 20, v33
	v_and_b32_e32 v34, 0x10000000, v34
	v_and_b32_e32 v44, 0xffff, v44
	s_set_vgpr_msb 4                        ;  msbs: dst=0 src0=0 src1=1 src2=0
	ds_store_b128 v239, v[6:9] /*v[262:265]*/
	ds_store_b128 v239, v[10:13] /*v[266:269]*/ offset:16
	s_set_vgpr_msb 0                        ;  msbs: dst=0 src0=0 src1=0 src2=0
	v_add_nc_u16 v35, 0xf000, v35
	v_and_b32_e32 v33, 0x100000, v33
	ds_load_b128 v[36:39], v246 offset:48
	v_mul_u32_u24_e32 v44, 0x10001, v44
	s_set_vgpr_msb 64                       ;  msbs: dst=1 src0=0 src1=0 src2=0
	v_dual_lshrrev_b32 v48 /*v304*/, 16, v46 :: v_dual_lshrrev_b32 v49 /*v305*/, 16, v47
	s_set_vgpr_msb 0                        ;  msbs: dst=0 src0=0 src1=0 src2=0
	v_lshrrev_b16 v35, 8, v35
	s_set_vgpr_msb 0x41                     ;  msbs: dst=1 src0=1 src1=0 src2=0
	v_or3_b32 v14 /*v270*/, v15 /*v271*/, v33, v34
	s_set_vgpr_msb 64                       ;  msbs: dst=1 src0=0 src1=0 src2=0
	s_delay_alu instid0(VALU_DEP_2) | instskip(SKIP_1) | instid1(VALU_DEP_2)
	v_bitop3_b16 v15 /*v271*/, v32, v35, 0x1f00 bitop3:0xec
	s_set_vgpr_msb 0x44                     ;  msbs: dst=1 src0=0 src1=1 src2=0
	v_lshrrev_b32_e32 v14 /*v270*/, 16, v14 /*v270*/
	s_wait_dscnt 0x3
	s_set_vgpr_msb 64                       ;  msbs: dst=1 src0=0 src1=0 src2=0
	v_dual_lshrrev_b32 v50 /*v306*/, 16, v40 :: v_dual_lshrrev_b32 v51 /*v307*/, 16, v41
	s_set_vgpr_msb 0                        ;  msbs: dst=0 src0=0 src1=0 src2=0
	v_and_b32_e32 v40, 0xffff, v40
	s_set_vgpr_msb 0x44                     ;  msbs: dst=1 src0=0 src1=1 src2=0
	v_add_nc_u16 v15 /*v271*/, 0xf000, v15 /*v271*/
	v_lshlrev_b16 v16 /*v272*/, 8, v14 /*v270*/
	v_and_b32_e32 v14 /*v270*/, 0x1f00, v14 /*v270*/
	s_set_vgpr_msb 0                        ;  msbs: dst=0 src0=0 src1=0 src2=0
	ds_load_b128 v[32:35], v246 offset:304
	v_mul_u32_u24_e32 v40, 0x10001, v40
	s_set_vgpr_msb 0x44                     ;  msbs: dst=1 src0=0 src1=1 src2=0
	v_lshrrev_b32_e32 v17 /*v273*/, 8, v15 /*v271*/
	s_set_vgpr_msb 0x41                     ;  msbs: dst=1 src0=1 src1=0 src2=0
	v_bfe_i32 v15 /*v271*/, v15 /*v271*/, 0, 8
	s_set_vgpr_msb 0x44                     ;  msbs: dst=1 src0=0 src1=1 src2=0
	v_add_nc_u16 v14 /*v270*/, 0xf000, v14 /*v270*/
	v_add_nc_u16 v16 /*v272*/, 0xf000, v16 /*v272*/
	s_set_vgpr_msb 0x41                     ;  msbs: dst=1 src0=1 src1=0 src2=0
	v_lshrrev_b32_e32 v52 /*v308*/, 16, v42
	v_bfe_i32 v17 /*v273*/, v17 /*v273*/, 0, 8
	v_cvt_f16_i16_e64 v15 /*v271*/, v15 /*v271*/
	s_set_vgpr_msb 0x44                     ;  msbs: dst=1 src0=0 src1=1 src2=0
	v_lshrrev_b32_e32 v14 /*v270*/, 8, v14 /*v270*/
	v_ashrrev_i16 v16 /*v272*/, 8, v16 /*v272*/
	s_set_vgpr_msb 0                        ;  msbs: dst=0 src0=0 src1=0 src2=0
	v_and_b32_e32 v41, 0xffff, v41
	s_set_vgpr_msb 0x41                     ;  msbs: dst=1 src0=1 src1=0 src2=0
	v_cvt_f16_i16_e64 v17 /*v273*/, v17 /*v273*/
	s_set_vgpr_msb 0                        ;  msbs: dst=0 src0=0 src1=0 src2=0
	v_and_b32_e32 v42, 0xffff, v42
	s_set_vgpr_msb 0x55                     ;  msbs: dst=1 src0=1 src1=1 src2=1
	v_cvt_f16_i16_e64 v16 /*v272*/, v16 /*v272*/
	v_pack_b32_f16 v15 /*v271*/, v15 /*v271*/, v17 /*v273*/
	v_or3_b32 v17 /*v273*/, v18 /*v274*/, v20 /*v276*/, v19 /*v275*/
	v_dual_lshrrev_b32 v18 /*v274*/, v4 /*v260*/, v40 /*v296*/ :: v_dual_lshrrev_b32 v19 /*v275*/, v5 /*v261*/, v40 /*v296*/
	v_bfe_i32 v14 /*v270*/, v14 /*v270*/, 0, 8
	s_set_vgpr_msb 0x41                     ;  msbs: dst=1 src0=1 src1=0 src2=0
	v_pk_mul_f16 v22 /*v278*/, v15 /*v271*/, v227
	s_set_vgpr_msb 0x44                     ;  msbs: dst=1 src0=0 src1=1 src2=0
	v_lshlrev_b16 v21 /*v277*/, 8, v17 /*v273*/
	v_dual_lshlrev_b32 v18 /*v274*/, 20, v18 /*v274*/ :: v_dual_lshlrev_b32 v19 /*v275*/, 28, v19 /*v275*/
	s_set_vgpr_msb 0x51                     ;  msbs: dst=1 src0=1 src1=0 src2=1
	v_cvt_f16_i16_e64 v14 /*v270*/, v14 /*v270*/
	v_pk_fma_f16 v6 /*v262*/, v22 /*v278*/, v44, v6 /*v262*/
	s_set_vgpr_msb 0x45                     ;  msbs: dst=1 src0=1 src1=1 src2=0
	v_add_nc_u16 v21 /*v277*/, 0xf000, v21 /*v277*/
	v_and_b32_e32 v18 /*v274*/, 0x100000, v18 /*v274*/
	v_and_b32_e32 v19 /*v275*/, 0x10000000, v19 /*v275*/
	v_pack_b32_f16 v16 /*v272*/, v16 /*v272*/, v14 /*v270*/
	s_set_vgpr_msb 64                       ;  msbs: dst=1 src0=0 src1=0 src2=0
	v_add_nc_u64_e32 v[14:15] /*v[270:271]*/, s[10:11], v[180:181]
	s_set_vgpr_msb 0x44                     ;  msbs: dst=1 src0=0 src1=1 src2=0
	v_lshrrev_b16 v21 /*v277*/, 8, v21 /*v277*/
	s_set_vgpr_msb 0x51                     ;  msbs: dst=1 src0=1 src1=0 src2=1
	v_pk_fma_f16 v10 /*v266*/, v22 /*v278*/, v40, v10 /*v266*/
	s_set_vgpr_msb 0x55                     ;  msbs: dst=1 src0=1 src1=1 src2=1
	v_or3_b32 v18 /*v274*/, v20 /*v276*/, v18 /*v274*/, v19 /*v275*/
	s_set_vgpr_msb 1                        ;  msbs: dst=0 src0=1 src1=0 src2=0
	v_pk_mul_f16 v227, v16 /*v272*/, v227
	v_mul_u32_u24_e32 v42, 0x10001, v42
	s_set_vgpr_msb 0x45                     ;  msbs: dst=1 src0=1 src1=1 src2=0
	v_bitop3_b16 v17 /*v273*/, v17 /*v273*/, v21 /*v277*/, 0x1f00 bitop3:0xec
	v_lshrrev_b32_e32 v20 /*v276*/, 16, v18 /*v274*/
	s_set_vgpr_msb 0x50                     ;  msbs: dst=1 src0=0 src1=0 src2=1
	v_add_nc_u64_e32 v[18:19] /*v[274:275]*/, s[10:11], v[182:183]
	v_pk_fma_f16 v7 /*v263*/, v227, v44, v7 /*v263*/
	s_set_vgpr_msb 0x44                     ;  msbs: dst=1 src0=0 src1=1 src2=0
	v_add_nc_u16 v38 /*v294*/, 0xf000, v17 /*v273*/
	s_set_vgpr_msb 0x41                     ;  msbs: dst=1 src0=1 src1=0 src2=0
	v_add_nc_u64_e32 v[16:17] /*v[272:273]*/, v[14:15] /*v[270:271]*/, v[232:233]
	v_add_nc_u64_e32 v[14:15] /*v[270:271]*/, v[14:15] /*v[270:271]*/, v[230:231]
	s_set_vgpr_msb 0x44                     ;  msbs: dst=1 src0=0 src1=1 src2=0
	v_lshlrev_b16 v40 /*v296*/, 8, v20 /*v276*/
	v_and_b32_e32 v53 /*v309*/, 0x1f00, v20 /*v276*/
	s_set_vgpr_msb 0x41                     ;  msbs: dst=1 src0=1 src1=0 src2=0
	v_add_nc_u64_e32 v[24:25] /*v[280:281]*/, v[18:19] /*v[274:275]*/, v[232:233]
	s_set_vgpr_msb 0x50                     ;  msbs: dst=1 src0=0 src1=0 src2=1
	v_pk_fma_f16 v11 /*v267*/, v227, v40, v11 /*v267*/
	s_set_vgpr_msb 0x41                     ;  msbs: dst=1 src0=1 src1=0 src2=0
	v_add_nc_u64_e32 v[20:21] /*v[276:277]*/, v[16:17] /*v[272:273]*/, v[188:189]
	v_add_nc_u64_e32 v[22:23] /*v[278:279]*/, v[14:15] /*v[270:271]*/, v[190:191]
	s_clause 0x5
	global_load_b32 v55 /*v311*/, v[20:21] /*v[276:277]*/, off offset:6
	global_load_b32 v56 /*v312*/, v[22:23] /*v[278:279]*/, off offset:6
	global_load_u16 v57 /*v313*/, v[24:25] /*v[280:281]*/, off
	global_load_b32 v58 /*v314*/, v[14:15] /*v[270:271]*/, off offset:2
	global_load_u16 v59 /*v315*/, v[14:15] /*v[270:271]*/, off
	global_load_b32 v60 /*v316*/, v[16:17] /*v[272:273]*/, off offset:2
	s_set_vgpr_msb 0x44                     ;  msbs: dst=1 src0=0 src1=1 src2=0
	v_add_nc_u16 v40 /*v296*/, 0xf000, v40 /*v296*/
	s_wait_xcnt 0x1
	s_set_vgpr_msb 64                       ;  msbs: dst=1 src0=0 src1=0 src2=0
	v_lshrrev_b32_e32 v15 /*v271*/, v254, v133
	s_set_vgpr_msb 0x41                     ;  msbs: dst=1 src0=1 src1=0 src2=0
	v_lshrrev_b32_e32 v20 /*v276*/, v3 /*v259*/, v133
	s_set_vgpr_msb 0x44                     ;  msbs: dst=1 src0=0 src1=1 src2=0
	v_lshrrev_b32_e32 v54 /*v310*/, 8, v38 /*v294*/
	s_set_vgpr_msb 0x41                     ;  msbs: dst=1 src0=1 src1=0 src2=0
	v_bfe_i32 v38 /*v294*/, v38 /*v294*/, 0, 8
	s_set_vgpr_msb 0x45                     ;  msbs: dst=1 src0=1 src1=1 src2=0
	v_add_nc_u16 v53 /*v309*/, 0xf000, v53 /*v309*/
	s_wait_loadcnt 0x15
	v_ashrrev_i32_e32 v23 /*v279*/, v2 /*v258*/, v27 /*v283*/
	v_lshlrev_b32_e32 v15 /*v271*/, 4, v15 /*v271*/
	v_mul_u32_u24_e32 v14 /*v270*/, 0x10001, v41 /*v297*/
	v_cvt_f16_i16_e64 v21 /*v277*/, v38 /*v294*/
	v_ashrrev_i16 v38 /*v294*/, 8, v40 /*v296*/
	s_set_vgpr_msb 0x41                     ;  msbs: dst=1 src0=1 src1=0 src2=0
	v_lshrrev_b32_e32 v40 /*v296*/, v4 /*v260*/, v133
	s_set_vgpr_msb 0x44                     ;  msbs: dst=1 src0=0 src1=1 src2=0
	v_lshlrev_b32_e32 v20 /*v276*/, 12, v20 /*v276*/
	s_set_vgpr_msb 0x41                     ;  msbs: dst=1 src0=1 src1=0 src2=0
	v_bfe_i32 v54 /*v310*/, v54 /*v310*/, 0, 8
	s_set_vgpr_msb 0x44                     ;  msbs: dst=1 src0=0 src1=1 src2=0
	v_dual_lshrrev_b32 v27 /*v283*/, 8, v53 /*v309*/ :: v_dual_bitop2_b32 v15 /*v271*/, 16, v15 /*v271*/ bitop3:0x40
	v_and_b32_e32 v23 /*v279*/, 0xf0f0f0f, v23 /*v279*/
	v_and_b32_e32 v20 /*v276*/, 0x1000, v20 /*v276*/
	s_set_vgpr_msb 0x41                     ;  msbs: dst=1 src0=1 src1=0 src2=0
	v_cvt_f16_i16_e64 v22 /*v278*/, v54 /*v310*/
	v_bfe_i32 v27 /*v283*/, v27 /*v283*/, 0, 8
	v_cvt_f16_i16_e64 v38 /*v294*/, v38 /*v294*/
	s_set_vgpr_msb 1                        ;  msbs: dst=0 src0=1 src1=0 src2=0
	v_lshrrev_b32_e32 v133, v5 /*v261*/, v133
	s_set_vgpr_msb 0x55                     ;  msbs: dst=1 src0=1 src1=1 src2=1
	v_or3_b32 v15 /*v271*/, v15 /*v271*/, v23 /*v279*/, v20 /*v276*/
	v_pack_b32_f16 v21 /*v277*/, v21 /*v277*/, v22 /*v278*/
	v_cvt_f16_i16_e64 v27 /*v283*/, v27 /*v283*/
	v_lshlrev_b32_e32 v20 /*v276*/, 20, v40 /*v296*/
	s_delay_alu instid0(VALU_DEP_4) | instskip(NEXT) | instid1(VALU_DEP_4)
	v_lshlrev_b16 v22 /*v278*/, 8, v15 /*v271*/
	v_pk_mul_f16 v21 /*v277*/, v21 /*v277*/, v14 /*v270*/
	s_delay_alu instid0(VALU_DEP_4) | instskip(NEXT) | instid1(VALU_DEP_3)
	v_pack_b32_f16 v27 /*v283*/, v38 /*v294*/, v27 /*v283*/
	v_add_nc_u16 v22 /*v278*/, 0xf000, v22 /*v278*/
	s_set_vgpr_msb 0x51                     ;  msbs: dst=1 src0=1 src1=0 src2=1
	s_delay_alu instid0(VALU_DEP_3)
	v_pk_fma_f16 v12 /*v268*/, v21 /*v277*/, v40, v12 /*v268*/
	s_set_vgpr_msb 5                        ;  msbs: dst=0 src0=1 src1=1 src2=0
	v_pk_mul_f16 v227, v27 /*v283*/, v14 /*v270*/
	s_set_vgpr_msb 0x51                     ;  msbs: dst=1 src0=1 src1=0 src2=1
	v_pk_fma_f16 v8 /*v264*/, v21 /*v277*/, v44, v8 /*v264*/
	s_set_vgpr_msb 0x44                     ;  msbs: dst=1 src0=0 src1=1 src2=0
	v_lshrrev_b16 v14 /*v270*/, 8, v22 /*v278*/
	v_mul_u32_u24_e32 v22 /*v278*/, 0x10001, v39 /*v295*/
	s_set_vgpr_msb 0x50                     ;  msbs: dst=1 src0=0 src1=0 src2=1
	v_pk_fma_f16 v9 /*v265*/, v227, v44, v9 /*v265*/
	v_pk_fma_f16 v13 /*v269*/, v227, v40, v13 /*v269*/
	s_set_vgpr_msb 0                        ;  msbs: dst=0 src0=0 src1=0 src2=0
	v_dual_lshrrev_b32 v227, 16, v43 :: v_dual_lshlrev_b32 v133, 28, v133
	s_set_vgpr_msb 5                        ;  msbs: dst=0 src0=1 src1=1 src2=0
	v_bitop3_b16 v40, v15 /*v271*/, v14 /*v270*/, 0x1f00 bitop3:0xec
	s_wait_loadcnt 0x12
	s_set_vgpr_msb 0x44                     ;  msbs: dst=1 src0=0 src1=1 src2=0
	v_lshrrev_b32_e32 v14 /*v270*/, v254, v30 /*v286*/
	v_and_b32_e32 v20 /*v276*/, 0x100000, v20 /*v276*/
	s_set_vgpr_msb 0x45                     ;  msbs: dst=1 src0=1 src1=1 src2=0
	v_lshrrev_b32_e32 v15 /*v271*/, v3 /*v259*/, v30 /*v286*/
	s_set_vgpr_msb 0                        ;  msbs: dst=0 src0=0 src1=0 src2=0
	v_and_b32_e32 v133, 0x10000000, v133
	v_add_nc_u16 v40, 0xf000, v40
	s_set_vgpr_msb 4                        ;  msbs: dst=0 src0=0 src1=1 src2=0
	ds_store_b128 v239, v[6:9] /*v[262:265]*/
	ds_store_b128 v239, v[10:13] /*v[266:269]*/ offset:16
	s_set_vgpr_msb 0                        ;  msbs: dst=0 src0=0 src1=0 src2=0
	v_mul_u32_u24_e32 v227, 0x10001, v227
	s_set_vgpr_msb 5                        ;  msbs: dst=0 src0=1 src1=1 src2=0
	v_or3_b32 v133, v23 /*v279*/, v20 /*v276*/, v133
	s_set_vgpr_msb 0x45                     ;  msbs: dst=1 src0=1 src1=1 src2=0
	v_dual_ashrrev_i32 v20 /*v276*/, v2 /*v258*/, v28 /*v284*/ :: v_dual_lshlrev_b32 v14 /*v270*/, 4, v14 /*v270*/
	v_lshlrev_b32_e32 v15 /*v271*/, 12, v15 /*v271*/
	s_set_vgpr_msb 64                       ;  msbs: dst=1 src0=0 src1=0 src2=0
	v_lshrrev_b32_e32 v21 /*v277*/, 8, v40
	s_set_vgpr_msb 0                        ;  msbs: dst=0 src0=0 src1=0 src2=0
	v_lshrrev_b32_e32 v133, 16, v133
	s_set_vgpr_msb 0x44                     ;  msbs: dst=1 src0=0 src1=1 src2=0
	v_and_b32_e32 v20 /*v276*/, 0xf0f0f0f, v20 /*v276*/
	v_and_b32_e32 v14 /*v270*/, 16, v14 /*v270*/
	;; [unrolled: 1-line block ×3, first 2 shown]
	s_set_vgpr_msb 0x45                     ;  msbs: dst=1 src0=1 src1=1 src2=0
	v_bfe_i32 v21 /*v277*/, v21 /*v277*/, 0, 8
	v_lshrrev_b32_e32 v23 /*v279*/, v5 /*v261*/, v30 /*v286*/
	s_set_vgpr_msb 0                        ;  msbs: dst=0 src0=0 src1=0 src2=0
	v_lshlrev_b16 v44, 8, v133
	v_and_b32_e32 v133, 0x1f00, v133
	s_set_vgpr_msb 0x55                     ;  msbs: dst=1 src0=1 src1=1 src2=1
	v_or3_b32 v14 /*v270*/, v14 /*v270*/, v20 /*v276*/, v15 /*v271*/
	v_cvt_f16_i16_e64 v15 /*v271*/, v21 /*v277*/
	v_lshrrev_b32_e32 v21 /*v277*/, v4 /*v260*/, v30 /*v286*/
	s_clause 0x1
	global_load_b32 v30 /*v286*/, v[24:25] /*v[280:281]*/, off offset:2
	global_load_u16 v38 /*v294*/, v[16:17] /*v[272:273]*/, off
	s_set_vgpr_msb 0                        ;  msbs: dst=0 src0=0 src1=0 src2=0
	v_add_nc_u16 v133, 0xf000, v133
	v_add_nc_u16 v44, 0xf000, v44
	s_set_vgpr_msb 0x44                     ;  msbs: dst=1 src0=0 src1=1 src2=0
	v_lshlrev_b16 v27 /*v283*/, 8, v14 /*v270*/
	s_set_vgpr_msb 0                        ;  msbs: dst=0 src0=0 src1=0 src2=0
	v_bfe_i32 v40, v40, 0, 8
	s_set_vgpr_msb 0x44                     ;  msbs: dst=1 src0=0 src1=1 src2=0
	v_lshlrev_b32_e32 v21 /*v277*/, 20, v21 /*v277*/
	s_set_vgpr_msb 0                        ;  msbs: dst=0 src0=0 src1=0 src2=0
	v_lshrrev_b32_e32 v133, 8, v133
	v_ashrrev_i16 v44, 8, v44
	s_set_vgpr_msb 0x44                     ;  msbs: dst=1 src0=0 src1=1 src2=0
	v_add_nc_u16 v27 /*v283*/, 0xf000, v27 /*v283*/
	s_set_vgpr_msb 0                        ;  msbs: dst=0 src0=0 src1=0 src2=0
	v_cvt_f16_i16_e32 v40, v40
	s_set_vgpr_msb 0x44                     ;  msbs: dst=1 src0=0 src1=1 src2=0
	v_lshlrev_b32_e32 v23 /*v279*/, 28, v23 /*v279*/
	s_set_vgpr_msb 0                        ;  msbs: dst=0 src0=0 src1=0 src2=0
	v_bfe_i32 v133, v133, 0, 8
	v_cvt_f16_i16_e32 v44, v44
	s_wait_xcnt 0x0
	s_set_vgpr_msb 0x44                     ;  msbs: dst=1 src0=0 src1=1 src2=0
	v_lshrrev_b16 v17 /*v273*/, 8, v27 /*v283*/
	s_set_vgpr_msb 4                        ;  msbs: dst=0 src0=0 src1=1 src2=0
	v_pack_b32_f16 v40, v40, v15 /*v271*/
	s_set_vgpr_msb 0x44                     ;  msbs: dst=1 src0=0 src1=1 src2=0
	v_and_b32_e32 v16 /*v272*/, 0x100000, v21 /*v277*/
	s_set_vgpr_msb 0                        ;  msbs: dst=0 src0=0 src1=0 src2=0
	v_cvt_f16_i16_e64 v133, v133
	s_wait_loadcnt 0x11
	s_set_vgpr_msb 0x45                     ;  msbs: dst=1 src0=1 src1=1 src2=0
	v_lshrrev_b32_e32 v27 /*v283*/, v3 /*v259*/, v32 /*v288*/
	v_bitop3_b16 v14 /*v270*/, v14 /*v270*/, v17 /*v273*/, 0x1f00 bitop3:0xec
	s_set_vgpr_msb 4                        ;  msbs: dst=0 src0=0 src1=1 src2=0
	v_pk_mul_f16 v40, v40, v22 /*v278*/
	s_set_vgpr_msb 0                        ;  msbs: dst=0 src0=0 src1=0 src2=0
	v_pack_b32_f16 v44, v44, v133
	s_set_vgpr_msb 4                        ;  msbs: dst=0 src0=0 src1=1 src2=0
	v_mul_u32_u24_e32 v133, 0x10001, v50 /*v306*/
	s_set_vgpr_msb 0x44                     ;  msbs: dst=1 src0=0 src1=1 src2=0
	v_add_nc_u16 v14 /*v270*/, 0xf000, v14 /*v270*/
	s_set_vgpr_msb 4                        ;  msbs: dst=0 src0=0 src1=1 src2=0
	v_pk_mul_f16 v44, v44, v22 /*v278*/
	s_set_vgpr_msb 0x44                     ;  msbs: dst=1 src0=0 src1=1 src2=0
	v_lshrrev_b32_e32 v22 /*v278*/, v254, v32 /*v288*/
	v_and_b32_e32 v21 /*v277*/, 0x10000000, v23 /*v279*/
	v_mul_u32_u24_e32 v23 /*v279*/, 0x10001, v36 /*v292*/
	s_set_vgpr_msb 0x50                     ;  msbs: dst=1 src0=0 src1=0 src2=1
	v_pk_fma_f16 v10 /*v266*/, v40, v133, v10 /*v266*/
	v_pk_fma_f16 v11 /*v267*/, v44, v133, v11 /*v267*/
	s_set_vgpr_msb 0x55                     ;  msbs: dst=1 src0=1 src1=1 src2=1
	v_or3_b32 v15 /*v271*/, v20 /*v276*/, v16 /*v272*/, v21 /*v277*/
	s_set_vgpr_msb 0x54                     ;  msbs: dst=1 src0=0 src1=1 src2=1
	v_pk_fma_f16 v6 /*v262*/, v40, v23 /*v279*/, v6 /*v262*/
	s_set_vgpr_msb 4                        ;  msbs: dst=0 src0=0 src1=1 src2=0
	v_lshrrev_b32_e32 v40, 8, v14 /*v270*/
	s_set_vgpr_msb 0x41                     ;  msbs: dst=1 src0=1 src1=0 src2=0
	v_bfe_i32 v14 /*v270*/, v14 /*v270*/, 0, 8
	s_wait_loadcnt 0x10
	s_set_vgpr_msb 0x54                     ;  msbs: dst=1 src0=0 src1=1 src2=1
	v_mul_u32_u24_e32 v20 /*v276*/, 0x10001, v33 /*v289*/
	v_lshrrev_b32_e32 v15 /*v271*/, 16, v15 /*v271*/
	v_pk_fma_f16 v7 /*v263*/, v44, v23 /*v279*/, v7 /*v263*/
	s_set_vgpr_msb 0                        ;  msbs: dst=0 src0=0 src1=0 src2=0
	v_bfe_i32 v40, v40, 0, 8
	s_set_vgpr_msb 0x41                     ;  msbs: dst=1 src0=1 src1=0 src2=0
	v_cvt_f16_i16_e64 v21 /*v277*/, v14 /*v270*/
	s_set_vgpr_msb 0x44                     ;  msbs: dst=1 src0=0 src1=1 src2=0
	v_lshlrev_b16 v16 /*v272*/, 8, v15 /*v271*/
	v_and_b32_e32 v15 /*v271*/, 0x1f00, v15 /*v271*/
	s_set_vgpr_msb 0                        ;  msbs: dst=0 src0=0 src1=0 src2=0
	v_cvt_f16_i16_e32 v40, v40
	s_set_vgpr_msb 0x44                     ;  msbs: dst=1 src0=0 src1=1 src2=0
	v_add_nc_u16 v16 /*v272*/, 0xf000, v16 /*v272*/
	v_add_nc_u16 v17 /*v273*/, 0xf000, v15 /*v271*/
	s_set_vgpr_msb 0x41                     ;  msbs: dst=1 src0=1 src1=0 src2=0
	v_add_nc_u64_e32 v[14:15] /*v[270:271]*/, v[24:25] /*v[280:281]*/, v[188:189]
	s_set_vgpr_msb 0x45                     ;  msbs: dst=1 src0=1 src1=1 src2=0
	v_ashrrev_i32_e32 v24 /*v280*/, v2 /*v258*/, v26 /*v282*/
	s_set_vgpr_msb 1                        ;  msbs: dst=0 src0=1 src1=0 src2=0
	v_pack_b32_f16 v40, v21 /*v277*/, v40
	s_set_vgpr_msb 0x44                     ;  msbs: dst=1 src0=0 src1=1 src2=0
	v_dual_lshlrev_b32 v21 /*v277*/, 4, v22 /*v278*/ :: v_dual_lshrrev_b32 v17 /*v273*/, 8, v17 /*v273*/
	v_lshlrev_b32_e32 v22 /*v278*/, 12, v27 /*v283*/
	v_and_b32_e32 v24 /*v280*/, 0xf0f0f0f, v24 /*v280*/
	s_set_vgpr_msb 0x45                     ;  msbs: dst=1 src0=1 src1=1 src2=0
	global_load_b32 v33 /*v289*/, v[14:15] /*v[270:271]*/, off offset:6
	s_wait_xcnt 0x0
	v_dual_lshrrev_b32 v21 /*v277*/, v4 /*v260*/, v32 /*v288*/ :: v_dual_bitop2_b32 v14 /*v270*/, 16, v21 /*v277*/ bitop3:0x40
	v_and_b32_e32 v15 /*v271*/, 0x1000, v22 /*v278*/
	v_ashrrev_i16 v16 /*v272*/, 8, v16 /*v272*/
	v_bfe_i32 v17 /*v273*/, v17 /*v273*/, 0, 8
	v_lshrrev_b32_e32 v22 /*v278*/, v5 /*v261*/, v32 /*v288*/
	s_set_vgpr_msb 4                        ;  msbs: dst=0 src0=0 src1=1 src2=0
	v_pk_mul_f16 v40, v40, v20 /*v276*/
	s_set_vgpr_msb 0x55                     ;  msbs: dst=1 src0=1 src1=1 src2=1
	v_or3_b32 v25 /*v281*/, v14 /*v270*/, v24 /*v280*/, v15 /*v271*/
	v_cvt_f16_i16_e64 v14 /*v270*/, v16 /*v272*/
	v_cvt_f16_i16_e64 v15 /*v271*/, v17 /*v273*/
	v_dual_lshlrev_b32 v16 /*v272*/, 20, v21 /*v277*/ :: v_dual_lshlrev_b32 v17 /*v273*/, 28, v22 /*v278*/
	s_delay_alu instid0(VALU_DEP_4)
	v_lshlrev_b16 v21 /*v277*/, 8, v25 /*v281*/
	s_set_vgpr_msb 0x54                     ;  msbs: dst=1 src0=0 src1=1 src2=1
	v_pk_fma_f16 v8 /*v264*/, v40, v23 /*v279*/, v8 /*v264*/
	s_set_vgpr_msb 0x45                     ;  msbs: dst=1 src0=1 src1=1 src2=0
	v_pack_b32_f16 v14 /*v270*/, v14 /*v270*/, v15 /*v271*/
	v_and_b32_e32 v15 /*v271*/, 0x100000, v16 /*v272*/
	v_and_b32_e32 v22 /*v278*/, 0x10000000, v17 /*v273*/
	s_set_vgpr_msb 0x41                     ;  msbs: dst=1 src0=1 src1=0 src2=0
	v_add_nc_u64_e32 v[16:17] /*v[272:273]*/, v[18:19] /*v[274:275]*/, v[230:231]
	v_add_nc_u64_e32 v[18:19] /*v[274:275]*/, s[10:11], v[184:185]
	s_set_vgpr_msb 0x44                     ;  msbs: dst=1 src0=0 src1=1 src2=0
	v_add_nc_u16 v21 /*v277*/, 0xf000, v21 /*v277*/
	s_set_vgpr_msb 5                        ;  msbs: dst=0 src0=1 src1=1 src2=0
	v_pk_mul_f16 v44, v14 /*v270*/, v20 /*v276*/
	s_set_vgpr_msb 0x55                     ;  msbs: dst=1 src0=1 src1=1 src2=1
	v_or3_b32 v22 /*v278*/, v24 /*v280*/, v15 /*v271*/, v22 /*v278*/
	s_set_vgpr_msb 0x50                     ;  msbs: dst=1 src0=0 src1=0 src2=1
	v_pk_fma_f16 v12 /*v268*/, v40, v133, v12 /*v268*/
	s_set_vgpr_msb 0                        ;  msbs: dst=0 src0=0 src1=0 src2=0
	v_and_b32_e32 v40, 0xffff, v45
	s_set_vgpr_msb 0x41                     ;  msbs: dst=1 src0=1 src1=0 src2=0
	v_add_nc_u64_e32 v[14:15] /*v[270:271]*/, v[16:17] /*v[272:273]*/, v[190:191]
	s_set_vgpr_msb 0x44                     ;  msbs: dst=1 src0=0 src1=1 src2=0
	v_lshrrev_b16 v24 /*v280*/, 8, v21 /*v277*/
	s_set_vgpr_msb 0x41                     ;  msbs: dst=1 src0=1 src1=0 src2=0
	v_add_nc_u64_e32 v[20:21] /*v[276:277]*/, v[18:19] /*v[274:275]*/, v[232:233]
	s_set_vgpr_msb 4                        ;  msbs: dst=0 src0=0 src1=1 src2=0
	v_lshrrev_b32_e32 v45, 16, v22 /*v278*/
	s_set_vgpr_msb 0x45                     ;  msbs: dst=1 src0=1 src1=1 src2=0
	s_clause 0x2
	global_load_b32 v32 /*v288*/, v[14:15] /*v[270:271]*/, off offset:6
	global_load_u16 v36 /*v292*/, v[20:21] /*v[276:277]*/, off
	global_load_b32 v39 /*v295*/, v[16:17] /*v[272:273]*/, off offset:2
	v_bitop3_b16 v22 /*v278*/, v25 /*v281*/, v24 /*v280*/, 0x1f00 bitop3:0xec
	s_wait_loadcnt 0xc
	s_wait_xcnt 0x2
	s_set_vgpr_msb 0x44                     ;  msbs: dst=1 src0=0 src1=1 src2=0
	v_lshrrev_b32_e32 v14 /*v270*/, v254, v47 /*v303*/
	s_set_vgpr_msb 0x45                     ;  msbs: dst=1 src0=1 src1=1 src2=0
	v_lshrrev_b32_e32 v15 /*v271*/, v3 /*v259*/, v47 /*v303*/
	s_set_vgpr_msb 0x54                     ;  msbs: dst=1 src0=0 src1=1 src2=1
	v_pk_fma_f16 v9 /*v265*/, v44, v23 /*v279*/, v9 /*v265*/
	s_set_vgpr_msb 0x50                     ;  msbs: dst=1 src0=0 src1=0 src2=1
	v_pk_fma_f16 v13 /*v269*/, v44, v133, v13 /*v269*/
	s_set_vgpr_msb 0                        ;  msbs: dst=0 src0=0 src1=0 src2=0
	v_mul_u32_u24_e32 v133, 0x10001, v40
	v_lshlrev_b16 v40, 8, v45
	v_and_b32_e32 v44, 0x1f00, v45
	s_set_vgpr_msb 4                        ;  msbs: dst=0 src0=0 src1=1 src2=0
	v_add_nc_u16 v45, 0xf000, v22 /*v278*/
	s_set_vgpr_msb 0x45                     ;  msbs: dst=1 src0=1 src1=1 src2=0
	v_ashrrev_i32_e32 v22 /*v278*/, v2 /*v258*/, v34 /*v290*/
	v_dual_lshlrev_b32 v14 /*v270*/, 4, v14 /*v270*/ :: v_dual_lshlrev_b32 v15 /*v271*/, 12, v15 /*v271*/
	v_lshrrev_b32_e32 v25 /*v281*/, v4 /*v260*/, v47 /*v303*/
	s_set_vgpr_msb 64                       ;  msbs: dst=1 src0=0 src1=0 src2=0
	v_lshrrev_b32_e32 v23 /*v279*/, 8, v45
	s_set_vgpr_msb 0x44                     ;  msbs: dst=1 src0=0 src1=1 src2=0
	v_and_b32_e32 v22 /*v278*/, 0xf0f0f0f, v22 /*v278*/
	v_and_b32_e32 v14 /*v270*/, 16, v14 /*v270*/
	;; [unrolled: 1-line block ×3, first 2 shown]
	s_set_vgpr_msb 0                        ;  msbs: dst=0 src0=0 src1=0 src2=0
	v_add_nc_u16 v44, 0xf000, v44
	v_bfe_i32 v45, v45, 0, 8
	s_set_vgpr_msb 0x41                     ;  msbs: dst=1 src0=1 src1=0 src2=0
	v_bfe_i32 v23 /*v279*/, v23 /*v279*/, 0, 8
	s_set_vgpr_msb 0x55                     ;  msbs: dst=1 src0=1 src1=1 src2=1
	v_lshlrev_b32_e32 v25 /*v281*/, 20, v25 /*v281*/
	v_or3_b32 v14 /*v270*/, v14 /*v270*/, v22 /*v278*/, v15 /*v271*/
	v_lshrrev_b32_e32 v15 /*v271*/, v5 /*v261*/, v47 /*v303*/
	s_set_vgpr_msb 0                        ;  msbs: dst=0 src0=0 src1=0 src2=0
	v_add_nc_u16 v40, 0xf000, v40
	v_lshrrev_b32_e32 v44, 8, v44
	v_cvt_f16_i16_e32 v45, v45
	s_set_vgpr_msb 0x44                     ;  msbs: dst=1 src0=0 src1=1 src2=0
	v_lshlrev_b16 v26 /*v282*/, 8, v14 /*v270*/
	v_lshlrev_b32_e32 v15 /*v271*/, 28, v15 /*v271*/
	s_set_vgpr_msb 0x41                     ;  msbs: dst=1 src0=1 src1=0 src2=0
	v_cvt_f16_i16_e64 v23 /*v279*/, v23 /*v279*/
	s_set_vgpr_msb 0x44                     ;  msbs: dst=1 src0=0 src1=1 src2=0
	v_and_b32_e32 v25 /*v281*/, 0x100000, v25 /*v281*/
	s_set_vgpr_msb 0                        ;  msbs: dst=0 src0=0 src1=0 src2=0
	v_ashrrev_i16 v40, 8, v40
	v_bfe_i32 v44, v44, 0, 8
	s_set_vgpr_msb 0x44                     ;  msbs: dst=1 src0=0 src1=1 src2=0
	v_and_b32_e32 v15 /*v271*/, 0x10000000, v15 /*v271*/
	v_add_nc_u16 v26 /*v282*/, 0xf000, v26 /*v282*/
	v_mul_u32_u24_e32 v24 /*v280*/, 0x10001, v29 /*v285*/
	s_set_vgpr_msb 4                        ;  msbs: dst=0 src0=0 src1=1 src2=0
	v_pack_b32_f16 v45, v45, v23 /*v279*/
	v_cvt_f16_i16_e32 v40, v40
	s_set_vgpr_msb 0x55                     ;  msbs: dst=1 src0=1 src1=1 src2=1
	v_or3_b32 v15 /*v271*/, v22 /*v278*/, v25 /*v281*/, v15 /*v271*/
	s_set_vgpr_msb 0                        ;  msbs: dst=0 src0=0 src1=0 src2=0
	v_cvt_f16_i16_e32 v44, v44
	s_set_vgpr_msb 0x44                     ;  msbs: dst=1 src0=0 src1=1 src2=0
	v_lshrrev_b16 v23 /*v279*/, 8, v26 /*v282*/
	v_pk_mul_f16 v22 /*v278*/, v45, v24 /*v280*/
	s_set_vgpr_msb 64                       ;  msbs: dst=1 src0=0 src1=0 src2=0
	v_mul_u32_u24_e32 v34 /*v290*/, 0x10001, v41
	s_set_vgpr_msb 4                        ;  msbs: dst=0 src0=0 src1=1 src2=0
	v_lshrrev_b32_e32 v45, 16, v15 /*v271*/
	s_set_vgpr_msb 0                        ;  msbs: dst=0 src0=0 src1=0 src2=0
	v_pack_b32_f16 v40, v40, v44
	s_set_vgpr_msb 5                        ;  msbs: dst=0 src0=1 src1=1 src2=0
	v_bitop3_b16 v44, v14 /*v270*/, v23 /*v279*/, 0x1f00 bitop3:0xec
	s_set_vgpr_msb 0x51                     ;  msbs: dst=1 src0=1 src1=0 src2=1
	v_pk_fma_f16 v14 /*v270*/, v22 /*v278*/, v133, v6 /*v262*/
	v_and_b32_e32 v25 /*v281*/, 0x1f00, v45
	s_set_vgpr_msb 0x44                     ;  msbs: dst=1 src0=0 src1=1 src2=0
	v_pk_mul_f16 v23 /*v279*/, v40, v24 /*v280*/
	s_set_vgpr_msb 1                        ;  msbs: dst=0 src0=1 src1=0 src2=0
	v_add_nc_u64_e32 v[40:41], v[20:21] /*v[276:277]*/, v[188:189]
	s_set_vgpr_msb 64                       ;  msbs: dst=1 src0=0 src1=0 src2=0
	v_add_nc_u16 v15 /*v271*/, 0xf000, v44
	v_lshlrev_b16 v24 /*v280*/, 8, v45
	s_set_vgpr_msb 1                        ;  msbs: dst=0 src0=1 src1=0 src2=0
	v_add_nc_u64_e32 v[44:45], v[18:19] /*v[274:275]*/, v[230:231]
	s_set_vgpr_msb 0x55                     ;  msbs: dst=1 src0=1 src1=1 src2=1
	v_pk_fma_f16 v18 /*v274*/, v22 /*v278*/, v34 /*v290*/, v10 /*v266*/
	v_add_nc_u16 v22 /*v278*/, 0xf000, v25 /*v281*/
	s_set_vgpr_msb 64                       ;  msbs: dst=1 src0=0 src1=0 src2=0
	s_clause 0x4
	global_load_b32 v40 /*v296*/, v[40:41], off offset:6
	global_load_u16 v41 /*v297*/, v[44:45], off
	s_set_vgpr_msb 0x41                     ;  msbs: dst=1 src0=1 src1=0 src2=0
	global_load_b32 v47 /*v303*/, v[20:21] /*v[276:277]*/, off offset:2
	global_load_u16 v50 /*v306*/, v[16:17] /*v[272:273]*/, off
	s_set_vgpr_msb 0x45                     ;  msbs: dst=1 src0=1 src1=1 src2=0
	v_add_nc_u16 v19 /*v275*/, 0xf000, v24 /*v280*/
	s_wait_xcnt 0x1
	v_dual_lshrrev_b32 v24 /*v280*/, 8, v15 /*v271*/ :: v_dual_lshrrev_b32 v20 /*v276*/, v3 /*v259*/, v45 /*v301*/
	s_set_vgpr_msb 4                        ;  msbs: dst=0 src0=0 src1=1 src2=0
	v_lshrrev_b32_e32 v40, 8, v22 /*v278*/
	s_set_vgpr_msb 0x41                     ;  msbs: dst=1 src0=1 src1=0 src2=0
	v_bfe_i32 v15 /*v271*/, v15 /*v271*/, 0, 8
	s_wait_xcnt 0x0
	s_set_vgpr_msb 0x44                     ;  msbs: dst=1 src0=0 src1=1 src2=0
	v_ashrrev_i16 v17 /*v273*/, 8, v19 /*v275*/
	s_set_vgpr_msb 1                        ;  msbs: dst=0 src0=1 src1=0 src2=0
	v_bfe_i32 v41, v24 /*v280*/, 0, 8
	s_set_vgpr_msb 0x44                     ;  msbs: dst=1 src0=0 src1=1 src2=0
	v_lshrrev_b32_e32 v19 /*v275*/, v254, v45 /*v301*/
	s_set_vgpr_msb 0                        ;  msbs: dst=0 src0=0 src1=0 src2=0
	v_bfe_i32 v40, v40, 0, 8
	s_set_vgpr_msb 0x41                     ;  msbs: dst=1 src0=1 src1=0 src2=0
	v_cvt_f16_i16_e64 v15 /*v271*/, v15 /*v271*/
	v_cvt_f16_i16_e64 v17 /*v273*/, v17 /*v273*/
	s_set_vgpr_msb 0                        ;  msbs: dst=0 src0=0 src1=0 src2=0
	v_cvt_f16_i16_e32 v41, v41
	s_set_vgpr_msb 0x44                     ;  msbs: dst=1 src0=0 src1=1 src2=0
	v_mul_u32_u24_e32 v16 /*v272*/, 0x10001, v31 /*v287*/
	s_set_vgpr_msb 0                        ;  msbs: dst=0 src0=0 src1=0 src2=0
	v_cvt_f16_i16_e32 v40, v40
	s_set_vgpr_msb 0x45                     ;  msbs: dst=1 src0=1 src1=1 src2=0
	v_ashrrev_i32_e32 v21 /*v277*/, v2 /*v258*/, v35 /*v291*/
	v_lshlrev_b32_e32 v19 /*v275*/, 4, v19 /*v275*/
	s_set_vgpr_msb 0x41                     ;  msbs: dst=1 src0=1 src1=0 src2=0
	v_pack_b32_f16 v22 /*v278*/, v15 /*v271*/, v41
	s_set_vgpr_msb 0x44                     ;  msbs: dst=1 src0=0 src1=1 src2=0
	v_lshlrev_b32_e32 v15 /*v271*/, 12, v20 /*v276*/
	s_set_vgpr_msb 0x41                     ;  msbs: dst=1 src0=1 src1=0 src2=0
	v_pack_b32_f16 v17 /*v273*/, v17 /*v273*/, v40
	s_set_vgpr_msb 0                        ;  msbs: dst=0 src0=0 src1=0 src2=0
	v_add_nc_u64_e32 v[40:41], s[10:11], v[186:187]
	s_set_vgpr_msb 0x45                     ;  msbs: dst=1 src0=1 src1=1 src2=0
	v_and_b32_e32 v31 /*v287*/, 0xf0f0f0f, v21 /*v277*/
	v_pk_mul_f16 v35 /*v291*/, v22 /*v278*/, v16 /*v272*/
	v_and_b32_e32 v21 /*v277*/, 0x1000, v15 /*v271*/
	s_set_vgpr_msb 0x51                     ;  msbs: dst=1 src0=1 src1=0 src2=1
	v_pk_fma_f16 v15 /*v271*/, v23 /*v279*/, v133, v7 /*v263*/
	s_set_vgpr_msb 0x55                     ;  msbs: dst=1 src0=1 src1=1 src2=1
	v_pk_mul_f16 v53 /*v309*/, v17 /*v273*/, v16 /*v272*/
	v_dual_lshrrev_b32 v17 /*v273*/, v4 /*v260*/, v45 /*v301*/ :: v_dual_bitop2_b32 v20 /*v276*/, 16, v19 /*v275*/ bitop3:0x40
	v_pk_fma_f16 v19 /*v275*/, v23 /*v279*/, v34 /*v290*/, v11 /*v267*/
	s_set_vgpr_msb 64                       ;  msbs: dst=1 src0=0 src1=0 src2=0
	v_add_nc_u64_e32 v[22:23] /*v[278:279]*/, v[40:41], v[232:233]
	s_set_vgpr_msb 0                        ;  msbs: dst=0 src0=0 src1=0 src2=0
	v_add_nc_u64_e32 v[40:41], v[40:41], v[230:231]
	s_set_vgpr_msb 64                       ;  msbs: dst=1 src0=0 src1=0 src2=0
	v_add_nc_u64_e32 v[24:25] /*v[280:281]*/, v[44:45], v[190:191]
	s_set_vgpr_msb 0x55                     ;  msbs: dst=1 src0=1 src1=1 src2=1
	v_or3_b32 v54 /*v310*/, v20 /*v276*/, v31 /*v287*/, v21 /*v277*/
	v_lshrrev_b32_e32 v21 /*v277*/, v5 /*v261*/, v45 /*v301*/
	s_set_vgpr_msb 0x51                     ;  msbs: dst=1 src0=1 src1=0 src2=1
	v_pk_fma_f16 v16 /*v272*/, v35 /*v291*/, v133, v8 /*v264*/
	s_set_vgpr_msb 0x55                     ;  msbs: dst=1 src0=1 src1=1 src2=1
	v_pk_fma_f16 v20 /*v276*/, v35 /*v291*/, v34 /*v290*/, v12 /*v268*/
	s_set_vgpr_msb 0x41                     ;  msbs: dst=1 src0=1 src1=0 src2=0
	v_add_nc_u64_e32 v[26:27] /*v[282:283]*/, v[22:23] /*v[278:279]*/, v[188:189]
	s_set_vgpr_msb 64                       ;  msbs: dst=1 src0=0 src1=0 src2=0
	v_add_nc_u64_e32 v[28:29] /*v[284:285]*/, v[40:41], v[190:191]
	s_set_vgpr_msb 0x41                     ;  msbs: dst=1 src0=1 src1=0 src2=0
	s_clause 0xa
	global_load_b32 v61 /*v317*/, v[24:25] /*v[280:281]*/, off offset:6
	global_load_b32 v62 /*v318*/, v[26:27] /*v[282:283]*/, off offset:6
	;; [unrolled: 1-line block ×3, first 2 shown]
	s_set_vgpr_msb 64                       ;  msbs: dst=1 src0=0 src1=0 src2=0
	global_load_b32 v64 /*v320*/, v[40:41], off offset:2
	global_load_u16 v65 /*v321*/, v[40:41], off
	s_set_vgpr_msb 0x41                     ;  msbs: dst=1 src0=1 src1=0 src2=0
	global_load_b32 v66 /*v322*/, v[22:23] /*v[278:279]*/, off offset:2
	global_load_u16 v67 /*v323*/, v[22:23] /*v[278:279]*/, off
	s_set_vgpr_msb 0x44                     ;  msbs: dst=1 src0=0 src1=1 src2=0
	global_load_b32 v68 /*v324*/, v[44:45], off offset:2
	v_lshlrev_b16 v45 /*v301*/, 8, v54 /*v310*/
	v_lshlrev_b32_e32 v35 /*v291*/, 20, v17 /*v273*/
	v_lshlrev_b32_e32 v21 /*v277*/, 28, v21 /*v277*/
	s_set_vgpr_msb 0x51                     ;  msbs: dst=1 src0=1 src1=0 src2=1
	v_pk_fma_f16 v17 /*v273*/, v53 /*v309*/, v133, v9 /*v265*/
	s_set_vgpr_msb 0x44                     ;  msbs: dst=1 src0=0 src1=1 src2=0
	ds_store_b128 v239, v[6:9] /*v[262:265]*/
	ds_store_b128 v239, v[10:13] /*v[266:269]*/ offset:16
	v_add_nc_u16 v45 /*v301*/, 0xf000, v45 /*v301*/
	s_set_vgpr_msb 0x45                     ;  msbs: dst=1 src0=1 src1=1 src2=0
	v_lshrrev_b32_e32 v9 /*v265*/, v4 /*v260*/, v43 /*v299*/
	s_wait_xcnt 0x3
	s_set_vgpr_msb 4                        ;  msbs: dst=0 src0=0 src1=1 src2=0
	v_and_b32_e32 v40, 0x100000, v35 /*v291*/
	s_set_vgpr_msb 0x45                     ;  msbs: dst=1 src0=1 src1=1 src2=0
	v_lshrrev_b32_e32 v10 /*v266*/, v5 /*v261*/, v43 /*v299*/
	s_set_vgpr_msb 5                        ;  msbs: dst=0 src0=1 src1=1 src2=0
	v_and_b32_e32 v41, 0x10000000, v21 /*v277*/
	s_wait_xcnt 0x0
	v_lshrrev_b16 v44, 8, v45 /*v301*/
	v_dual_lshrrev_b32 v45, v3 /*v259*/, v43 /*v299*/ :: v_dual_ashrrev_i32 v133, v2 /*v258*/, v37 /*v293*/
	s_set_vgpr_msb 0x44                     ;  msbs: dst=1 src0=0 src1=1 src2=0
	v_dual_lshlrev_b32 v9 /*v265*/, 20, v9 /*v265*/ :: v_dual_lshlrev_b32 v10 /*v266*/, 28, v10 /*v266*/
	s_set_vgpr_msb 1                        ;  msbs: dst=0 src0=1 src1=0 src2=0
	v_or3_b32 v40, v31 /*v287*/, v40, v41
	v_bitop3_b16 v41, v54 /*v310*/, v44, 0x1f00 bitop3:0xec
	s_set_vgpr_msb 4                        ;  msbs: dst=0 src0=0 src1=1 src2=0
	v_lshrrev_b32_e32 v44, v254, v43 /*v299*/
	s_set_vgpr_msb 0                        ;  msbs: dst=0 src0=0 src1=0 src2=0
	v_and_b32_e32 v133, 0xf0f0f0f, v133
	s_set_vgpr_msb 0x44                     ;  msbs: dst=1 src0=0 src1=1 src2=0
	v_and_b32_e32 v9 /*v265*/, 0x100000, v9 /*v265*/
	s_set_vgpr_msb 0                        ;  msbs: dst=0 src0=0 src1=0 src2=0
	v_lshrrev_b32_e32 v40, 16, v40
	v_add_nc_u16 v41, 0xf000, v41
	v_dual_lshlrev_b32 v44, 4, v44 :: v_dual_lshlrev_b32 v45, 12, v45
	s_set_vgpr_msb 0x44                     ;  msbs: dst=1 src0=0 src1=1 src2=0
	v_and_b32_e32 v10 /*v266*/, 0x10000000, v10 /*v266*/
	s_set_vgpr_msb 64                       ;  msbs: dst=1 src0=0 src1=0 src2=0
	v_lshlrev_b16 v6 /*v262*/, 8, v40
	v_lshrrev_b32_e32 v7 /*v263*/, 8, v41
	s_set_vgpr_msb 0                        ;  msbs: dst=0 src0=0 src1=0 src2=0
	v_and_b32_e32 v44, 16, v44
	v_and_b32_e32 v45, 0x1000, v45
	;; [unrolled: 1-line block ×3, first 2 shown]
	v_bfe_i32 v41, v41, 0, 8
	s_set_vgpr_msb 0x41                     ;  msbs: dst=1 src0=1 src1=0 src2=0
	v_bfe_i32 v7 /*v263*/, v7 /*v263*/, 0, 8
	s_set_vgpr_msb 0x44                     ;  msbs: dst=1 src0=0 src1=1 src2=0
	v_add_nc_u16 v6 /*v262*/, 0xf000, v6 /*v262*/
	s_set_vgpr_msb 0                        ;  msbs: dst=0 src0=0 src1=0 src2=0
	v_or3_b32 v44, v44, v133, v45
	v_add_nc_u16 v40, 0xf000, v40
	v_cvt_f16_i16_e32 v41, v41
	s_set_vgpr_msb 0x41                     ;  msbs: dst=1 src0=1 src1=0 src2=0
	v_cvt_f16_i16_e64 v7 /*v263*/, v7 /*v263*/
	s_set_vgpr_msb 20                       ;  msbs: dst=0 src0=0 src1=1 src2=1
	v_or3_b32 v133, v133, v9 /*v265*/, v10 /*v266*/
	s_set_vgpr_msb 64                       ;  msbs: dst=1 src0=0 src1=0 src2=0
	v_lshlrev_b16 v8 /*v264*/, 8, v44
	s_set_vgpr_msb 0                        ;  msbs: dst=0 src0=0 src1=0 src2=0
	v_lshrrev_b32_e32 v40, 8, v40
	s_set_vgpr_msb 4                        ;  msbs: dst=0 src0=0 src1=1 src2=0
	v_mul_u32_u24_e32 v45, 0x10001, v46 /*v302*/
	s_set_vgpr_msb 0x44                     ;  msbs: dst=1 src0=0 src1=1 src2=0
	v_ashrrev_i16 v6 /*v262*/, 8, v6 /*v262*/
	s_set_vgpr_msb 4                        ;  msbs: dst=0 src0=0 src1=1 src2=0
	v_pack_b32_f16 v41, v41, v7 /*v263*/
	s_set_vgpr_msb 0x44                     ;  msbs: dst=1 src0=0 src1=1 src2=0
	v_add_nc_u16 v8 /*v264*/, 0xf000, v8 /*v264*/
	s_set_vgpr_msb 0                        ;  msbs: dst=0 src0=0 src1=0 src2=0
	v_lshrrev_b32_e32 v133, 16, v133
	v_bfe_i32 v40, v40, 0, 8
	s_set_vgpr_msb 0x55                     ;  msbs: dst=1 src0=1 src1=1 src2=1
	v_pk_fma_f16 v21 /*v277*/, v53 /*v309*/, v34 /*v290*/, v13 /*v269*/
	v_cvt_f16_i16_e64 v6 /*v262*/, v6 /*v262*/
	v_lshrrev_b16 v8 /*v264*/, 8, v8 /*v264*/
	v_mul_u32_u24_e32 v13 /*v269*/, 0x10001, v42 /*v298*/
	s_set_vgpr_msb 0                        ;  msbs: dst=0 src0=0 src1=0 src2=0
	v_cvt_f16_i16_e32 v40, v40
	v_pk_mul_f16 v41, v41, v45
	s_set_vgpr_msb 0x44                     ;  msbs: dst=1 src0=0 src1=1 src2=0
	v_mul_u32_u24_e32 v22 /*v278*/, 0x10001, v51 /*v307*/
	s_set_vgpr_msb 4                        ;  msbs: dst=0 src0=0 src1=1 src2=0
	v_bitop3_b16 v44, v44, v8 /*v264*/, 0x1f00 bitop3:0xec
	s_set_vgpr_msb 0x44                     ;  msbs: dst=1 src0=0 src1=1 src2=0
	v_mul_u32_u24_e32 v8 /*v264*/, 0x10001, v44 /*v300*/
	s_set_vgpr_msb 1                        ;  msbs: dst=0 src0=1 src1=0 src2=0
	v_pack_b32_f16 v40, v6 /*v262*/, v40
	s_set_vgpr_msb 0x54                     ;  msbs: dst=1 src0=0 src1=1 src2=1
	v_pk_fma_f16 v6 /*v262*/, v41, v13 /*v269*/, v14 /*v270*/
	v_pk_fma_f16 v10 /*v266*/, v41, v22 /*v278*/, v18 /*v274*/
	s_set_vgpr_msb 0                        ;  msbs: dst=0 src0=0 src1=0 src2=0
	v_add_nc_u16 v44, 0xf000, v44
	v_lshlrev_b16 v41, 8, v133
	v_and_b32_e32 v133, 0x1f00, v133
	v_pk_mul_f16 v40, v40, v45
	s_wait_loadcnt 0x12
	s_set_vgpr_msb 0x45                     ;  msbs: dst=1 src0=1 src1=1 src2=0
	v_lshrrev_b32_e32 v11 /*v267*/, v3 /*v259*/, v60 /*v316*/
	s_set_vgpr_msb 0x44                     ;  msbs: dst=1 src0=0 src1=1 src2=0
	v_lshrrev_b32_e32 v9 /*v265*/, v254, v60 /*v316*/
	s_set_vgpr_msb 0                        ;  msbs: dst=0 src0=0 src1=0 src2=0
	v_add_nc_u16 v41, 0xf000, v41
	v_add_nc_u16 v133, 0xf000, v133
	v_lshrrev_b32_e32 v45, 8, v44
	v_bfe_i32 v44, v44, 0, 8
	s_set_vgpr_msb 0x44                     ;  msbs: dst=1 src0=0 src1=1 src2=0
	v_lshlrev_b32_e32 v11 /*v267*/, 12, v11 /*v267*/
	s_set_vgpr_msb 0                        ;  msbs: dst=0 src0=0 src1=0 src2=0
	v_ashrrev_i16 v41, 8, v41
	v_lshrrev_b32_e32 v133, 8, v133
	v_bfe_i32 v45, v45, 0, 8
	v_cvt_f16_i16_e32 v44, v44
	s_set_vgpr_msb 0x44                     ;  msbs: dst=1 src0=0 src1=1 src2=0
	v_lshlrev_b32_e32 v9 /*v265*/, 4, v9 /*v265*/
	s_set_vgpr_msb 4                        ;  msbs: dst=0 src0=0 src1=1 src2=0
	v_cvt_f16_i16_e32 v41, v41
	v_bfe_i32 v133, v133, 0, 8
	v_cvt_f16_i16_e32 v45, v45
	ds_store_b128 v239, v[14:17] /*v[270:273]*/
	ds_store_b128 v239, v[18:21] /*v[274:277]*/ offset:16
	s_set_vgpr_msb 0x45                     ;  msbs: dst=1 src0=1 src1=1 src2=0
	v_dual_lshrrev_b32 v12 /*v268*/, v4 /*v260*/, v60 /*v316*/ :: v_dual_bitop2_b32 v9 /*v265*/, 16, v9 /*v265*/ bitop3:0x40
	s_set_vgpr_msb 0                        ;  msbs: dst=0 src0=0 src1=0 src2=0
	v_cvt_f16_i16_e64 v133, v133
	v_pack_b32_f16 v44, v44, v45
	s_set_vgpr_msb 5                        ;  msbs: dst=0 src0=1 src1=1 src2=0
	v_ashrrev_i32_e32 v45, v2 /*v258*/, v55 /*v311*/
	s_set_vgpr_msb 0x45                     ;  msbs: dst=1 src0=1 src1=1 src2=0
	v_and_b32_e32 v11 /*v267*/, 0x1000, v11 /*v267*/
	v_lshrrev_b32_e32 v14 /*v270*/, v5 /*v261*/, v60 /*v316*/
	s_set_vgpr_msb 0                        ;  msbs: dst=0 src0=0 src1=0 src2=0
	v_pack_b32_f16 v41, v41, v133
	s_set_vgpr_msb 4                        ;  msbs: dst=0 src0=0 src1=1 src2=0
	v_pk_mul_f16 v44, v44, v8 /*v264*/
	s_set_vgpr_msb 0                        ;  msbs: dst=0 src0=0 src1=0 src2=0
	v_and_b32_e32 v45, 0xf0f0f0f, v45
	s_set_vgpr_msb 0x54                     ;  msbs: dst=1 src0=0 src1=1 src2=1
	v_pk_fma_f16 v7 /*v263*/, v40, v13 /*v269*/, v15 /*v271*/
	v_mul_u32_u24_e32 v26 /*v282*/, 0x10001, v59 /*v315*/
	s_wait_dscnt 0x6
	s_set_vgpr_msb 0x51                     ;  msbs: dst=1 src0=1 src1=0 src2=1
	v_dual_lshrrev_b32 v44 /*v300*/, 16, v32 :: v_dual_lshrrev_b32 v45 /*v301*/, 16, v33
	v_or3_b32 v15 /*v271*/, v9 /*v265*/, v45, v11 /*v267*/
	s_set_vgpr_msb 0x54                     ;  msbs: dst=1 src0=0 src1=1 src2=1
	v_pk_fma_f16 v11 /*v267*/, v40, v22 /*v278*/, v19 /*v275*/
	s_set_vgpr_msb 4                        ;  msbs: dst=0 src0=0 src1=1 src2=0
	v_pk_mul_f16 v40, v41, v8 /*v264*/
	s_set_vgpr_msb 0x54                     ;  msbs: dst=1 src0=0 src1=1 src2=1
	v_pk_fma_f16 v8 /*v264*/, v44, v13 /*v269*/, v16 /*v272*/
	s_set_vgpr_msb 0x45                     ;  msbs: dst=1 src0=1 src1=1 src2=0
	v_dual_lshrrev_b32 v16 /*v272*/, v4 /*v260*/, v58 /*v314*/ :: v_dual_lshlrev_b32 v12 /*v268*/, 20, v12 /*v268*/
	v_lshlrev_b32_e32 v9 /*v265*/, 28, v14 /*v270*/
	s_set_vgpr_msb 0                        ;  msbs: dst=0 src0=0 src1=0 src2=0
	v_and_b32_e32 v32, 0xffff, v32
	v_and_b32_e32 v33, 0xffff, v33
	s_set_vgpr_msb 4                        ;  msbs: dst=0 src0=0 src1=1 src2=0
	v_and_b32_e32 v133, 0x100000, v12 /*v268*/
	s_set_vgpr_msb 0x44                     ;  msbs: dst=1 src0=0 src1=1 src2=0
	v_lshlrev_b16 v12 /*v268*/, 8, v15 /*v271*/
	v_and_b32_e32 v9 /*v265*/, 0x10000000, v9 /*v265*/
	s_set_vgpr_msb 0                        ;  msbs: dst=0 src0=0 src1=0 src2=0
	v_mul_u32_u24_e32 v32, 0x10001, v32
	s_set_vgpr_msb 4                        ;  msbs: dst=0 src0=0 src1=1 src2=0
	v_add_nc_u16 v41, 0xf000, v12 /*v268*/
	s_set_vgpr_msb 16                       ;  msbs: dst=0 src0=0 src1=0 src2=1
	v_or3_b32 v45, v45, v133, v9 /*v265*/
	s_set_vgpr_msb 0x54                     ;  msbs: dst=1 src0=0 src1=1 src2=1
	v_pk_fma_f16 v9 /*v265*/, v40, v13 /*v269*/, v17 /*v273*/
	v_pk_fma_f16 v13 /*v269*/, v40, v22 /*v278*/, v21 /*v277*/
	;; [unrolled: 1-line block ×3, first 2 shown]
	s_set_vgpr_msb 0                        ;  msbs: dst=0 src0=0 src1=0 src2=0
	v_lshrrev_b16 v40, 8, v41
	v_lshrrev_b32_e32 v41, 16, v45
	v_and_b32_e32 v44, 0xffff, v46
	s_set_vgpr_msb 5                        ;  msbs: dst=0 src0=1 src1=1 src2=0
	v_lshrrev_b32_e32 v133, v3 /*v259*/, v58 /*v314*/
	s_set_vgpr_msb 0x45                     ;  msbs: dst=1 src0=1 src1=1 src2=0
	v_lshrrev_b32_e32 v17 /*v273*/, v5 /*v261*/, v58 /*v314*/
	s_set_vgpr_msb 1                        ;  msbs: dst=0 src0=1 src1=0 src2=0
	v_bitop3_b16 v40, v15 /*v271*/, v40, 0x1f00 bitop3:0xec
	v_lshlrev_b16 v45, 8, v41
	v_mul_u32_u24_e32 v46, 0x10001, v44
	s_set_vgpr_msb 0x45                     ;  msbs: dst=1 src0=1 src1=1 src2=0
	v_ashrrev_i32_e32 v15 /*v271*/, v2 /*v258*/, v56 /*v312*/
	s_set_vgpr_msb 0                        ;  msbs: dst=0 src0=0 src1=0 src2=0
	v_lshlrev_b32_e32 v133, 12, v133
	v_add_nc_u16 v40, 0xf000, v40
	v_add_nc_u16 v44, 0xf000, v45
	s_set_vgpr_msb 4                        ;  msbs: dst=0 src0=0 src1=1 src2=0
	v_lshrrev_b32_e32 v45, v254, v58 /*v314*/
	s_set_vgpr_msb 0x44                     ;  msbs: dst=1 src0=0 src1=1 src2=0
	v_and_b32_e32 v15 /*v271*/, 0xf0f0f0f, v15 /*v271*/
	s_set_vgpr_msb 0                        ;  msbs: dst=0 src0=0 src1=0 src2=0
	v_and_b32_e32 v133, 0x1000, v133
	s_set_vgpr_msb 64                       ;  msbs: dst=1 src0=0 src1=0 src2=0
	v_lshrrev_b32_e32 v14 /*v270*/, 8, v40
	s_set_vgpr_msb 0                        ;  msbs: dst=0 src0=0 src1=0 src2=0
	v_bfe_i32 v40, v40, 0, 8
	v_lshlrev_b32_e32 v45, 4, v45
	v_and_b32_e32 v41, 0x1f00, v41
	v_ashrrev_i16 v44, 8, v44
	s_set_vgpr_msb 0x41                     ;  msbs: dst=1 src0=1 src1=0 src2=0
	v_bfe_i32 v14 /*v270*/, v14 /*v270*/, 0, 8
	s_set_vgpr_msb 0                        ;  msbs: dst=0 src0=0 src1=0 src2=0
	v_cvt_f16_i16_e32 v40, v40
	v_and_b32_e32 v45, 16, v45
	v_add_nc_u16 v41, 0xf000, v41
	v_cvt_f16_i16_e32 v44, v44
	s_set_vgpr_msb 0x41                     ;  msbs: dst=1 src0=1 src1=0 src2=0
	v_cvt_f16_i16_e64 v14 /*v270*/, v14 /*v270*/
	s_wait_loadcnt 0x11
	s_set_vgpr_msb 0x44                     ;  msbs: dst=1 src0=0 src1=1 src2=0
	v_lshrrev_b32_e32 v27 /*v283*/, v254, v30 /*v286*/
	s_set_vgpr_msb 4                        ;  msbs: dst=0 src0=0 src1=1 src2=0
	v_or3_b32 v45, v45, v15 /*v271*/, v133
	s_set_vgpr_msb 0                        ;  msbs: dst=0 src0=0 src1=0 src2=0
	v_lshrrev_b32_e32 v41, 8, v41
	s_set_vgpr_msb 4                        ;  msbs: dst=0 src0=0 src1=1 src2=0
	v_lshlrev_b32_e32 v133, 20, v16 /*v272*/
	s_set_vgpr_msb 0x44                     ;  msbs: dst=1 src0=0 src1=1 src2=0
	v_lshlrev_b32_e32 v16 /*v272*/, 28, v17 /*v273*/
	s_wait_loadcnt 0x10
	v_mul_u32_u24_e32 v18 /*v274*/, 0x10001, v38 /*v294*/
	s_set_vgpr_msb 64                       ;  msbs: dst=1 src0=0 src1=0 src2=0
	v_lshlrev_b16 v17 /*v273*/, 8, v45
	s_set_vgpr_msb 0                        ;  msbs: dst=0 src0=0 src1=0 src2=0
	v_bfe_i32 v41, v41, 0, 8
	v_and_b32_e32 v133, 0x100000, v133
	s_set_vgpr_msb 0x44                     ;  msbs: dst=1 src0=0 src1=1 src2=0
	v_and_b32_e32 v16 /*v272*/, 0x10000000, v16 /*v272*/
	s_set_vgpr_msb 4                        ;  msbs: dst=0 src0=0 src1=1 src2=0
	v_pack_b32_f16 v40, v40, v14 /*v270*/
	s_set_vgpr_msb 0x44                     ;  msbs: dst=1 src0=0 src1=1 src2=0
	v_add_nc_u16 v17 /*v273*/, 0xf000, v17 /*v273*/
	s_set_vgpr_msb 4                        ;  msbs: dst=0 src0=0 src1=1 src2=0
	v_cvt_f16_i16_e32 v41, v41
	ds_store_b128 v239, v[6:9] /*v[262:265]*/
	ds_store_b128 v239, v[10:13] /*v[266:269]*/ offset:16
	s_set_vgpr_msb 64                       ;  msbs: dst=1 src0=0 src1=0 src2=0
	v_add_nc_u64_e32 v[22:23] /*v[278:279]*/, s[10:11], v[194:195]
	s_set_vgpr_msb 0x44                     ;  msbs: dst=1 src0=0 src1=1 src2=0
	v_pk_mul_f16 v14 /*v270*/, v40, v18 /*v274*/
	s_set_vgpr_msb 0                        ;  msbs: dst=0 src0=0 src1=0 src2=0
	v_pack_b32_f16 v41, v44, v41
	s_set_vgpr_msb 17                       ;  msbs: dst=0 src0=1 src1=0 src2=1
	v_or3_b32 v44, v15 /*v271*/, v133, v16 /*v272*/
	s_set_vgpr_msb 4                        ;  msbs: dst=0 src0=0 src1=1 src2=0
	v_lshrrev_b16 v133, 8, v17 /*v273*/
	s_set_vgpr_msb 0x51                     ;  msbs: dst=1 src0=1 src1=0 src2=1
	v_pk_fma_f16 v6 /*v262*/, v14 /*v270*/, v46, v6 /*v262*/
	v_pk_fma_f16 v10 /*v266*/, v14 /*v270*/, v42, v10 /*v266*/
	s_set_vgpr_msb 0x44                     ;  msbs: dst=1 src0=0 src1=1 src2=0
	v_pk_mul_f16 v18 /*v274*/, v41, v18 /*v274*/
	s_set_vgpr_msb 0                        ;  msbs: dst=0 src0=0 src1=0 src2=0
	v_add_nc_u64_e32 v[40:41], s[10:11], v[192:193]
	v_lshrrev_b32_e32 v44, 16, v44
	v_bitop3_b16 v45, v45, v133, 0x1f00 bitop3:0xec
	s_set_vgpr_msb 0x51                     ;  msbs: dst=1 src0=1 src1=0 src2=1
	v_add_nc_u64_e32 v[20:21] /*v[276:277]*/, v[22:23] /*v[278:279]*/, v[232:233]
	v_pk_fma_f16 v7 /*v263*/, v18 /*v274*/, v46, v7 /*v263*/
	v_pk_fma_f16 v11 /*v267*/, v18 /*v274*/, v42, v11 /*v267*/
	v_lshlrev_b16 v14 /*v270*/, 8, v44
	s_set_vgpr_msb 0                        ;  msbs: dst=0 src0=0 src1=0 src2=0
	v_add_nc_u16 v133, 0xf000, v45
	s_set_vgpr_msb 64                       ;  msbs: dst=1 src0=0 src1=0 src2=0
	v_and_b32_e32 v15 /*v271*/, 0x1f00, v44
	s_set_vgpr_msb 0                        ;  msbs: dst=0 src0=0 src1=0 src2=0
	v_add_nc_u64_e32 v[44:45], v[40:41], v[232:233]
	v_add_nc_u64_e32 v[40:41], v[40:41], v[230:231]
	s_set_vgpr_msb 0x44                     ;  msbs: dst=1 src0=0 src1=1 src2=0
	v_add_nc_u16 v19 /*v275*/, 0xf000, v14 /*v270*/
	s_set_vgpr_msb 64                       ;  msbs: dst=1 src0=0 src1=0 src2=0
	v_lshrrev_b32_e32 v25 /*v281*/, 8, v133
	s_set_vgpr_msb 0x44                     ;  msbs: dst=1 src0=0 src1=1 src2=0
	v_add_nc_u16 v24 /*v280*/, 0xf000, v15 /*v271*/
	s_set_vgpr_msb 0                        ;  msbs: dst=0 src0=0 src1=0 src2=0
	v_bfe_i32 v133, v133, 0, 8
	s_set_vgpr_msb 0x45                     ;  msbs: dst=1 src0=1 src1=1 src2=0
	v_lshrrev_b32_e32 v28 /*v284*/, v3 /*v259*/, v30 /*v286*/
	s_set_vgpr_msb 64                       ;  msbs: dst=1 src0=0 src1=0 src2=0
	v_add_nc_u64_e32 v[14:15] /*v[270:271]*/, v[44:45], v[188:189]
	v_add_nc_u64_e32 v[16:17] /*v[272:273]*/, v[40:41], v[190:191]
	s_set_vgpr_msb 0x41                     ;  msbs: dst=1 src0=1 src1=0 src2=0
	s_clause 0x6
	global_load_b32 v29 /*v285*/, v[14:15] /*v[270:271]*/, off offset:6
	global_load_b32 v31 /*v287*/, v[16:17] /*v[272:273]*/, off offset:6
	global_load_u16 v34 /*v290*/, v[20:21] /*v[276:277]*/, off
	s_set_vgpr_msb 64                       ;  msbs: dst=1 src0=0 src1=0 src2=0
	global_load_b32 v35 /*v291*/, v[40:41], off offset:2
	global_load_u16 v37 /*v293*/, v[40:41], off
	global_load_b32 v38 /*v294*/, v[44:45], off offset:2
	s_wait_xcnt 0x1
	s_set_vgpr_msb 0                        ;  msbs: dst=0 src0=0 src1=0 src2=0
	v_cvt_f16_i16_e64 v40, v133
	s_wait_loadcnt 0x15
	s_set_vgpr_msb 5                        ;  msbs: dst=0 src0=1 src1=1 src2=0
	v_dual_ashrrev_i32 v41, v2 /*v258*/, v33 /*v289*/ :: v_dual_lshlrev_b32 v133, 4, v27 /*v283*/
	s_set_vgpr_msb 0x44                     ;  msbs: dst=1 src0=0 src1=1 src2=0
	v_lshrrev_b32_e32 v16 /*v272*/, 8, v24 /*v280*/
	v_lshlrev_b32_e32 v14 /*v270*/, 12, v28 /*v284*/
	s_set_vgpr_msb 0x41                     ;  msbs: dst=1 src0=1 src1=0 src2=0
	v_bfe_i32 v25 /*v281*/, v25 /*v281*/, 0, 8
	s_set_vgpr_msb 0                        ;  msbs: dst=0 src0=0 src1=0 src2=0
	v_and_b32_e32 v41, 0xf0f0f0f, v41
	v_and_b32_e32 v133, 16, v133
	s_set_vgpr_msb 0x44                     ;  msbs: dst=1 src0=0 src1=1 src2=0
	v_ashrrev_i16 v17 /*v273*/, 8, v19 /*v275*/
	s_set_vgpr_msb 0x45                     ;  msbs: dst=1 src0=1 src1=1 src2=0
	v_bfe_i32 v16 /*v272*/, v16 /*v272*/, 0, 8
	v_lshrrev_b32_e32 v19 /*v275*/, v4 /*v260*/, v30 /*v286*/
	v_and_b32_e32 v14 /*v270*/, 0x1000, v14 /*v270*/
	v_cvt_f16_i16_e64 v15 /*v271*/, v25 /*v281*/
	v_lshrrev_b32_e32 v24 /*v280*/, v5 /*v261*/, v30 /*v286*/
	v_cvt_f16_i16_e64 v16 /*v272*/, v16 /*v272*/
	s_set_vgpr_msb 16                       ;  msbs: dst=0 src0=0 src1=0 src2=1
	v_or3_b32 v133, v133, v41, v14 /*v270*/
	s_set_vgpr_msb 0x41                     ;  msbs: dst=1 src0=1 src1=0 src2=0
	v_cvt_f16_i16_e64 v14 /*v270*/, v17 /*v273*/
	s_set_vgpr_msb 4                        ;  msbs: dst=0 src0=0 src1=1 src2=0
	v_pack_b32_f16 v40, v40, v15 /*v271*/
	s_set_vgpr_msb 0x44                     ;  msbs: dst=1 src0=0 src1=1 src2=0
	v_dual_lshlrev_b32 v17 /*v273*/, 20, v19 /*v275*/ :: v_dual_lshlrev_b32 v19 /*v275*/, 28, v24 /*v280*/
	s_set_vgpr_msb 64                       ;  msbs: dst=1 src0=0 src1=0 src2=0
	v_lshlrev_b16 v24 /*v280*/, 8, v133
	s_set_vgpr_msb 0x45                     ;  msbs: dst=1 src0=1 src1=1 src2=0
	v_pack_b32_f16 v14 /*v270*/, v14 /*v270*/, v16 /*v272*/
	s_set_vgpr_msb 4                        ;  msbs: dst=0 src0=0 src1=1 src2=0
	v_pk_mul_f16 v40, v40, v26 /*v282*/
	s_set_vgpr_msb 0x45                     ;  msbs: dst=1 src0=1 src1=1 src2=0
	v_and_b32_e32 v15 /*v271*/, 0x100000, v17 /*v273*/
	v_and_b32_e32 v16 /*v272*/, 0x10000000, v19 /*v275*/
	v_add_nc_u16 v17 /*v273*/, 0xf000, v24 /*v280*/
	v_pk_mul_f16 v14 /*v270*/, v14 /*v270*/, v26 /*v282*/
	s_set_vgpr_msb 0x50                     ;  msbs: dst=1 src0=0 src1=0 src2=1
	v_pk_fma_f16 v8 /*v264*/, v40, v46, v8 /*v264*/
	v_pk_fma_f16 v12 /*v268*/, v40, v42, v12 /*v268*/
	s_set_vgpr_msb 20                       ;  msbs: dst=0 src0=0 src1=1 src2=1
	v_or3_b32 v41, v41, v15 /*v271*/, v16 /*v272*/
	s_set_vgpr_msb 0x44                     ;  msbs: dst=1 src0=0 src1=1 src2=0
	v_lshrrev_b16 v15 /*v271*/, 8, v17 /*v273*/
	s_set_vgpr_msb 0x51                     ;  msbs: dst=1 src0=1 src1=0 src2=1
	v_pk_fma_f16 v9 /*v265*/, v14 /*v270*/, v46, v9 /*v265*/
	v_pk_fma_f16 v13 /*v269*/, v14 /*v270*/, v42, v13 /*v269*/
	s_wait_loadcnt 0x12
	s_set_vgpr_msb 4                        ;  msbs: dst=0 src0=0 src1=1 src2=0
	v_lshrrev_b32_e32 v42, v254, v39 /*v295*/
	s_set_vgpr_msb 5                        ;  msbs: dst=0 src0=1 src1=1 src2=0
	v_lshrrev_b32_e32 v46, v3 /*v259*/, v39 /*v295*/
	s_set_vgpr_msb 0x45                     ;  msbs: dst=1 src0=1 src1=1 src2=0
	v_dual_ashrrev_i32 v14 /*v270*/, v2 /*v258*/, v32 /*v288*/ :: v_dual_lshrrev_b32 v17 /*v273*/, v5 /*v261*/, v39 /*v295*/
	s_clause 0x2
	global_load_b32 v24 /*v280*/, v[20:21] /*v[276:277]*/, off offset:2
	s_set_vgpr_msb 64                       ;  msbs: dst=1 src0=0 src1=0 src2=0
	global_load_u16 v25 /*v281*/, v[44:45], off
	s_set_vgpr_msb 0                        ;  msbs: dst=0 src0=0 src1=0 src2=0
	v_lshlrev_b32_e32 v42, 4, v42
	v_dual_lshlrev_b32 v46, 12, v46 :: v_dual_lshrrev_b32 v40, 16, v41
	s_set_vgpr_msb 4                        ;  msbs: dst=0 src0=0 src1=1 src2=0
	v_bitop3_b16 v41, v133, v15 /*v271*/, 0x1f00 bitop3:0xec
	s_set_vgpr_msb 0x44                     ;  msbs: dst=1 src0=0 src1=1 src2=0
	v_and_b32_e32 v14 /*v270*/, 0xf0f0f0f, v14 /*v270*/
	s_set_vgpr_msb 0                        ;  msbs: dst=0 src0=0 src1=0 src2=0
	v_and_b32_e32 v42, 16, v42
	v_and_b32_e32 v46, 0x1000, v46
	v_lshlrev_b16 v133, 8, v40
	v_add_nc_u16 v41, 0xf000, v41
	v_and_b32_e32 v40, 0x1f00, v40
	s_set_vgpr_msb 0x44                     ;  msbs: dst=1 src0=0 src1=1 src2=0
	v_lshlrev_b32_e32 v17 /*v273*/, 28, v17 /*v273*/
	s_set_vgpr_msb 4                        ;  msbs: dst=0 src0=0 src1=1 src2=0
	v_or3_b32 v42, v42, v14 /*v270*/, v46
	s_set_vgpr_msb 0                        ;  msbs: dst=0 src0=0 src1=0 src2=0
	v_add_nc_u16 v133, 0xf000, v133
	s_set_vgpr_msb 64                       ;  msbs: dst=1 src0=0 src1=0 src2=0
	v_lshrrev_b32_e32 v15 /*v271*/, 8, v41
	s_set_vgpr_msb 0                        ;  msbs: dst=0 src0=0 src1=0 src2=0
	v_add_nc_u16 v40, 0xf000, v40
	v_bfe_i32 v41, v41, 0, 8
	s_set_vgpr_msb 64                       ;  msbs: dst=1 src0=0 src1=0 src2=0
	v_lshlrev_b16 v18 /*v274*/, 8, v42
	s_set_vgpr_msb 1                        ;  msbs: dst=0 src0=1 src1=0 src2=0
	v_ashrrev_i16 v133, 8, v133
	v_bfe_i32 v46, v15 /*v271*/, 0, 8
	s_set_vgpr_msb 0x45                     ;  msbs: dst=1 src0=1 src1=1 src2=0
	v_lshrrev_b32_e32 v15 /*v271*/, v4 /*v260*/, v39 /*v295*/
	s_set_vgpr_msb 0                        ;  msbs: dst=0 src0=0 src1=0 src2=0
	v_lshrrev_b32_e32 v40, 8, v40
	s_set_vgpr_msb 0x44                     ;  msbs: dst=1 src0=0 src1=1 src2=0
	v_add_nc_u16 v18 /*v274*/, 0xf000, v18 /*v274*/
	s_set_vgpr_msb 0                        ;  msbs: dst=0 src0=0 src1=0 src2=0
	v_cvt_f16_i16_e32 v41, v41
	v_cvt_f16_i16_e32 v46, v46
	s_set_vgpr_msb 0x44                     ;  msbs: dst=1 src0=0 src1=1 src2=0
	v_lshlrev_b32_e32 v15 /*v271*/, 20, v15 /*v271*/
	s_set_vgpr_msb 0                        ;  msbs: dst=0 src0=0 src1=0 src2=0
	v_bfe_i32 v40, v40, 0, 8
	s_set_vgpr_msb 0x44                     ;  msbs: dst=1 src0=0 src1=1 src2=0
	v_lshrrev_b16 v18 /*v274*/, 8, v18 /*v274*/
	v_and_b32_e32 v17 /*v273*/, 0x10000000, v17 /*v273*/
	v_mul_u32_u24_e32 v16 /*v272*/, 0x10001, v57 /*v313*/
	v_and_b32_e32 v15 /*v271*/, 0x100000, v15 /*v271*/
	s_set_vgpr_msb 0                        ;  msbs: dst=0 src0=0 src1=0 src2=0
	v_pack_b32_f16 v41, v41, v46
	s_set_vgpr_msb 4                        ;  msbs: dst=0 src0=0 src1=1 src2=0
	v_bitop3_b16 v42, v42, v18 /*v274*/, 0x1f00 bitop3:0xec
	v_cvt_f16_i16_e64 v46, v133
	v_cvt_f16_i16_e32 v40, v40
	s_set_vgpr_msb 21                       ;  msbs: dst=0 src0=1 src1=1 src2=1
	v_or3_b32 v133, v14 /*v270*/, v15 /*v271*/, v17 /*v273*/
	s_wait_xcnt 0x0
	v_mul_u32_u24_e32 v44, 0x10001, v48 /*v304*/
	s_set_vgpr_msb 0                        ;  msbs: dst=0 src0=0 src1=0 src2=0
	v_add_nc_u16 v42, 0xf000, v42
	s_set_vgpr_msb 4                        ;  msbs: dst=0 src0=0 src1=1 src2=0
	v_pk_mul_f16 v41, v41, v16 /*v272*/
	s_set_vgpr_msb 0                        ;  msbs: dst=0 src0=0 src1=0 src2=0
	v_pack_b32_f16 v40, v46, v40
	v_lshrrev_b32_e32 v45, 16, v133
	s_set_vgpr_msb 4                        ;  msbs: dst=0 src0=0 src1=1 src2=0
	v_mul_u32_u24_e32 v46, 0x10001, v52 /*v308*/
	s_set_vgpr_msb 0                        ;  msbs: dst=0 src0=0 src1=0 src2=0
	v_lshrrev_b32_e32 v133, 8, v42
	s_set_vgpr_msb 0x50                     ;  msbs: dst=1 src0=0 src1=0 src2=1
	v_pk_fma_f16 v14 /*v270*/, v41, v44, v6 /*v262*/
	s_set_vgpr_msb 4                        ;  msbs: dst=0 src0=0 src1=1 src2=0
	v_pk_mul_f16 v40, v40, v16 /*v272*/
	s_set_vgpr_msb 0x50                     ;  msbs: dst=1 src0=0 src1=0 src2=1
	v_and_b32_e32 v16 /*v272*/, 0x1f00, v45
	v_pk_fma_f16 v18 /*v274*/, v41, v46, v10 /*v266*/
	s_set_vgpr_msb 0                        ;  msbs: dst=0 src0=0 src1=0 src2=0
	v_bfe_i32 v41, v42, 0, 8
	v_bfe_i32 v42, v133, 0, 8
	v_lshlrev_b16 v45, 8, v45
	s_set_vgpr_msb 4                        ;  msbs: dst=0 src0=0 src1=1 src2=0
	v_add_nc_u16 v133, 0xf000, v16 /*v272*/
	s_set_vgpr_msb 0x50                     ;  msbs: dst=1 src0=0 src1=0 src2=1
	v_pk_fma_f16 v15 /*v271*/, v40, v44, v7 /*v263*/
	s_set_vgpr_msb 0                        ;  msbs: dst=0 src0=0 src1=0 src2=0
	v_cvt_f16_i16_e32 v41, v41
	v_cvt_f16_i16_e32 v42, v42
	s_set_vgpr_msb 0x50                     ;  msbs: dst=1 src0=0 src1=0 src2=1
	v_pk_fma_f16 v19 /*v275*/, v40, v46, v11 /*v267*/
	s_set_vgpr_msb 0                        ;  msbs: dst=0 src0=0 src1=0 src2=0
	v_lshrrev_b32_e32 v40, 8, v133
	v_add_nc_u16 v45, 0xf000, v45
	s_wait_loadcnt 0x11
	s_set_vgpr_msb 0x45                     ;  msbs: dst=1 src0=1 src1=1 src2=0
	v_dual_lshrrev_b32 v17 /*v273*/, v3 /*v259*/, v47 /*v303*/ :: v_dual_ashrrev_i32 v26 /*v282*/, v2 /*v258*/, v40 /*v296*/
	s_set_vgpr_msb 0                        ;  msbs: dst=0 src0=0 src1=0 src2=0
	v_pack_b32_f16 v42, v41, v42
	s_set_vgpr_msb 4                        ;  msbs: dst=0 src0=0 src1=1 src2=0
	v_lshrrev_b32_e32 v41, v254, v47 /*v303*/
	s_set_vgpr_msb 64                       ;  msbs: dst=1 src0=0 src1=0 src2=0
	v_bfe_i32 v16 /*v272*/, v40, 0, 8
	s_set_vgpr_msb 0                        ;  msbs: dst=0 src0=0 src1=0 src2=0
	v_ashrrev_i16 v45, 8, v45
	s_wait_loadcnt 0x10
	s_set_vgpr_msb 4                        ;  msbs: dst=0 src0=0 src1=1 src2=0
	v_mul_u32_u24_e32 v133, 0x10001, v50 /*v306*/
	s_set_vgpr_msb 0x44                     ;  msbs: dst=1 src0=0 src1=1 src2=0
	v_and_b32_e32 v26 /*v282*/, 0xf0f0f0f, v26 /*v282*/
	s_set_vgpr_msb 64                       ;  msbs: dst=1 src0=0 src1=0 src2=0
	v_lshlrev_b32_e32 v27 /*v283*/, 4, v41
	s_set_vgpr_msb 1                        ;  msbs: dst=0 src0=1 src1=0 src2=0
	v_add_nc_u64_e32 v[40:41], v[20:21] /*v[276:277]*/, v[188:189]
	s_set_vgpr_msb 0x44                     ;  msbs: dst=1 src0=0 src1=1 src2=0
	v_lshlrev_b32_e32 v17 /*v273*/, 12, v17 /*v273*/
	s_set_vgpr_msb 0                        ;  msbs: dst=0 src0=0 src1=0 src2=0
	v_cvt_f16_i16_e32 v45, v45
	s_set_vgpr_msb 0x41                     ;  msbs: dst=1 src0=1 src1=0 src2=0
	v_cvt_f16_i16_e64 v16 /*v272*/, v16 /*v272*/
	s_set_vgpr_msb 0x44                     ;  msbs: dst=1 src0=0 src1=1 src2=0
	v_and_b32_e32 v20 /*v276*/, 16, v27 /*v283*/
	v_and_b32_e32 v17 /*v273*/, 0x1000, v17 /*v273*/
	global_load_b32 v27 /*v283*/, v[40:41], off offset:6
	s_wait_xcnt 0x0
	s_set_vgpr_msb 4                        ;  msbs: dst=0 src0=0 src1=1 src2=0
	v_pack_b32_f16 v40, v45, v16 /*v272*/
	s_set_vgpr_msb 0                        ;  msbs: dst=0 src0=0 src1=0 src2=0
	v_pk_mul_f16 v41, v42, v133
	s_set_vgpr_msb 21                       ;  msbs: dst=0 src0=1 src1=1 src2=1
	v_lshrrev_b32_e32 v42, v4 /*v260*/, v47 /*v303*/
	v_or3_b32 v45, v20 /*v276*/, v26 /*v282*/, v17 /*v273*/
	s_set_vgpr_msb 0x45                     ;  msbs: dst=1 src0=1 src1=1 src2=0
	v_lshrrev_b32_e32 v17 /*v273*/, v5 /*v261*/, v47 /*v303*/
	s_set_vgpr_msb 0                        ;  msbs: dst=0 src0=0 src1=0 src2=0
	v_pk_mul_f16 v40, v40, v133
	s_set_vgpr_msb 0x50                     ;  msbs: dst=1 src0=0 src1=0 src2=1
	v_pk_fma_f16 v16 /*v272*/, v41, v44, v8 /*v264*/
	s_set_vgpr_msb 0                        ;  msbs: dst=0 src0=0 src1=0 src2=0
	v_lshlrev_b32_e32 v42, 20, v42
	v_lshlrev_b16 v133, 8, v45
	s_set_vgpr_msb 0x50                     ;  msbs: dst=1 src0=0 src1=0 src2=1
	v_pk_fma_f16 v20 /*v276*/, v41, v46, v12 /*v268*/
	s_set_vgpr_msb 4                        ;  msbs: dst=0 src0=0 src1=1 src2=0
	ds_store_b128 v239, v[6:9] /*v[262:265]*/
	ds_store_b128 v239, v[10:13] /*v[266:269]*/ offset:16
	s_set_vgpr_msb 64                       ;  msbs: dst=1 src0=0 src1=0 src2=0
	v_add_nc_u64_e32 v[6:7] /*v[262:263]*/, s[10:11], v[196:197]
	s_set_vgpr_msb 0                        ;  msbs: dst=0 src0=0 src1=0 src2=0
	v_and_b32_e32 v41, 0x100000, v42
	v_add_nc_u16 v42, 0xf000, v133
	s_wait_loadcnt 0x9
	s_set_vgpr_msb 0x45                     ;  msbs: dst=1 src0=1 src1=1 src2=0
	v_dual_lshrrev_b32 v11 /*v267*/, v3 /*v259*/, v68 /*v324*/ :: v_dual_lshlrev_b32 v21 /*v277*/, 28, v17 /*v273*/
	s_set_vgpr_msb 0x44                     ;  msbs: dst=1 src0=0 src1=1 src2=0
	v_lshrrev_b32_e32 v10 /*v266*/, v254, v68 /*v324*/
	s_set_vgpr_msb 0x50                     ;  msbs: dst=1 src0=0 src1=0 src2=1
	v_pk_fma_f16 v17 /*v273*/, v40, v44, v9 /*v265*/
	s_set_vgpr_msb 0x41                     ;  msbs: dst=1 src0=1 src1=0 src2=0
	v_add_nc_u64_e32 v[8:9] /*v[264:265]*/, v[6:7] /*v[262:263]*/, v[232:233]
	s_set_vgpr_msb 0x45                     ;  msbs: dst=1 src0=1 src1=1 src2=0
	v_ashrrev_i32_e32 v12 /*v268*/, v2 /*v258*/, v61 /*v317*/
	s_set_vgpr_msb 4                        ;  msbs: dst=0 src0=0 src1=1 src2=0
	v_and_b32_e32 v44, 0x10000000, v21 /*v277*/
	s_set_vgpr_msb 0x50                     ;  msbs: dst=1 src0=0 src1=0 src2=1
	v_pk_fma_f16 v21 /*v277*/, v40, v46, v13 /*v269*/
	s_set_vgpr_msb 1                        ;  msbs: dst=0 src0=1 src1=0 src2=0
	v_lshrrev_b16 v40, 8, v42
	v_and_b32_e32 v42, 0xffff, v47
	v_add_nc_u64_e32 v[46:47], v[22:23] /*v[278:279]*/, v[230:231]
	v_or3_b32 v41, v26 /*v282*/, v41, v44
	s_set_vgpr_msb 0x44                     ;  msbs: dst=1 src0=0 src1=1 src2=0
	v_lshlrev_b32_e32 v10 /*v266*/, 4, v10 /*v266*/
	s_set_vgpr_msb 0                        ;  msbs: dst=0 src0=0 src1=0 src2=0
	v_bitop3_b16 v40, v45, v40, 0x1f00 bitop3:0xec
	v_mul_u32_u24_e32 v133, 0x10001, v42
	s_set_vgpr_msb 0x44                     ;  msbs: dst=1 src0=0 src1=1 src2=0
	v_lshlrev_b32_e32 v11 /*v267*/, 12, v11 /*v267*/
	ds_store_b128 v239, v[14:17] /*v[270:273]*/
	ds_store_b128 v239, v[18:21] /*v[274:277]*/ offset:16
	v_and_b32_e32 v10 /*v266*/, 16, v10 /*v266*/
	s_set_vgpr_msb 0                        ;  msbs: dst=0 src0=0 src1=0 src2=0
	v_add_nc_u16 v42, 0xf000, v40
	v_lshrrev_b32_e32 v44, 16, v41
	v_add_nc_u64_e32 v[40:41], v[46:47], v[190:191]
	s_set_vgpr_msb 64                       ;  msbs: dst=1 src0=0 src1=0 src2=0
	s_clause 0x4
	global_load_b32 v22 /*v278*/, v[40:41], off offset:6
	s_set_vgpr_msb 0x41                     ;  msbs: dst=1 src0=1 src1=0 src2=0
	global_load_u16 v23 /*v279*/, v[8:9] /*v[264:265]*/, off
	s_set_vgpr_msb 64                       ;  msbs: dst=1 src0=0 src1=0 src2=0
	global_load_b32 v26 /*v282*/, v[46:47], off offset:2
	s_wait_xcnt 0x2
	s_set_vgpr_msb 0                        ;  msbs: dst=0 src0=0 src1=0 src2=0
	v_lshrrev_b32_e32 v40, 8, v42
	v_bfe_i32 v41, v42, 0, 8
	s_set_vgpr_msb 4                        ;  msbs: dst=0 src0=0 src1=1 src2=0
	v_and_b32_e32 v42, 0xf0f0f0f, v12 /*v268*/
	s_set_vgpr_msb 0x45                     ;  msbs: dst=1 src0=1 src1=1 src2=0
	v_and_b32_e32 v11 /*v267*/, 0x1000, v11 /*v267*/
	v_lshrrev_b32_e32 v13 /*v269*/, v5 /*v261*/, v68 /*v324*/
	s_set_vgpr_msb 0                        ;  msbs: dst=0 src0=0 src1=0 src2=0
	v_lshlrev_b16 v45, 8, v44
	v_and_b32_e32 v44, 0x1f00, v44
	v_bfe_i32 v40, v40, 0, 8
	s_set_vgpr_msb 0x51                     ;  msbs: dst=1 src0=1 src1=0 src2=1
	v_or3_b32 v10 /*v266*/, v10 /*v266*/, v42, v11 /*v267*/
	s_set_vgpr_msb 0x45                     ;  msbs: dst=1 src0=1 src1=1 src2=0
	v_dual_lshrrev_b32 v11 /*v267*/, v4 /*v260*/, v68 /*v324*/ :: v_dual_lshlrev_b32 v13 /*v269*/, 28, v13 /*v269*/
	s_set_vgpr_msb 0                        ;  msbs: dst=0 src0=0 src1=0 src2=0
	v_add_nc_u16 v44, 0xf000, v44
	v_cvt_f16_i16_e32 v41, v41
	v_cvt_f16_i16_e32 v40, v40
	s_set_vgpr_msb 0x44                     ;  msbs: dst=1 src0=0 src1=1 src2=0
	v_lshlrev_b32_e32 v11 /*v267*/, 20, v11 /*v267*/
	v_and_b32_e32 v13 /*v269*/, 0x10000000, v13 /*v269*/
	s_set_vgpr_msb 0                        ;  msbs: dst=0 src0=0 src1=0 src2=0
	v_add_nc_u16 v45, 0xf000, v45
	s_set_vgpr_msb 0x44                     ;  msbs: dst=1 src0=0 src1=1 src2=0
	v_lshlrev_b16 v28 /*v284*/, 8, v10 /*v266*/
	s_set_vgpr_msb 0                        ;  msbs: dst=0 src0=0 src1=0 src2=0
	v_pack_b32_f16 v40, v41, v40
	s_set_vgpr_msb 0x44                     ;  msbs: dst=1 src0=0 src1=1 src2=0
	v_and_b32_e32 v11 /*v267*/, 0x100000, v11 /*v267*/
	v_mul_u32_u24_e32 v12 /*v268*/, 0x10001, v36 /*v292*/
	s_set_vgpr_msb 0                        ;  msbs: dst=0 src0=0 src1=0 src2=0
	v_ashrrev_i16 v45, 8, v45
	s_set_vgpr_msb 0x44                     ;  msbs: dst=1 src0=0 src1=1 src2=0
	v_add_nc_u16 v28 /*v284*/, 0xf000, v28 /*v284*/
	s_set_vgpr_msb 0x41                     ;  msbs: dst=1 src0=1 src1=0 src2=0
	v_add_nc_u64_e32 v[6:7] /*v[262:263]*/, v[6:7] /*v[262:263]*/, v[230:231]
	s_set_vgpr_msb 20                       ;  msbs: dst=0 src0=0 src1=1 src2=1
	v_or3_b32 v41, v42, v11 /*v267*/, v13 /*v269*/
	s_set_vgpr_msb 0                        ;  msbs: dst=0 src0=0 src1=0 src2=0
	v_lshrrev_b32_e32 v44, 8, v44
	v_cvt_f16_i16_e32 v45, v45
	s_set_vgpr_msb 0x44                     ;  msbs: dst=1 src0=0 src1=1 src2=0
	v_lshrrev_b16 v28 /*v284*/, 8, v28 /*v284*/
	s_set_vgpr_msb 0                        ;  msbs: dst=0 src0=0 src1=0 src2=0
	v_and_b32_e32 v42, 0xffff, v43
	v_lshrrev_b32_e32 v41, 16, v41
	v_bfe_i32 v44, v44, 0, 8
	s_set_vgpr_msb 64                       ;  msbs: dst=1 src0=0 src1=0 src2=0
	s_delay_alu instid0(VALU_DEP_2) | instskip(SKIP_1) | instid1(VALU_DEP_2)
	v_and_b32_e32 v11 /*v267*/, 0x1f00, v41
	s_set_vgpr_msb 0                        ;  msbs: dst=0 src0=0 src1=0 src2=0
	v_cvt_f16_i16_e32 v44, v44
	s_set_vgpr_msb 0x44                     ;  msbs: dst=1 src0=0 src1=1 src2=0
	s_delay_alu instid0(VALU_DEP_2) | instskip(SKIP_1) | instid1(VALU_DEP_2)
	v_add_nc_u16 v11 /*v267*/, 0xf000, v11 /*v267*/
	s_set_vgpr_msb 0                        ;  msbs: dst=0 src0=0 src1=0 src2=0
	v_pack_b32_f16 v43, v45, v44
	s_set_vgpr_msb 5                        ;  msbs: dst=0 src0=1 src1=1 src2=0
	v_bitop3_b16 v44, v10 /*v266*/, v28 /*v284*/, 0x1f00 bitop3:0xec
	s_set_vgpr_msb 4                        ;  msbs: dst=0 src0=0 src1=1 src2=0
	v_pk_mul_f16 v45, v40, v12 /*v268*/
	s_set_vgpr_msb 64                       ;  msbs: dst=1 src0=0 src1=0 src2=0
	v_mul_u32_u24_e32 v28 /*v284*/, 0x10001, v42
	s_set_vgpr_msb 0x44                     ;  msbs: dst=1 src0=0 src1=1 src2=0
	v_lshrrev_b32_e32 v11 /*v267*/, 8, v11 /*v267*/
	v_pk_mul_f16 v10 /*v266*/, v43, v12 /*v268*/
	s_set_vgpr_msb 16                       ;  msbs: dst=0 src0=0 src1=0 src2=1
	v_add_nc_u16 v42, 0xf000, v44
	v_lshlrev_b16 v43, 8, v41
	v_pk_fma_f16 v40, v45, v133, v14 /*v270*/
	s_set_vgpr_msb 20                       ;  msbs: dst=0 src0=0 src1=1 src2=1
	v_pk_fma_f16 v44, v45, v28 /*v284*/, v18 /*v274*/
	s_set_vgpr_msb 0x44                     ;  msbs: dst=1 src0=0 src1=1 src2=0
	v_mul_u32_u24_e32 v14 /*v270*/, 0x10001, v41 /*v297*/
	s_set_vgpr_msb 0                        ;  msbs: dst=0 src0=0 src1=0 src2=0
	v_lshrrev_b32_e32 v45, 8, v42
	s_set_vgpr_msb 64                       ;  msbs: dst=1 src0=0 src1=0 src2=0
	v_add_nc_u16 v12 /*v268*/, 0xf000, v43
	v_bfe_i32 v13 /*v269*/, v42, 0, 8
	s_set_vgpr_msb 1                        ;  msbs: dst=0 src0=1 src1=0 src2=0
	v_add_nc_u64_e32 v[42:43], v[8:9] /*v[264:265]*/, v[188:189]
	s_set_vgpr_msb 64                       ;  msbs: dst=1 src0=0 src1=0 src2=0
	s_clause 0x5
	global_load_b32 v30 /*v286*/, v[42:43], off offset:6
	s_set_vgpr_msb 0x41                     ;  msbs: dst=1 src0=1 src1=0 src2=0
	global_load_u16 v32 /*v288*/, v[6:7] /*v[262:263]*/, off
	global_load_b32 v33 /*v289*/, v[8:9] /*v[264:265]*/, off offset:2
	s_set_vgpr_msb 64                       ;  msbs: dst=1 src0=0 src1=0 src2=0
	global_load_u16 v36 /*v292*/, v[46:47], off
	s_wait_xcnt 0x3
	s_set_vgpr_msb 4                        ;  msbs: dst=0 src0=0 src1=1 src2=0
	v_lshrrev_b32_e32 v42, v254, v66 /*v322*/
	s_set_vgpr_msb 5                        ;  msbs: dst=0 src0=1 src1=1 src2=0
	v_lshrrev_b32_e32 v43, v3 /*v259*/, v66 /*v322*/
	s_wait_xcnt 0x0
	v_ashrrev_i32_e32 v46, v2 /*v258*/, v62 /*v318*/
	s_set_vgpr_msb 0x45                     ;  msbs: dst=1 src0=1 src1=1 src2=0
	v_ashrrev_i16 v12 /*v268*/, 8, v12 /*v268*/
	v_lshrrev_b32_e32 v9 /*v265*/, v4 /*v260*/, v66 /*v322*/
	s_set_vgpr_msb 0                        ;  msbs: dst=0 src0=0 src1=0 src2=0
	v_dual_lshlrev_b32 v42, 4, v42 :: v_dual_lshlrev_b32 v43, 12, v43
	v_bfe_i32 v45, v45, 0, 8
	s_set_vgpr_msb 1                        ;  msbs: dst=0 src0=1 src1=0 src2=0
	v_bfe_i32 v47, v11 /*v267*/, 0, 8
	v_and_b32_e32 v46, 0xf0f0f0f, v46
	s_set_vgpr_msb 0x45                     ;  msbs: dst=1 src0=1 src1=1 src2=0
	v_dual_lshrrev_b32 v11 /*v267*/, v5 /*v261*/, v66 /*v322*/ :: v_dual_lshlrev_b32 v9 /*v265*/, 20, v9 /*v265*/
	s_set_vgpr_msb 0                        ;  msbs: dst=0 src0=0 src1=0 src2=0
	v_and_b32_e32 v42, 16, v42
	v_and_b32_e32 v43, 0x1000, v43
	s_set_vgpr_msb 0x41                     ;  msbs: dst=1 src0=1 src1=0 src2=0
	v_cvt_f16_i16_e64 v13 /*v269*/, v13 /*v269*/
	s_set_vgpr_msb 0                        ;  msbs: dst=0 src0=0 src1=0 src2=0
	v_cvt_f16_i16_e32 v45, v45
	s_set_vgpr_msb 0x41                     ;  msbs: dst=1 src0=1 src1=0 src2=0
	v_cvt_f16_i16_e64 v8 /*v264*/, v12 /*v268*/
	s_set_vgpr_msb 0                        ;  msbs: dst=0 src0=0 src1=0 src2=0
	v_cvt_f16_i16_e32 v47, v47
	s_set_vgpr_msb 0x44                     ;  msbs: dst=1 src0=0 src1=1 src2=0
	v_lshlrev_b32_e32 v11 /*v267*/, 28, v11 /*v267*/
	s_set_vgpr_msb 64                       ;  msbs: dst=1 src0=0 src1=0 src2=0
	v_or3_b32 v39 /*v295*/, v42, v46, v43
	s_set_vgpr_msb 0x41                     ;  msbs: dst=1 src0=1 src1=0 src2=0
	v_pack_b32_f16 v12 /*v268*/, v13 /*v269*/, v45
	s_set_vgpr_msb 1                        ;  msbs: dst=0 src0=1 src1=0 src2=0
	v_add_nc_u64_e32 v[42:43], s[10:11], v[198:199]
	v_pack_b32_f16 v47, v8 /*v264*/, v47
	s_set_vgpr_msb 0x45                     ;  msbs: dst=1 src0=1 src1=1 src2=0
	v_and_b32_e32 v8 /*v264*/, 0x100000, v9 /*v265*/
	v_and_b32_e32 v9 /*v265*/, 0x10000000, v11 /*v267*/
	v_lshlrev_b16 v11 /*v267*/, 8, v39 /*v295*/
	v_pk_mul_f16 v12 /*v268*/, v12 /*v268*/, v14 /*v270*/
	s_set_vgpr_msb 4                        ;  msbs: dst=0 src0=0 src1=1 src2=0
	v_pk_mul_f16 v47, v47, v14 /*v270*/
	s_set_vgpr_msb 17                       ;  msbs: dst=0 src0=1 src1=0 src2=1
	v_pk_fma_f16 v41, v10 /*v266*/, v133, v15 /*v271*/
	s_set_vgpr_msb 0x54                     ;  msbs: dst=1 src0=0 src1=1 src2=1
	v_or3_b32 v13 /*v269*/, v46, v8 /*v264*/, v9 /*v265*/
	v_add_nc_u16 v14 /*v270*/, 0xf000, v11 /*v267*/
	s_set_vgpr_msb 64                       ;  msbs: dst=1 src0=0 src1=0 src2=0
	v_add_nc_u64_e32 v[8:9] /*v[264:265]*/, v[42:43], v[232:233]
	s_set_vgpr_msb 21                       ;  msbs: dst=0 src0=1 src1=1 src2=1
	v_pk_fma_f16 v45, v10 /*v266*/, v28 /*v284*/, v19 /*v275*/
	s_set_vgpr_msb 64                       ;  msbs: dst=1 src0=0 src1=0 src2=0
	v_add_nc_u64_e32 v[10:11] /*v[266:267]*/, v[42:43], v[230:231]
	s_set_vgpr_msb 21                       ;  msbs: dst=0 src0=1 src1=1 src2=1
	v_pk_fma_f16 v46, v12 /*v268*/, v28 /*v284*/, v20 /*v276*/
	s_set_vgpr_msb 0x44                     ;  msbs: dst=1 src0=0 src1=1 src2=0
	v_lshrrev_b16 v20 /*v276*/, 8, v14 /*v270*/
	s_set_vgpr_msb 17                       ;  msbs: dst=0 src0=1 src1=0 src2=1
	v_pk_fma_f16 v42, v12 /*v268*/, v133, v16 /*v272*/
	s_set_vgpr_msb 0x44                     ;  msbs: dst=1 src0=0 src1=1 src2=0
	v_lshrrev_b32_e32 v16 /*v272*/, 16, v13 /*v269*/
	s_set_vgpr_msb 0x41                     ;  msbs: dst=1 src0=1 src1=0 src2=0
	v_add_nc_u64_e32 v[12:13] /*v[268:269]*/, v[6:7] /*v[262:263]*/, v[190:191]
	v_add_nc_u64_e32 v[14:15] /*v[270:271]*/, v[8:9] /*v[264:265]*/, v[188:189]
	;; [unrolled: 1-line block ×3, first 2 shown]
	s_set_vgpr_msb 16                       ;  msbs: dst=0 src0=0 src1=0 src2=1
	v_pk_fma_f16 v43, v47, v133, v17 /*v273*/
	s_set_vgpr_msb 5                        ;  msbs: dst=0 src0=1 src1=1 src2=0
	v_bitop3_b16 v133, v39 /*v295*/, v20 /*v276*/, 0x1f00 bitop3:0xec
	s_set_vgpr_msb 20                       ;  msbs: dst=0 src0=0 src1=1 src2=1
	v_pk_fma_f16 v47, v47, v28 /*v284*/, v21 /*v277*/
	s_set_vgpr_msb 0x41                     ;  msbs: dst=1 src0=1 src1=0 src2=0
	s_clause 0x7
	global_load_b32 v20 /*v276*/, v[12:13] /*v[268:269]*/, off offset:6
	global_load_b32 v21 /*v277*/, v[14:15] /*v[270:271]*/, off offset:6
	;; [unrolled: 1-line block ×4, first 2 shown]
	global_load_u16 v40 /*v296*/, v[10:11] /*v[266:267]*/, off
	global_load_b32 v41 /*v297*/, v[8:9] /*v[264:265]*/, off offset:2
	global_load_u16 v42 /*v298*/, v[8:9] /*v[264:265]*/, off
	global_load_b32 v43 /*v299*/, v[6:7] /*v[262:263]*/, off offset:2
	s_wait_xcnt 0x0
	s_set_vgpr_msb 0x44                     ;  msbs: dst=1 src0=0 src1=1 src2=0
	v_and_b32_e32 v6 /*v262*/, 0x1f00, v16 /*v272*/
	s_set_vgpr_msb 0                        ;  msbs: dst=0 src0=0 src1=0 src2=0
	v_add_nc_u16 v133, 0xf000, v133
	s_set_vgpr_msb 0x45                     ;  msbs: dst=1 src0=1 src1=1 src2=0
	v_dual_lshrrev_b32 v9 /*v265*/, v3 /*v259*/, v64 /*v320*/ :: v_dual_ashrrev_i32 v11 /*v267*/, v2 /*v258*/, v63 /*v319*/
	s_set_vgpr_msb 0x44                     ;  msbs: dst=1 src0=0 src1=1 src2=0
	v_lshrrev_b32_e32 v8 /*v264*/, v254, v64 /*v320*/
	v_add_nc_u16 v6 /*v262*/, 0xf000, v6 /*v262*/
	s_set_vgpr_msb 64                       ;  msbs: dst=1 src0=0 src1=0 src2=0
	v_lshrrev_b32_e32 v12 /*v268*/, 8, v133
	s_set_vgpr_msb 0x44                     ;  msbs: dst=1 src0=0 src1=1 src2=0
	v_lshlrev_b32_e32 v9 /*v265*/, 12, v9 /*v265*/
	v_lshlrev_b16 v17 /*v273*/, 8, v16 /*v272*/
	v_dual_lshlrev_b32 v8 /*v264*/, 4, v8 /*v264*/ :: v_dual_lshrrev_b32 v6 /*v262*/, 8, v6 /*v262*/
	v_and_b32_e32 v11 /*v267*/, 0xf0f0f0f, v11 /*v267*/
	s_delay_alu instid0(VALU_DEP_4)
	v_and_b32_e32 v9 /*v265*/, 0x1000, v9 /*v265*/
	s_set_vgpr_msb 0x45                     ;  msbs: dst=1 src0=1 src1=1 src2=0
	v_bfe_i32 v12 /*v268*/, v12 /*v268*/, 0, 8
	v_dual_lshrrev_b32 v13 /*v269*/, v4 /*v260*/, v64 /*v320*/ :: v_dual_lshrrev_b32 v14 /*v270*/, v5 /*v261*/, v64 /*v320*/
	v_and_b32_e32 v8 /*v264*/, 16, v8 /*v264*/
	v_add_nc_u16 v7 /*v263*/, 0xf000, v17 /*v273*/
	s_set_vgpr_msb 0                        ;  msbs: dst=0 src0=0 src1=0 src2=0
	v_bfe_i32 v133, v133, 0, 8
	s_set_vgpr_msb 0x41                     ;  msbs: dst=1 src0=1 src1=0 src2=0
	v_bfe_i32 v6 /*v262*/, v6 /*v262*/, 0, 8
	s_set_vgpr_msb 0x55                     ;  msbs: dst=1 src0=1 src1=1 src2=1
	v_mul_u32_u24_e32 v10 /*v266*/, 0x10001, v67 /*v323*/
	v_or3_b32 v8 /*v264*/, v8 /*v264*/, v11 /*v267*/, v9 /*v265*/
	v_cvt_f16_i16_e64 v9 /*v265*/, v12 /*v268*/
	v_dual_lshlrev_b32 v12 /*v268*/, 20, v13 /*v269*/ :: v_dual_lshlrev_b32 v13 /*v269*/, 28, v14 /*v270*/
	s_set_vgpr_msb 0                        ;  msbs: dst=0 src0=0 src1=0 src2=0
	v_cvt_f16_i16_e64 v133, v133
	s_set_vgpr_msb 0x44                     ;  msbs: dst=1 src0=0 src1=1 src2=0
	v_lshlrev_b16 v14 /*v270*/, 8, v8 /*v264*/
	v_ashrrev_i16 v7 /*v263*/, 8, v7 /*v263*/
	v_and_b32_e32 v12 /*v268*/, 0x100000, v12 /*v268*/
	v_and_b32_e32 v13 /*v269*/, 0x10000000, v13 /*v269*/
	s_set_vgpr_msb 0x41                     ;  msbs: dst=1 src0=1 src1=0 src2=0
	v_cvt_f16_i16_e64 v6 /*v262*/, v6 /*v262*/
	s_set_vgpr_msb 0x44                     ;  msbs: dst=1 src0=0 src1=1 src2=0
	v_add_nc_u16 v14 /*v270*/, 0xf000, v14 /*v270*/
	s_set_vgpr_msb 0x41                     ;  msbs: dst=1 src0=1 src1=0 src2=0
	v_cvt_f16_i16_e64 v7 /*v263*/, v7 /*v263*/
	s_set_vgpr_msb 4                        ;  msbs: dst=0 src0=0 src1=1 src2=0
	v_pack_b32_f16 v133, v133, v9 /*v265*/
	s_set_vgpr_msb 0x55                     ;  msbs: dst=1 src0=1 src1=1 src2=1
	v_or3_b32 v9 /*v265*/, v11 /*v267*/, v12 /*v268*/, v13 /*v269*/
	v_mul_u32_u24_e32 v12 /*v268*/, 0x10001, v49 /*v305*/
	v_lshrrev_b16 v11 /*v267*/, 8, v14 /*v270*/
	v_pack_b32_f16 v6 /*v262*/, v7 /*v263*/, v6 /*v262*/
	s_set_vgpr_msb 4                        ;  msbs: dst=0 src0=0 src1=1 src2=0
	v_pk_mul_f16 v133, v133, v10 /*v266*/
	s_set_vgpr_msb 0x44                     ;  msbs: dst=1 src0=0 src1=1 src2=0
	v_lshrrev_b32_e32 v7 /*v263*/, 16, v9 /*v265*/
	s_set_vgpr_msb 0                        ;  msbs: dst=0 src0=0 src1=0 src2=0
	ds_store_b128 v239, v[40:43]
	ds_store_b128 v239, v[44:47] offset:16
	s_set_vgpr_msb 0x45                     ;  msbs: dst=1 src0=1 src1=1 src2=0
	v_bitop3_b16 v8 /*v264*/, v8 /*v264*/, v11 /*v267*/, 0x1f00 bitop3:0xec
	v_pk_mul_f16 v6 /*v262*/, v6 /*v262*/, v10 /*v266*/
	s_set_vgpr_msb 4                        ;  msbs: dst=0 src0=0 src1=1 src2=0
	v_pk_fma_f16 v40, v133, v12 /*v268*/, v40
	s_set_vgpr_msb 0x44                     ;  msbs: dst=1 src0=0 src1=1 src2=0
	v_and_b32_e32 v9 /*v265*/, 0x1f00, v7 /*v263*/
	s_set_vgpr_msb 0                        ;  msbs: dst=0 src0=0 src1=0 src2=0
	v_pk_fma_f16 v44, v133, v227, v44
	s_set_vgpr_msb 0x44                     ;  msbs: dst=1 src0=0 src1=1 src2=0
	v_add_nc_u16 v8 /*v264*/, 0xf000, v8 /*v264*/
	s_set_vgpr_msb 5                        ;  msbs: dst=0 src0=1 src1=1 src2=0
	v_lshlrev_b16 v133, 8, v7 /*v263*/
	v_pk_fma_f16 v41, v6 /*v262*/, v12 /*v268*/, v41
	s_set_vgpr_msb 0x44                     ;  msbs: dst=1 src0=0 src1=1 src2=0
	v_add_nc_u16 v7 /*v263*/, 0xf000, v9 /*v265*/
	s_set_vgpr_msb 1                        ;  msbs: dst=0 src0=1 src1=0 src2=0
	v_pk_fma_f16 v45, v6 /*v262*/, v227, v45
	s_set_vgpr_msb 0x44                     ;  msbs: dst=1 src0=0 src1=1 src2=0
	v_lshrrev_b32_e32 v9 /*v265*/, 8, v8 /*v264*/
	s_set_vgpr_msb 0                        ;  msbs: dst=0 src0=0 src1=0 src2=0
	v_add_nc_u16 v133, 0xf000, v133
	s_set_vgpr_msb 0x45                     ;  msbs: dst=1 src0=1 src1=1 src2=0
	v_bfe_i32 v6 /*v262*/, v8 /*v264*/, 0, 8
	s_wait_loadcnt 0x12
	v_dual_lshrrev_b32 v7 /*v263*/, 8, v7 /*v263*/ :: v_dual_lshrrev_b32 v11 /*v267*/, v3 /*v259*/, v38 /*v294*/
	v_ashrrev_i32_e32 v13 /*v269*/, v2 /*v258*/, v29 /*v285*/
	v_bfe_i32 v8 /*v264*/, v9 /*v265*/, 0, 8
	s_set_vgpr_msb 0                        ;  msbs: dst=0 src0=0 src1=0 src2=0
	v_ashrrev_i16 v133, 8, v133
	s_set_vgpr_msb 0x41                     ;  msbs: dst=1 src0=1 src1=0 src2=0
	v_bfe_i32 v7 /*v263*/, v7 /*v263*/, 0, 8
	v_cvt_f16_i16_e64 v6 /*v262*/, v6 /*v262*/
	s_set_vgpr_msb 0x44                     ;  msbs: dst=1 src0=0 src1=1 src2=0
	v_mul_u32_u24_e32 v9 /*v265*/, 0x10001, v65 /*v321*/
	s_set_vgpr_msb 0x41                     ;  msbs: dst=1 src0=1 src1=0 src2=0
	v_cvt_f16_i16_e64 v8 /*v264*/, v8 /*v264*/
	s_set_vgpr_msb 0                        ;  msbs: dst=0 src0=0 src1=0 src2=0
	v_cvt_f16_i16_e64 v133, v133
	s_set_vgpr_msb 0x41                     ;  msbs: dst=1 src0=1 src1=0 src2=0
	v_cvt_f16_i16_e64 v7 /*v263*/, v7 /*v263*/
	s_set_vgpr_msb 0x44                     ;  msbs: dst=1 src0=0 src1=1 src2=0
	v_dual_lshrrev_b32 v10 /*v266*/, v254, v38 /*v294*/ :: v_dual_lshlrev_b32 v11 /*v267*/, 12, v11 /*v267*/
	s_set_vgpr_msb 0x45                     ;  msbs: dst=1 src0=1 src1=1 src2=0
	v_pack_b32_f16 v6 /*v262*/, v6 /*v262*/, v8 /*v264*/
	s_set_vgpr_msb 64                       ;  msbs: dst=1 src0=0 src1=0 src2=0
	v_dual_lshrrev_b32 v18 /*v274*/, 16, v36 :: v_dual_lshrrev_b32 v19 /*v275*/, 16, v37
	s_set_vgpr_msb 4                        ;  msbs: dst=0 src0=0 src1=1 src2=0
	v_pack_b32_f16 v133, v133, v7 /*v263*/
	s_set_vgpr_msb 0x45                     ;  msbs: dst=1 src0=1 src1=1 src2=0
	v_and_b32_e32 v7 /*v263*/, 0xf0f0f0f, v13 /*v269*/
	v_pk_mul_f16 v6 /*v262*/, v6 /*v262*/, v9 /*v265*/
	s_set_vgpr_msb 0                        ;  msbs: dst=0 src0=0 src1=0 src2=0
	v_and_b32_e32 v36, 0xffff, v36
	s_set_vgpr_msb 0x44                     ;  msbs: dst=1 src0=0 src1=1 src2=0
	v_mul_u32_u24_e32 v18 /*v274*/, 0x10001, v18 /*v274*/
	s_set_vgpr_msb 4                        ;  msbs: dst=0 src0=0 src1=1 src2=0
	v_pk_mul_f16 v133, v133, v9 /*v265*/
	s_set_vgpr_msb 0x45                     ;  msbs: dst=1 src0=1 src1=1 src2=0
	v_lshrrev_b32_e32 v9 /*v265*/, v4 /*v260*/, v38 /*v294*/
	v_lshlrev_b32_e32 v10 /*v266*/, 4, v10 /*v266*/
	s_set_vgpr_msb 5                        ;  msbs: dst=0 src0=1 src1=1 src2=0
	v_pk_fma_f16 v42, v6 /*v262*/, v12 /*v268*/, v42
	s_set_vgpr_msb 1                        ;  msbs: dst=0 src0=1 src1=0 src2=0
	v_pk_fma_f16 v46, v6 /*v262*/, v227, v46
	s_set_vgpr_msb 4                        ;  msbs: dst=0 src0=0 src1=1 src2=0
	v_pk_fma_f16 v43, v133, v12 /*v268*/, v43
	s_set_vgpr_msb 0x45                     ;  msbs: dst=1 src0=1 src1=1 src2=0
	v_dual_lshlrev_b32 v6 /*v262*/, 20, v9 /*v265*/ :: v_dual_bitop2_b32 v8 /*v264*/, 16, v10 /*v266*/ bitop3:0x40
	v_and_b32_e32 v10 /*v266*/, 0x1000, v11 /*v267*/
	v_lshrrev_b32_e32 v11 /*v267*/, v5 /*v261*/, v38 /*v294*/
	s_set_vgpr_msb 0                        ;  msbs: dst=0 src0=0 src1=0 src2=0
	v_pk_fma_f16 v47, v133, v227, v47
	s_set_vgpr_msb 4                        ;  msbs: dst=0 src0=0 src1=1 src2=0
	v_and_b32_e32 v133, 0x100000, v6 /*v262*/
	s_set_vgpr_msb 0x45                     ;  msbs: dst=1 src0=1 src1=1 src2=0
	v_lshrrev_b32_e32 v12 /*v268*/, v5 /*v261*/, v35 /*v291*/
	s_set_vgpr_msb 0                        ;  msbs: dst=0 src0=0 src1=0 src2=0
	v_mul_u32_u24_e32 v36, 0x10001, v36
	s_set_vgpr_msb 0x55                     ;  msbs: dst=1 src0=1 src1=1 src2=1
	v_lshlrev_b32_e32 v9 /*v265*/, 28, v11 /*v267*/
	v_or3_b32 v8 /*v264*/, v8 /*v264*/, v7 /*v263*/, v10 /*v266*/
	v_lshrrev_b32_e32 v11 /*v267*/, v4 /*v260*/, v35 /*v291*/
	s_wait_loadcnt 0x10
	v_mul_u32_u24_e32 v13 /*v269*/, 0x10001, v25 /*v281*/
	s_set_vgpr_msb 0                        ;  msbs: dst=0 src0=0 src1=0 src2=0
	ds_store_b128 v239, v[40:43]
	ds_store_b128 v239, v[44:47] offset:16
	s_set_vgpr_msb 4                        ;  msbs: dst=0 src0=0 src1=1 src2=0
	v_and_b32_e32 v227, 0x10000000, v9 /*v265*/
	s_set_vgpr_msb 0x45                     ;  msbs: dst=1 src0=1 src1=1 src2=0
	v_lshlrev_b16 v10 /*v266*/, 8, v8 /*v264*/
	v_lshrrev_b32_e32 v9 /*v265*/, v3 /*v259*/, v35 /*v291*/
	s_set_vgpr_msb 0                        ;  msbs: dst=0 src0=0 src1=0 src2=0
	v_and_b32_e32 v37, 0xffff, v37
	s_set_vgpr_msb 64                       ;  msbs: dst=1 src0=0 src1=0 src2=0
	v_dual_lshrrev_b32 v29 /*v285*/, 16, v38 :: v_dual_lshrrev_b32 v38 /*v294*/, 16, v39
	s_set_vgpr_msb 0x44                     ;  msbs: dst=1 src0=0 src1=1 src2=0
	v_add_nc_u16 v6 /*v262*/, 0xf000, v10 /*v266*/
	s_set_vgpr_msb 1                        ;  msbs: dst=0 src0=1 src1=0 src2=0
	v_or3_b32 v133, v7 /*v263*/, v133, v227
	s_set_vgpr_msb 0x44                     ;  msbs: dst=1 src0=0 src1=1 src2=0
	v_lshlrev_b32_e32 v9 /*v265*/, 12, v9 /*v265*/
	s_set_vgpr_msb 4                        ;  msbs: dst=0 src0=0 src1=1 src2=0
	v_lshrrev_b16 v227, 8, v6 /*v262*/
	s_set_vgpr_msb 0                        ;  msbs: dst=0 src0=0 src1=0 src2=0
	v_lshrrev_b32_e32 v133, 16, v133
	s_set_vgpr_msb 0x44                     ;  msbs: dst=1 src0=0 src1=1 src2=0
	v_and_b32_e32 v9 /*v265*/, 0x1000, v9 /*v265*/
	s_set_vgpr_msb 1                        ;  msbs: dst=0 src0=1 src1=0 src2=0
	v_bitop3_b16 v227, v8 /*v264*/, v227, 0x1f00 bitop3:0xec
	s_set_vgpr_msb 0x44                     ;  msbs: dst=1 src0=0 src1=1 src2=0
	v_lshrrev_b32_e32 v8 /*v264*/, v254, v35 /*v291*/
	s_set_vgpr_msb 64                       ;  msbs: dst=1 src0=0 src1=0 src2=0
	v_lshlrev_b16 v6 /*v262*/, 8, v133
	s_set_vgpr_msb 0                        ;  msbs: dst=0 src0=0 src1=0 src2=0
	v_and_b32_e32 v133, 0x1f00, v133
	v_add_nc_u16 v227, 0xf000, v227
	s_set_vgpr_msb 0x45                     ;  msbs: dst=1 src0=1 src1=1 src2=0
	v_dual_lshlrev_b32 v8 /*v264*/, 4, v8 /*v264*/ :: v_dual_ashrrev_i32 v10 /*v266*/, v2 /*v258*/, v31 /*v287*/
	s_set_vgpr_msb 0                        ;  msbs: dst=0 src0=0 src1=0 src2=0
	v_add_nc_u16 v133, 0xf000, v133
	s_set_vgpr_msb 64                       ;  msbs: dst=1 src0=0 src1=0 src2=0
	v_dual_lshrrev_b32 v46 /*v302*/, 16, v34 :: v_dual_lshrrev_b32 v7 /*v263*/, 8, v227
	s_set_vgpr_msb 0x44                     ;  msbs: dst=1 src0=0 src1=1 src2=0
	v_and_b32_e32 v8 /*v264*/, 16, v8 /*v264*/
	v_and_b32_e32 v10 /*v266*/, 0xf0f0f0f, v10 /*v266*/
	v_add_nc_u16 v6 /*v262*/, 0xf000, v6 /*v262*/
	s_set_vgpr_msb 0                        ;  msbs: dst=0 src0=0 src1=0 src2=0
	v_lshrrev_b32_e32 v133, 8, v133
	v_bfe_i32 v227, v227, 0, 8
	s_set_vgpr_msb 0x55                     ;  msbs: dst=1 src0=1 src1=1 src2=1
	v_bfe_i32 v7 /*v263*/, v7 /*v263*/, 0, 8
	v_or3_b32 v8 /*v264*/, v8 /*v264*/, v10 /*v266*/, v9 /*v265*/
	v_ashrrev_i16 v6 /*v262*/, 8, v6 /*v262*/
	s_set_vgpr_msb 0                        ;  msbs: dst=0 src0=0 src1=0 src2=0
	v_bfe_i32 v133, v133, 0, 8
	s_set_vgpr_msb 0x44                     ;  msbs: dst=1 src0=0 src1=1 src2=0
	v_dual_lshlrev_b32 v9 /*v265*/, 20, v11 /*v267*/ :: v_dual_lshlrev_b32 v11 /*v267*/, 28, v12 /*v268*/
	v_lshlrev_b16 v12 /*v268*/, 8, v8 /*v264*/
	s_set_vgpr_msb 0                        ;  msbs: dst=0 src0=0 src1=0 src2=0
	v_cvt_f16_i16_e64 v227, v227
	s_set_vgpr_msb 0x41                     ;  msbs: dst=1 src0=1 src1=0 src2=0
	v_cvt_f16_i16_e64 v7 /*v263*/, v7 /*v263*/
	v_cvt_f16_i16_e64 v6 /*v262*/, v6 /*v262*/
	s_set_vgpr_msb 0                        ;  msbs: dst=0 src0=0 src1=0 src2=0
	v_cvt_f16_i16_e64 v133, v133
	s_set_vgpr_msb 0x44                     ;  msbs: dst=1 src0=0 src1=1 src2=0
	v_and_b32_e32 v9 /*v265*/, 0x100000, v9 /*v265*/
	v_and_b32_e32 v11 /*v267*/, 0x10000000, v11 /*v267*/
	v_add_nc_u16 v12 /*v268*/, 0xf000, v12 /*v268*/
	s_set_vgpr_msb 4                        ;  msbs: dst=0 src0=0 src1=1 src2=0
	v_pack_b32_f16 v227, v227, v7 /*v263*/
	s_set_vgpr_msb 1                        ;  msbs: dst=0 src0=1 src1=0 src2=0
	v_pack_b32_f16 v133, v6 /*v262*/, v133
	s_set_vgpr_msb 64                       ;  msbs: dst=1 src0=0 src1=0 src2=0
	v_add_nc_u64_e32 v[6:7] /*v[262:263]*/, s[10:11], v[200:201]
	s_set_vgpr_msb 0x55                     ;  msbs: dst=1 src0=1 src1=1 src2=1
	v_or3_b32 v9 /*v265*/, v10 /*v266*/, v9 /*v265*/, v11 /*v267*/
	v_lshrrev_b16 v10 /*v266*/, 8, v12 /*v268*/
	s_set_vgpr_msb 4                        ;  msbs: dst=0 src0=0 src1=1 src2=0
	v_pk_mul_f16 v227, v227, v13 /*v269*/
	v_pk_mul_f16 v133, v133, v13 /*v269*/
	s_set_vgpr_msb 0                        ;  msbs: dst=0 src0=0 src1=0 src2=0
	v_and_b32_e32 v34, 0xffff, v34
	s_set_vgpr_msb 0x45                     ;  msbs: dst=1 src0=1 src1=1 src2=0
	v_lshrrev_b32_e32 v25 /*v281*/, 16, v9 /*v265*/
	v_bitop3_b16 v12 /*v268*/, v8 /*v264*/, v10 /*v266*/, 0x1f00 bitop3:0xec
	s_set_vgpr_msb 0x41                     ;  msbs: dst=1 src0=1 src1=0 src2=0
	v_add_nc_u64_e32 v[8:9] /*v[264:265]*/, v[6:7] /*v[262:263]*/, v[232:233]
	v_add_nc_u64_e32 v[6:7] /*v[262:263]*/, v[6:7] /*v[262:263]*/, v[230:231]
	v_add_nc_u64_e32 v[10:11] /*v[266:267]*/, s[10:11], v[202:203]
	s_set_vgpr_msb 0                        ;  msbs: dst=0 src0=0 src1=0 src2=0
	v_pk_fma_f16 v40, v227, v36, v40
	v_pk_fma_f16 v44, v227, v32, v44
	s_set_vgpr_msb 4                        ;  msbs: dst=0 src0=0 src1=1 src2=0
	v_add_nc_u16 v227, 0xf000, v12 /*v268*/
	s_set_vgpr_msb 0                        ;  msbs: dst=0 src0=0 src1=0 src2=0
	v_pk_fma_f16 v41, v133, v36, v41
	s_set_vgpr_msb 0x41                     ;  msbs: dst=1 src0=1 src1=0 src2=0
	v_add_nc_u64_e32 v[12:13] /*v[268:269]*/, v[8:9] /*v[264:265]*/, v[188:189]
	v_add_nc_u64_e32 v[14:15] /*v[270:271]*/, v[6:7] /*v[262:263]*/, v[190:191]
	;; [unrolled: 1-line block ×3, first 2 shown]
	s_clause 0x5
	global_load_b32 v47 /*v303*/, v[12:13] /*v[268:269]*/, off offset:6
	global_load_b32 v48 /*v304*/, v[14:15] /*v[270:271]*/, off offset:6
	global_load_u16 v49 /*v305*/, v[16:17] /*v[272:273]*/, off
	global_load_b32 v50 /*v306*/, v[6:7] /*v[262:263]*/, off offset:2
	global_load_u16 v51 /*v307*/, v[6:7] /*v[262:263]*/, off
	global_load_b32 v52 /*v308*/, v[8:9] /*v[264:265]*/, off offset:2
	s_wait_xcnt 0x1
	s_set_vgpr_msb 0x44                     ;  msbs: dst=1 src0=0 src1=1 src2=0
	v_lshrrev_b32_e32 v7 /*v263*/, v254, v24 /*v280*/
	s_wait_loadcnt 0x15
	s_set_vgpr_msb 0x45                     ;  msbs: dst=1 src0=1 src1=1 src2=0
	v_dual_lshrrev_b32 v12 /*v268*/, v3 /*v259*/, v24 /*v280*/ :: v_dual_ashrrev_i32 v14 /*v270*/, v2 /*v258*/, v27 /*v283*/
	v_lshlrev_b16 v31 /*v287*/, 8, v25 /*v281*/
	v_and_b32_e32 v25 /*v281*/, 0x1f00, v25 /*v281*/
	s_set_vgpr_msb 64                       ;  msbs: dst=1 src0=0 src1=0 src2=0
	v_lshrrev_b32_e32 v35 /*v291*/, 8, v227
	s_set_vgpr_msb 0x44                     ;  msbs: dst=1 src0=0 src1=1 src2=0
	v_dual_lshlrev_b32 v7 /*v263*/, 4, v7 /*v263*/ :: v_dual_lshlrev_b32 v12 /*v268*/, 12, v12 /*v268*/
	s_set_vgpr_msb 0                        ;  msbs: dst=0 src0=0 src1=0 src2=0
	v_bfe_i32 v227, v227, 0, 8
	s_set_vgpr_msb 0x44                     ;  msbs: dst=1 src0=0 src1=1 src2=0
	v_add_nc_u16 v6 /*v262*/, 0xf000, v25 /*v281*/
	s_set_vgpr_msb 0x41                     ;  msbs: dst=1 src0=1 src1=0 src2=0
	v_bfe_i32 v13 /*v269*/, v35 /*v291*/, 0, 8
	s_set_vgpr_msb 0x44                     ;  msbs: dst=1 src0=0 src1=1 src2=0
	v_and_b32_e32 v14 /*v270*/, 0xf0f0f0f, v14 /*v270*/
	v_and_b32_e32 v7 /*v263*/, 16, v7 /*v263*/
	;; [unrolled: 1-line block ×3, first 2 shown]
	v_add_nc_u16 v31 /*v287*/, 0xf000, v31 /*v287*/
	s_set_vgpr_msb 0                        ;  msbs: dst=0 src0=0 src1=0 src2=0
	v_cvt_f16_i16_e64 v227, v227
	s_set_vgpr_msb 0x41                     ;  msbs: dst=1 src0=1 src1=0 src2=0
	v_cvt_f16_i16_e64 v13 /*v269*/, v13 /*v269*/
	s_set_vgpr_msb 0x55                     ;  msbs: dst=1 src0=1 src1=1 src2=1
	v_lshrrev_b32_e32 v6 /*v262*/, 8, v6 /*v262*/
	v_or3_b32 v7 /*v263*/, v7 /*v263*/, v14 /*v270*/, v12 /*v268*/
	v_mul_u32_u24_e32 v15 /*v271*/, 0x10001, v37 /*v293*/
	s_set_vgpr_msb 0                        ;  msbs: dst=0 src0=0 src1=0 src2=0
	v_pk_fma_f16 v45, v133, v32, v45
	s_set_vgpr_msb 4                        ;  msbs: dst=0 src0=0 src1=1 src2=0
	v_pack_b32_f16 v227, v227, v13 /*v269*/
	s_set_vgpr_msb 0x44                     ;  msbs: dst=1 src0=0 src1=1 src2=0
	v_ashrrev_i16 v13 /*v269*/, 8, v31 /*v287*/
	s_set_vgpr_msb 0x41                     ;  msbs: dst=1 src0=1 src1=0 src2=0
	v_bfe_i32 v6 /*v262*/, v6 /*v262*/, 0, 8
	s_set_vgpr_msb 0x45                     ;  msbs: dst=1 src0=1 src1=1 src2=0
	v_lshlrev_b16 v25 /*v281*/, 8, v7 /*v263*/
	v_dual_lshrrev_b32 v12 /*v268*/, v4 /*v260*/, v24 /*v280*/ :: v_dual_lshrrev_b32 v24 /*v280*/, v5 /*v261*/, v24 /*v280*/
	v_cvt_f16_i16_e64 v13 /*v269*/, v13 /*v269*/
	v_cvt_f16_i16_e64 v6 /*v262*/, v6 /*v262*/
	s_delay_alu instid0(VALU_DEP_4)
	v_add_nc_u16 v25 /*v281*/, 0xf000, v25 /*v281*/
	s_set_vgpr_msb 4                        ;  msbs: dst=0 src0=0 src1=1 src2=0
	v_pk_mul_f16 v227, v227, v15 /*v271*/
	s_set_vgpr_msb 0x45                     ;  msbs: dst=1 src0=1 src1=1 src2=0
	v_lshlrev_b32_e32 v12 /*v268*/, 20, v12 /*v268*/
	v_lshlrev_b32_e32 v24 /*v280*/, 28, v24 /*v280*/
	v_pack_b32_f16 v6 /*v262*/, v13 /*v269*/, v6 /*v262*/
	s_set_vgpr_msb 4                        ;  msbs: dst=0 src0=0 src1=1 src2=0
	v_lshrrev_b16 v133, 8, v25 /*v281*/
	s_set_vgpr_msb 0                        ;  msbs: dst=0 src0=0 src1=0 src2=0
	v_pk_fma_f16 v42, v227, v36, v42
	v_pk_fma_f16 v46, v227, v32, v46
	s_set_vgpr_msb 0x45                     ;  msbs: dst=1 src0=1 src1=1 src2=0
	v_and_b32_e32 v13 /*v269*/, 0x10000000, v24 /*v280*/
	v_pk_mul_f16 v6 /*v262*/, v6 /*v262*/, v15 /*v271*/
	s_set_vgpr_msb 1                        ;  msbs: dst=0 src0=1 src1=0 src2=0
	v_bitop3_b16 v133, v7 /*v263*/, v133, 0x1f00 bitop3:0xec
	v_mul_u32_u24_e32 v34, 0x10001, v34
	v_lshrrev_b32_e32 v227, 16, v35
	v_and_b32_e32 v35, 0xffff, v35
	v_pk_fma_f16 v43, v6 /*v262*/, v36, v43
	v_add_nc_u16 v36, 0xf000, v133
	v_pk_fma_f16 v47, v6 /*v262*/, v32, v47
	s_wait_loadcnt 0x12
	s_set_vgpr_msb 0x44                     ;  msbs: dst=1 src0=0 src1=1 src2=0
	v_lshrrev_b32_e32 v6 /*v262*/, v254, v26 /*v282*/
	v_and_b32_e32 v12 /*v268*/, 0x100000, v12 /*v268*/
	s_set_vgpr_msb 64                       ;  msbs: dst=1 src0=0 src1=0 src2=0
	ds_store_b128 v239, v[40:43]
	ds_store_b128 v239, v[44:47] offset:16
	v_lshrrev_b32_e32 v7 /*v263*/, 8, v36
	s_set_vgpr_msb 0                        ;  msbs: dst=0 src0=0 src1=0 src2=0
	v_bfe_i32 v36, v36, 0, 8
	s_set_vgpr_msb 0x55                     ;  msbs: dst=1 src0=1 src1=1 src2=1
	v_or3_b32 v12 /*v268*/, v14 /*v270*/, v12 /*v268*/, v13 /*v269*/
	s_clause 0x1
	global_load_b32 v14 /*v270*/, v[16:17] /*v[272:273]*/, off offset:2
	global_load_u16 v15 /*v271*/, v[8:9] /*v[264:265]*/, off
	v_bfe_i32 v7 /*v263*/, v7 /*v263*/, 0, 8
	s_set_vgpr_msb 4                        ;  msbs: dst=0 src0=0 src1=1 src2=0
	v_cvt_f16_i16_e32 v36, v36
	v_lshrrev_b32_e32 v32, 16, v12 /*v268*/
	s_set_vgpr_msb 0x45                     ;  msbs: dst=1 src0=1 src1=1 src2=0
	v_lshrrev_b32_e32 v12 /*v268*/, v3 /*v259*/, v26 /*v282*/
	v_ashrrev_i32_e32 v13 /*v269*/, v2 /*v258*/, v22 /*v278*/
	v_cvt_f16_i16_e64 v7 /*v263*/, v7 /*v263*/
	v_mul_u32_u24_e32 v22 /*v278*/, 0x10001, v44 /*v300*/
	s_set_vgpr_msb 0                        ;  msbs: dst=0 src0=0 src1=0 src2=0
	v_lshlrev_b16 v133, 8, v32
	v_and_b32_e32 v32, 0x1f00, v32
	s_wait_xcnt 0x0
	s_set_vgpr_msb 0x44                     ;  msbs: dst=1 src0=0 src1=1 src2=0
	v_lshlrev_b32_e32 v8 /*v264*/, 12, v12 /*v268*/
	s_set_vgpr_msb 4                        ;  msbs: dst=0 src0=0 src1=1 src2=0
	v_pack_b32_f16 v36, v36, v7 /*v263*/
	s_set_vgpr_msb 0x45                     ;  msbs: dst=1 src0=1 src1=1 src2=0
	v_lshrrev_b32_e32 v7 /*v263*/, v4 /*v260*/, v26 /*v282*/
	v_lshlrev_b32_e32 v6 /*v262*/, 4, v6 /*v262*/
	v_and_b32_e32 v9 /*v265*/, 0xf0f0f0f, v13 /*v269*/
	v_and_b32_e32 v8 /*v264*/, 0x1000, v8 /*v264*/
	s_set_vgpr_msb 0                        ;  msbs: dst=0 src0=0 src1=0 src2=0
	v_add_nc_u16 v32, 0xf000, v32
	s_set_vgpr_msb 0x44                     ;  msbs: dst=1 src0=0 src1=1 src2=0
	v_dual_lshlrev_b32 v7 /*v263*/, 20, v7 /*v263*/ :: v_dual_bitop2_b32 v6 /*v262*/, 16, v6 /*v262*/ bitop3:0x40
	s_set_vgpr_msb 0                        ;  msbs: dst=0 src0=0 src1=0 src2=0
	v_add_nc_u16 v133, 0xf000, v133
	s_set_vgpr_msb 0x44                     ;  msbs: dst=1 src0=0 src1=1 src2=0
	v_mul_u32_u24_e32 v12 /*v268*/, 0x10001, v34 /*v290*/
	s_set_vgpr_msb 0                        ;  msbs: dst=0 src0=0 src1=0 src2=0
	v_lshrrev_b32_e32 v32, 8, v32
	s_set_vgpr_msb 0x55                     ;  msbs: dst=1 src0=1 src1=1 src2=1
	v_and_b32_e32 v7 /*v263*/, 0x100000, v7 /*v263*/
	v_or3_b32 v6 /*v262*/, v6 /*v262*/, v9 /*v265*/, v8 /*v264*/
	v_lshrrev_b32_e32 v8 /*v264*/, v5 /*v261*/, v26 /*v282*/
	s_set_vgpr_msb 0                        ;  msbs: dst=0 src0=0 src1=0 src2=0
	v_ashrrev_i16 v133, 8, v133
	v_bfe_i32 v32, v32, 0, 8
	s_set_vgpr_msb 4                        ;  msbs: dst=0 src0=0 src1=1 src2=0
	v_pk_mul_f16 v36, v36, v12 /*v268*/
	s_set_vgpr_msb 0x44                     ;  msbs: dst=1 src0=0 src1=1 src2=0
	v_lshlrev_b16 v13 /*v269*/, 8, v6 /*v262*/
	v_lshlrev_b32_e32 v8 /*v264*/, 28, v8 /*v264*/
	s_set_vgpr_msb 4                        ;  msbs: dst=0 src0=0 src1=1 src2=0
	v_cvt_f16_i16_e64 v133, v133
	v_cvt_f16_i16_e32 v32, v32
	v_pk_fma_f16 v40, v36, v18 /*v274*/, v40
	s_set_vgpr_msb 0x44                     ;  msbs: dst=1 src0=0 src1=1 src2=0
	v_add_nc_u16 v13 /*v269*/, 0xf000, v13 /*v269*/
	v_and_b32_e32 v8 /*v264*/, 0x10000000, v8 /*v264*/
	s_set_vgpr_msb 4                        ;  msbs: dst=0 src0=0 src1=1 src2=0
	v_pk_fma_f16 v44, v36, v22 /*v278*/, v44
	s_set_vgpr_msb 0                        ;  msbs: dst=0 src0=0 src1=0 src2=0
	v_pack_b32_f16 v32, v133, v32
	s_set_vgpr_msb 0x44                     ;  msbs: dst=1 src0=0 src1=1 src2=0
	v_lshrrev_b16 v13 /*v269*/, 8, v13 /*v269*/
	s_set_vgpr_msb 21                       ;  msbs: dst=0 src0=1 src1=1 src2=1
	v_or3_b32 v133, v9 /*v265*/, v7 /*v263*/, v8 /*v264*/
	s_set_vgpr_msb 4                        ;  msbs: dst=0 src0=0 src1=1 src2=0
	v_pk_mul_f16 v32, v32, v12 /*v268*/
	s_set_vgpr_msb 0x45                     ;  msbs: dst=1 src0=1 src1=1 src2=0
	v_bitop3_b16 v6 /*v262*/, v6 /*v262*/, v13 /*v269*/, 0x1f00 bitop3:0xec
	s_set_vgpr_msb 0                        ;  msbs: dst=0 src0=0 src1=0 src2=0
	v_lshrrev_b32_e32 v133, 16, v133
	s_set_vgpr_msb 4                        ;  msbs: dst=0 src0=0 src1=1 src2=0
	v_pk_fma_f16 v41, v32, v18 /*v274*/, v41
	v_pk_fma_f16 v45, v32, v22 /*v278*/, v45
	s_set_vgpr_msb 0x44                     ;  msbs: dst=1 src0=0 src1=1 src2=0
	v_add_nc_u16 v8 /*v264*/, 0xf000, v6 /*v262*/
	s_set_vgpr_msb 0                        ;  msbs: dst=0 src0=0 src1=0 src2=0
	v_and_b32_e32 v32, 0x1f00, v133
	s_set_vgpr_msb 0x41                     ;  msbs: dst=1 src0=1 src1=0 src2=0
	v_add_nc_u64_e32 v[6:7] /*v[262:263]*/, v[16:17] /*v[272:273]*/, v[188:189]
	s_set_vgpr_msb 4                        ;  msbs: dst=0 src0=0 src1=1 src2=0
	v_lshrrev_b32_e32 v36, 8, v8 /*v264*/
	s_set_vgpr_msb 0                        ;  msbs: dst=0 src0=0 src1=0 src2=0
	v_add_nc_u16 v32, 0xf000, v32
	s_wait_loadcnt 0x11
	s_set_vgpr_msb 0x45                     ;  msbs: dst=1 src0=1 src1=1 src2=0
	v_dual_lshrrev_b32 v26 /*v282*/, v4 /*v260*/, v33 /*v289*/ :: v_dual_lshrrev_b32 v27 /*v283*/, v5 /*v261*/, v33 /*v289*/
	global_load_b32 v16 /*v272*/, v[6:7] /*v[262:263]*/, off offset:6
	s_wait_xcnt 0x0
	v_bfe_i32 v6 /*v262*/, v8 /*v264*/, 0, 8
	s_set_vgpr_msb 0                        ;  msbs: dst=0 src0=0 src1=0 src2=0
	v_lshrrev_b32_e32 v32, 8, v32
	v_lshlrev_b16 v133, 8, v133
	s_set_vgpr_msb 0x45                     ;  msbs: dst=1 src0=1 src1=1 src2=0
	v_dual_lshrrev_b32 v7 /*v263*/, v3 /*v259*/, v33 /*v289*/ :: v_dual_ashrrev_i32 v8 /*v264*/, v2 /*v258*/, v30 /*v286*/
	v_cvt_f16_i16_e64 v12 /*v268*/, v6 /*v262*/
	s_set_vgpr_msb 0x44                     ;  msbs: dst=1 src0=0 src1=1 src2=0
	v_lshrrev_b32_e32 v6 /*v262*/, v254, v33 /*v289*/
	s_set_vgpr_msb 0                        ;  msbs: dst=0 src0=0 src1=0 src2=0
	v_add_nc_u16 v133, 0xf000, v133
	v_bfe_i32 v36, v36, 0, 8
	v_bfe_i32 v32, v32, 0, 8
	s_set_vgpr_msb 0x44                     ;  msbs: dst=1 src0=0 src1=1 src2=0
	v_dual_lshlrev_b32 v7 /*v263*/, 12, v7 /*v263*/ :: v_dual_lshlrev_b32 v6 /*v262*/, 4, v6 /*v262*/
	s_set_vgpr_msb 0                        ;  msbs: dst=0 src0=0 src1=0 src2=0
	v_ashrrev_i16 v133, 8, v133
	v_cvt_f16_i16_e32 v36, v36
	v_cvt_f16_i16_e32 v32, v32
	s_set_vgpr_msb 0x44                     ;  msbs: dst=1 src0=0 src1=1 src2=0
	v_and_b32_e32 v24 /*v280*/, 0xf0f0f0f, v8 /*v264*/
	v_and_b32_e32 v13 /*v269*/, 16, v6 /*v262*/
	s_set_vgpr_msb 0                        ;  msbs: dst=0 src0=0 src1=0 src2=0
	v_cvt_f16_i16_e64 v133, v133
	s_set_vgpr_msb 0x44                     ;  msbs: dst=1 src0=0 src1=1 src2=0
	v_and_b32_e32 v25 /*v281*/, 0x1000, v7 /*v263*/
	s_set_vgpr_msb 0x41                     ;  msbs: dst=1 src0=1 src1=0 src2=0
	v_add_nc_u64_e32 v[6:7] /*v[262:263]*/, v[10:11] /*v[266:267]*/, v[230:231]
	v_add_nc_u64_e32 v[8:9] /*v[264:265]*/, s[10:11], v[204:205]
	s_wait_loadcnt 0x11
	s_set_vgpr_msb 0x44                     ;  msbs: dst=1 src0=0 src1=1 src2=0
	v_mul_u32_u24_e32 v17 /*v273*/, 0x10001, v36 /*v292*/
	s_set_vgpr_msb 1                        ;  msbs: dst=0 src0=1 src1=0 src2=0
	v_pack_b32_f16 v36, v12 /*v268*/, v36
	s_set_vgpr_msb 0                        ;  msbs: dst=0 src0=0 src1=0 src2=0
	v_pack_b32_f16 v32, v133, v32
	s_set_vgpr_msb 21                       ;  msbs: dst=0 src0=1 src1=1 src2=1
	v_or3_b32 v133, v13 /*v269*/, v24 /*v280*/, v25 /*v281*/
	s_set_vgpr_msb 0x44                     ;  msbs: dst=1 src0=0 src1=1 src2=0
	v_dual_lshlrev_b32 v25 /*v281*/, 20, v26 /*v282*/ :: v_dual_lshlrev_b32 v26 /*v282*/, 28, v27 /*v283*/
	s_set_vgpr_msb 0x41                     ;  msbs: dst=1 src0=1 src1=0 src2=0
	v_add_nc_u64_e32 v[10:11] /*v[266:267]*/, v[6:7] /*v[262:263]*/, v[190:191]
	v_add_nc_u64_e32 v[12:13] /*v[268:269]*/, v[8:9] /*v[264:265]*/, v[232:233]
	s_set_vgpr_msb 4                        ;  msbs: dst=0 src0=0 src1=1 src2=0
	v_pk_mul_f16 v36, v36, v17 /*v273*/
	v_pk_mul_f16 v32, v32, v17 /*v273*/
	s_set_vgpr_msb 0x44                     ;  msbs: dst=1 src0=0 src1=1 src2=0
	v_and_b32_e32 v17 /*v273*/, 0x100000, v25 /*v281*/
	v_and_b32_e32 v25 /*v281*/, 0x10000000, v26 /*v282*/
	s_set_vgpr_msb 0x41                     ;  msbs: dst=1 src0=1 src1=0 src2=0
	v_lshlrev_b16 v26 /*v282*/, 8, v133
	s_clause 0x2
	global_load_b32 v27 /*v283*/, v[10:11] /*v[266:267]*/, off offset:6
	global_load_u16 v30 /*v286*/, v[12:13] /*v[268:269]*/, off
	global_load_b32 v31 /*v287*/, v[6:7] /*v[262:263]*/, off offset:2
	s_set_vgpr_msb 4                        ;  msbs: dst=0 src0=0 src1=1 src2=0
	v_pk_fma_f16 v42, v36, v18 /*v274*/, v42
	v_pk_fma_f16 v46, v36, v22 /*v278*/, v46
	s_wait_xcnt 0x2
	s_set_vgpr_msb 0x55                     ;  msbs: dst=1 src0=1 src1=1 src2=1
	v_or3_b32 v11 /*v267*/, v24 /*v280*/, v17 /*v273*/, v25 /*v281*/
	v_add_nc_u16 v10 /*v266*/, 0xf000, v26 /*v282*/
	s_set_vgpr_msb 4                        ;  msbs: dst=0 src0=0 src1=1 src2=0
	v_pk_fma_f16 v43, v32, v18 /*v274*/, v43
	v_pk_fma_f16 v47, v32, v22 /*v278*/, v47
	s_wait_loadcnt 0x13
	s_set_vgpr_msb 0x45                     ;  msbs: dst=1 src0=1 src1=1 src2=0
	v_ashrrev_i32_e32 v17 /*v273*/, v2 /*v258*/, v20 /*v276*/
	s_set_vgpr_msb 4                        ;  msbs: dst=0 src0=0 src1=1 src2=0
	v_lshrrev_b32_e32 v36, 16, v11 /*v267*/
	v_lshrrev_b16 v32, 8, v10 /*v266*/
	s_set_vgpr_msb 64                       ;  msbs: dst=1 src0=0 src1=0 src2=0
	v_mul_u32_u24_e32 v10 /*v266*/, 0x10001, v37
	s_wait_loadcnt 0xc
	s_set_vgpr_msb 4                        ;  msbs: dst=0 src0=0 src1=1 src2=0
	v_lshrrev_b32_e32 v37, v254, v43 /*v299*/
	s_set_vgpr_msb 0x45                     ;  msbs: dst=1 src0=1 src1=1 src2=0
	v_dual_lshrrev_b32 v11 /*v267*/, v3 /*v259*/, v43 /*v299*/ :: v_dual_lshrrev_b32 v22 /*v278*/, v5 /*v261*/, v43 /*v299*/
	v_ashrrev_i32_e32 v21 /*v277*/, v2 /*v258*/, v21 /*v277*/
	s_set_vgpr_msb 0                        ;  msbs: dst=0 src0=0 src1=0 src2=0
	v_bitop3_b16 v32, v133, v32, 0x1f00 bitop3:0xec
	v_lshlrev_b32_e32 v37, 4, v37
	s_set_vgpr_msb 0x44                     ;  msbs: dst=1 src0=0 src1=1 src2=0
	v_dual_lshlrev_b32 v11 /*v267*/, 12, v11 /*v267*/ :: v_dual_lshlrev_b32 v22 /*v278*/, 28, v22 /*v278*/
	s_set_vgpr_msb 0                        ;  msbs: dst=0 src0=0 src1=0 src2=0
	v_lshlrev_b16 v133, 8, v36
	v_and_b32_e32 v36, 0x1f00, v36
	s_set_vgpr_msb 0x44                     ;  msbs: dst=1 src0=0 src1=1 src2=0
	v_and_b32_e32 v17 /*v273*/, 0xf0f0f0f, v17 /*v273*/
	s_set_vgpr_msb 0                        ;  msbs: dst=0 src0=0 src1=0 src2=0
	v_and_b32_e32 v37, 16, v37
	s_set_vgpr_msb 0x44                     ;  msbs: dst=1 src0=0 src1=1 src2=0
	v_and_b32_e32 v11 /*v267*/, 0x1000, v11 /*v267*/
	s_set_vgpr_msb 0                        ;  msbs: dst=0 src0=0 src1=0 src2=0
	v_add_nc_u16 v32, 0xf000, v32
	v_add_nc_u16 v36, 0xf000, v36
	s_set_vgpr_msb 0x41                     ;  msbs: dst=1 src0=1 src1=0 src2=0
	v_add_nc_u64_e32 v[8:9] /*v[264:265]*/, v[8:9] /*v[264:265]*/, v[230:231]
	s_set_vgpr_msb 0                        ;  msbs: dst=0 src0=0 src1=0 src2=0
	ds_store_b128 v239, v[40:43]
	ds_store_b128 v239, v[44:47] offset:16
	s_set_vgpr_msb 0x54                     ;  msbs: dst=1 src0=0 src1=1 src2=1
	v_or3_b32 v11 /*v267*/, v37, v17 /*v273*/, v11 /*v267*/
	s_set_vgpr_msb 5                        ;  msbs: dst=0 src0=1 src1=1 src2=0
	v_lshrrev_b32_e32 v37, v4 /*v260*/, v43 /*v299*/
	s_set_vgpr_msb 64                       ;  msbs: dst=1 src0=0 src1=0 src2=0
	v_lshrrev_b32_e32 v18 /*v274*/, 8, v32
	v_lshrrev_b32_e32 v24 /*v280*/, 8, v36
	s_set_vgpr_msb 0x44                     ;  msbs: dst=1 src0=0 src1=1 src2=0
	v_mul_u32_u24_e32 v20 /*v276*/, 0x10001, v23 /*v279*/
	v_lshlrev_b16 v23 /*v279*/, 8, v11 /*v267*/
	s_set_vgpr_msb 64                       ;  msbs: dst=1 src0=0 src1=0 src2=0
	v_lshlrev_b32_e32 v25 /*v281*/, 20, v37
	s_set_vgpr_msb 1                        ;  msbs: dst=0 src0=1 src1=0 src2=0
	v_add_nc_u64_e32 v[36:37], v[12:13] /*v[268:269]*/, v[188:189]
	s_set_vgpr_msb 64                       ;  msbs: dst=1 src0=0 src1=0 src2=0
	s_clause 0x4
	global_load_b32 v26 /*v282*/, v[36:37], off offset:6
	s_set_vgpr_msb 0x41                     ;  msbs: dst=1 src0=1 src1=0 src2=0
	global_load_u16 v33 /*v289*/, v[8:9] /*v[264:265]*/, off
	global_load_b32 v34 /*v290*/, v[12:13] /*v[268:269]*/, off offset:2
	global_load_u16 v35 /*v291*/, v[6:7] /*v[262:263]*/, off
	s_set_vgpr_msb 0                        ;  msbs: dst=0 src0=0 src1=0 src2=0
	v_add_nc_u16 v133, 0xf000, v133
	s_set_vgpr_msb 0x44                     ;  msbs: dst=1 src0=0 src1=1 src2=0
	v_add_nc_u16 v23 /*v279*/, 0xf000, v23 /*v279*/
	s_set_vgpr_msb 0                        ;  msbs: dst=0 src0=0 src1=0 src2=0
	v_bfe_i32 v32, v32, 0, 8
	s_set_vgpr_msb 0x41                     ;  msbs: dst=1 src0=1 src1=0 src2=0
	v_bfe_i32 v18 /*v274*/, v18 /*v274*/, 0, 8
	v_bfe_i32 v24 /*v280*/, v24 /*v280*/, 0, 8
	s_set_vgpr_msb 0                        ;  msbs: dst=0 src0=0 src1=0 src2=0
	v_ashrrev_i16 v133, 8, v133
	s_set_vgpr_msb 0x44                     ;  msbs: dst=1 src0=0 src1=1 src2=0
	v_lshrrev_b16 v23 /*v279*/, 8, v23 /*v279*/
	s_set_vgpr_msb 0                        ;  msbs: dst=0 src0=0 src1=0 src2=0
	v_cvt_f16_i16_e32 v32, v32
	s_set_vgpr_msb 0x41                     ;  msbs: dst=1 src0=1 src1=0 src2=0
	v_cvt_f16_i16_e64 v18 /*v274*/, v18 /*v274*/
	s_set_vgpr_msb 0x44                     ;  msbs: dst=1 src0=0 src1=1 src2=0
	v_and_b32_e32 v25 /*v281*/, 0x100000, v25 /*v281*/
	v_and_b32_e32 v22 /*v278*/, 0x10000000, v22 /*v278*/
	s_set_vgpr_msb 0                        ;  msbs: dst=0 src0=0 src1=0 src2=0
	v_cvt_f16_i16_e64 v133, v133
	s_wait_xcnt 0x3
	s_set_vgpr_msb 5                        ;  msbs: dst=0 src0=1 src1=1 src2=0
	v_cvt_f16_i16_e64 v36, v24 /*v280*/
	v_bitop3_b16 v37, v11 /*v267*/, v23 /*v279*/, 0x1f00 bitop3:0xec
	s_set_vgpr_msb 4                        ;  msbs: dst=0 src0=0 src1=1 src2=0
	v_pack_b32_f16 v32, v32, v18 /*v274*/
	s_wait_xcnt 0x0
	s_set_vgpr_msb 0x55                     ;  msbs: dst=1 src0=1 src1=1 src2=1
	v_or3_b32 v6 /*v262*/, v17 /*v273*/, v25 /*v281*/, v22 /*v278*/
	v_mul_u32_u24_e32 v17 /*v273*/, 0x10001, v32 /*v288*/
	s_set_vgpr_msb 0                        ;  msbs: dst=0 src0=0 src1=0 src2=0
	v_pack_b32_f16 v36, v133, v36
	v_add_nc_u16 v37, 0xf000, v37
	s_set_vgpr_msb 4                        ;  msbs: dst=0 src0=0 src1=1 src2=0
	v_pk_mul_f16 v32, v32, v20 /*v276*/
	s_set_vgpr_msb 0                        ;  msbs: dst=0 src0=0 src1=0 src2=0
	v_mul_u32_u24_e32 v133, 0x10001, v33
	s_set_vgpr_msb 4                        ;  msbs: dst=0 src0=0 src1=1 src2=0
	v_lshrrev_b32_e32 v33, 16, v6 /*v262*/
	s_set_vgpr_msb 0x44                     ;  msbs: dst=1 src0=0 src1=1 src2=0
	v_pk_mul_f16 v11 /*v267*/, v36, v20 /*v276*/
	s_set_vgpr_msb 0                        ;  msbs: dst=0 src0=0 src1=0 src2=0
	v_lshrrev_b32_e32 v36, 8, v37
	s_set_vgpr_msb 4                        ;  msbs: dst=0 src0=0 src1=1 src2=0
	v_pk_fma_f16 v40, v32, v10 /*v266*/, v40
	s_set_vgpr_msb 0                        ;  msbs: dst=0 src0=0 src1=0 src2=0
	v_pk_fma_f16 v44, v32, v133, v44
	s_set_vgpr_msb 64                       ;  msbs: dst=1 src0=0 src1=0 src2=0
	v_lshlrev_b16 v6 /*v262*/, 8, v33
	v_and_b32_e32 v7 /*v263*/, 0x1f00, v33
	s_set_vgpr_msb 0                        ;  msbs: dst=0 src0=0 src1=0 src2=0
	v_add_nc_u64_e32 v[32:33], s[10:11], v[206:207]
	v_bfe_i32 v37, v37, 0, 8
	v_bfe_i32 v36, v36, 0, 8
	s_set_vgpr_msb 0x45                     ;  msbs: dst=1 src0=1 src1=1 src2=0
	v_add_nc_u16 v12 /*v268*/, 0xf000, v6 /*v262*/
	v_add_nc_u16 v13 /*v269*/, 0xf000, v7 /*v263*/
	v_lshrrev_b32_e32 v22 /*v278*/, v3 /*v259*/, v41 /*v297*/
	s_set_vgpr_msb 64                       ;  msbs: dst=1 src0=0 src1=0 src2=0
	v_cvt_f16_i16_e64 v6 /*v262*/, v37
	v_cvt_f16_i16_e64 v7 /*v263*/, v36
	s_set_vgpr_msb 0                        ;  msbs: dst=0 src0=0 src1=0 src2=0
	v_add_nc_u64_e32 v[36:37], v[32:33], v[232:233]
	v_add_nc_u64_e32 v[32:33], v[32:33], v[230:231]
	s_set_vgpr_msb 1                        ;  msbs: dst=0 src0=1 src1=0 src2=0
	v_add_nc_u64_e32 v[230:231], v[8:9] /*v[264:265]*/, v[190:191]
	s_set_vgpr_msb 0x44                     ;  msbs: dst=1 src0=0 src1=1 src2=0
	v_dual_lshrrev_b32 v18 /*v274*/, v254, v41 /*v297*/ :: v_dual_lshlrev_b32 v22 /*v278*/, 12, v22 /*v278*/
	s_set_vgpr_msb 0x45                     ;  msbs: dst=1 src0=1 src1=1 src2=0
	v_pack_b32_f16 v20 /*v276*/, v6 /*v262*/, v7 /*v263*/
	v_lshrrev_b32_e32 v13 /*v269*/, 8, v13 /*v269*/
	s_set_vgpr_msb 0                        ;  msbs: dst=0 src0=0 src1=0 src2=0
	v_add_nc_u64_e32 v[232:233], v[36:37], v[188:189]
	s_set_vgpr_msb 64                       ;  msbs: dst=1 src0=0 src1=0 src2=0
	v_add_nc_u64_e32 v[6:7] /*v[262:263]*/, v[32:33], v[190:191]
	s_clause 0xa
	global_load_b32 v23 /*v279*/, v[230:231], off offset:6
	global_load_b32 v24 /*v280*/, v[232:233], off offset:6
	s_set_vgpr_msb 0x41                     ;  msbs: dst=1 src0=1 src1=0 src2=0
	global_load_b32 v25 /*v281*/, v[6:7] /*v[262:263]*/, off offset:6
	s_set_vgpr_msb 64                       ;  msbs: dst=1 src0=0 src1=0 src2=0
	global_load_b32 v32 /*v288*/, v[32:33], off offset:2
	global_load_u16 v36 /*v292*/, v[32:33], off
	global_load_b32 v37 /*v293*/, v[36:37], off offset:2
	global_load_u16 v43 /*v299*/, v[36:37], off
	s_set_vgpr_msb 0x41                     ;  msbs: dst=1 src0=1 src1=0 src2=0
	global_load_b32 v44 /*v300*/, v[8:9] /*v[264:265]*/, off offset:2
	s_set_vgpr_msb 0x44                     ;  msbs: dst=1 src0=0 src1=1 src2=0
	v_lshlrev_b32_e32 v18 /*v274*/, 4, v18 /*v274*/
	v_and_b32_e32 v21 /*v277*/, 0xf0f0f0f, v21 /*v277*/
	s_wait_xcnt 0x3
	s_set_vgpr_msb 5                        ;  msbs: dst=0 src0=1 src1=1 src2=0
	v_and_b32_e32 v33, 0x1000, v22 /*v278*/
	s_wait_xcnt 0x1
	v_dual_lshrrev_b32 v32, v4 /*v260*/, v41 /*v297*/ :: v_dual_lshrrev_b32 v36, v5 /*v261*/, v41 /*v297*/
	s_set_vgpr_msb 0x44                     ;  msbs: dst=1 src0=0 src1=1 src2=0
	v_and_b32_e32 v18 /*v274*/, 16, v18 /*v274*/
	s_set_vgpr_msb 4                        ;  msbs: dst=0 src0=0 src1=1 src2=0
	v_ashrrev_i16 v37, 8, v12 /*v268*/
	s_set_vgpr_msb 1                        ;  msbs: dst=0 src0=1 src1=0 src2=0
	v_bfe_i32 v230, v13 /*v269*/, 0, 8
	v_lshlrev_b32_e32 v32, 20, v32
	v_lshlrev_b32_e32 v36, 28, v36
	s_set_vgpr_msb 5                        ;  msbs: dst=0 src0=1 src1=1 src2=0
	v_or3_b32 v33, v18 /*v274*/, v21 /*v277*/, v33
	s_set_vgpr_msb 0                        ;  msbs: dst=0 src0=0 src1=0 src2=0
	v_cvt_f16_i16_e32 v37, v37
	v_cvt_f16_i16_e64 v230, v230
	v_and_b32_e32 v32, 0x100000, v32
	v_and_b32_e32 v36, 0x10000000, v36
	v_lshlrev_b16 v231, 8, v33
	s_set_vgpr_msb 1                        ;  msbs: dst=0 src0=1 src1=0 src2=0
	v_pk_fma_f16 v45, v11 /*v267*/, v133, v45
	s_set_vgpr_msb 0                        ;  msbs: dst=0 src0=0 src1=0 src2=0
	v_pack_b32_f16 v37, v37, v230
	s_set_vgpr_msb 5                        ;  msbs: dst=0 src0=1 src1=1 src2=0
	v_pk_mul_f16 v230, v20 /*v276*/, v17 /*v273*/
	s_set_vgpr_msb 1                        ;  msbs: dst=0 src0=1 src1=0 src2=0
	v_or3_b32 v32, v21 /*v277*/, v32, v36
	v_add_nc_u16 v231, 0xf000, v231
	s_set_vgpr_msb 0x45                     ;  msbs: dst=1 src0=1 src1=1 src2=0
	v_lshrrev_b32_e32 v6 /*v262*/, v5 /*v261*/, v39 /*v295*/
	s_set_vgpr_msb 4                        ;  msbs: dst=0 src0=0 src1=1 src2=0
	v_pk_mul_f16 v36, v37, v17 /*v273*/
	s_set_vgpr_msb 0                        ;  msbs: dst=0 src0=0 src1=0 src2=0
	v_pk_fma_f16 v46, v230, v133, v46
	v_lshrrev_b32_e32 v32, 16, v32
	v_lshrrev_b16 v37, 8, v231
	s_set_vgpr_msb 5                        ;  msbs: dst=0 src0=1 src1=1 src2=0
	v_dual_ashrrev_i32 v232, v2 /*v258*/, v28 /*v284*/ :: v_dual_lshrrev_b32 v233, v4 /*v260*/, v39 /*v295*/
	s_set_vgpr_msb 0                        ;  msbs: dst=0 src0=0 src1=0 src2=0
	v_pk_fma_f16 v47, v36, v133, v47
	s_set_vgpr_msb 5                        ;  msbs: dst=0 src0=1 src1=1 src2=0
	v_lshrrev_b32_e32 v133, v3 /*v259*/, v39 /*v295*/
	s_set_vgpr_msb 0                        ;  msbs: dst=0 src0=0 src1=0 src2=0
	v_bitop3_b16 v33, v33, v37, 0x1f00 bitop3:0xec
	s_set_vgpr_msb 4                        ;  msbs: dst=0 src0=0 src1=1 src2=0
	v_pk_fma_f16 v43, v36, v10 /*v266*/, v43
	s_set_vgpr_msb 0                        ;  msbs: dst=0 src0=0 src1=0 src2=0
	v_lshlrev_b16 v36, 8, v32
	v_and_b32_e32 v32, 0x1f00, v32
	v_lshlrev_b32_e32 v133, 12, v133
	v_add_nc_u16 v33, 0xf000, v33
	v_and_b32_e32 v232, 0xf0f0f0f, v232
	v_add_nc_u16 v36, 0xf000, v36
	v_add_nc_u16 v32, 0xf000, v32
	v_and_b32_e32 v133, 0x1000, v133
	v_lshrrev_b32_e32 v231, 8, v33
	v_bfe_i32 v33, v33, 0, 8
	v_ashrrev_i16 v36, 8, v36
	v_lshrrev_b32_e32 v32, 8, v32
	s_set_vgpr_msb 4                        ;  msbs: dst=0 src0=0 src1=1 src2=0
	v_pk_fma_f16 v42, v230, v10 /*v266*/, v42
	v_bfe_i32 v231, v231, 0, 8
	v_cvt_f16_i16_e32 v33, v33
	v_cvt_f16_i16_e32 v36, v36
	v_bfe_i32 v32, v32, 0, 8
	v_mul_u32_u24_e32 v230, 0x10001, v42 /*v298*/
	v_cvt_f16_i16_e64 v231, v231
	s_set_vgpr_msb 5                        ;  msbs: dst=0 src0=1 src1=1 src2=0
	v_pk_fma_f16 v41, v11 /*v267*/, v10 /*v266*/, v41
	s_set_vgpr_msb 0                        ;  msbs: dst=0 src0=0 src1=0 src2=0
	ds_store_b128 v239, v[40:43]
	ds_store_b128 v239, v[44:47] offset:16
	v_cvt_f16_i16_e32 v32, v32
	v_pack_b32_f16 v33, v33, v231
	s_set_vgpr_msb 4                        ;  msbs: dst=0 src0=0 src1=1 src2=0
	v_mul_u32_u24_e32 v231, 0x10001, v19 /*v275*/
	s_add_nc_u64 s[10:11], s[10:11], s[18:19]
	s_set_vgpr_msb 0                        ;  msbs: dst=0 src0=0 src1=0 src2=0
	v_pack_b32_f16 v32, v36, v32
	v_pk_mul_f16 v33, v33, v230
	s_delay_alu instid0(VALU_DEP_2) | instskip(NEXT) | instid1(VALU_DEP_2)
	v_pk_mul_f16 v32, v32, v230
	v_pk_fma_f16 v40, v33, v231, v40
	s_delay_alu instid0(VALU_DEP_2)
	v_pk_fma_f16 v41, v32, v231, v41
	s_wait_loadcnt 0x12
	s_wait_xcnt 0x0
	s_set_vgpr_msb 0x45                     ;  msbs: dst=1 src0=1 src1=1 src2=0
	v_dual_ashrrev_i32 v7 /*v263*/, v2 /*v258*/, v47 /*v303*/ :: v_dual_lshrrev_b32 v8 /*v264*/, v4 /*v260*/, v52 /*v308*/
	s_set_vgpr_msb 4                        ;  msbs: dst=0 src0=0 src1=1 src2=0
	v_lshrrev_b32_e32 v37, v254, v39 /*v295*/
	s_set_vgpr_msb 0x45                     ;  msbs: dst=1 src0=1 src1=1 src2=0
	s_delay_alu instid0(VALU_DEP_2) | instskip(SKIP_3) | instid1(VALU_DEP_1)
	v_and_b32_e32 v7 /*v263*/, 0xf0f0f0f, v7 /*v263*/
	v_lshrrev_b32_e32 v9 /*v265*/, v5 /*v261*/, v52 /*v308*/
	s_set_vgpr_msb 0                        ;  msbs: dst=0 src0=0 src1=0 src2=0
	v_lshlrev_b32_e32 v37, 4, v37
	v_and_b32_e32 v37, 16, v37
	s_delay_alu instid0(VALU_DEP_1)
	v_or3_b32 v37, v37, v232, v133
	v_lshlrev_b32_e32 v133, 20, v233
	s_set_vgpr_msb 4                        ;  msbs: dst=0 src0=0 src1=1 src2=0
	v_lshlrev_b32_e32 v233, 28, v6 /*v262*/
	s_set_vgpr_msb 64                       ;  msbs: dst=1 src0=0 src1=0 src2=0
	v_lshlrev_b16 v6 /*v262*/, 8, v37
	s_set_vgpr_msb 0                        ;  msbs: dst=0 src0=0 src1=0 src2=0
	v_and_b32_e32 v133, 0x100000, v133
	v_and_b32_e32 v233, 0x10000000, v233
	s_set_vgpr_msb 0x44                     ;  msbs: dst=1 src0=0 src1=1 src2=0
	v_add_nc_u16 v6 /*v262*/, 0xf000, v6 /*v262*/
	s_set_vgpr_msb 0                        ;  msbs: dst=0 src0=0 src1=0 src2=0
	s_delay_alu instid0(VALU_DEP_2)
	v_or3_b32 v133, v232, v133, v233
	s_set_vgpr_msb 4                        ;  msbs: dst=0 src0=0 src1=1 src2=0
	v_lshrrev_b32_e32 v233, v254, v52 /*v308*/
	v_lshrrev_b16 v232, 8, v6 /*v262*/
	s_set_vgpr_msb 0x45                     ;  msbs: dst=1 src0=1 src1=1 src2=0
	v_lshrrev_b32_e32 v6 /*v262*/, v3 /*v259*/, v52 /*v308*/
	s_set_vgpr_msb 0                        ;  msbs: dst=0 src0=0 src1=0 src2=0
	v_lshrrev_b32_e32 v36, 16, v133
	s_set_vgpr_msb 4                        ;  msbs: dst=0 src0=0 src1=1 src2=0
	v_mul_u32_u24_e32 v133, 0x10001, v45 /*v301*/
	s_set_vgpr_msb 0                        ;  msbs: dst=0 src0=0 src1=0 src2=0
	v_lshlrev_b32_e32 v233, 4, v233
	v_bitop3_b16 v37, v37, v232, 0x1f00 bitop3:0xec
	s_set_vgpr_msb 0x44                     ;  msbs: dst=1 src0=0 src1=1 src2=0
	v_lshlrev_b32_e32 v6 /*v262*/, 12, v6 /*v262*/
	s_set_vgpr_msb 0                        ;  msbs: dst=0 src0=0 src1=0 src2=0
	v_lshlrev_b16 v230, 8, v36
	v_and_b32_e32 v36, 0x1f00, v36
	v_pk_fma_f16 v44, v33, v133, v44
	v_and_b32_e32 v233, 16, v233
	s_set_vgpr_msb 0x44                     ;  msbs: dst=1 src0=0 src1=1 src2=0
	v_and_b32_e32 v6 /*v262*/, 0x1000, v6 /*v262*/
	s_set_vgpr_msb 0                        ;  msbs: dst=0 src0=0 src1=0 src2=0
	v_add_nc_u16 v33, 0xf000, v230
	v_add_nc_u16 v36, 0xf000, v36
	;; [unrolled: 1-line block ×3, first 2 shown]
	s_set_vgpr_msb 20                       ;  msbs: dst=0 src0=0 src1=1 src2=1
	v_mul_u32_u24_e32 v232, 0x10001, v40 /*v296*/
	v_or3_b32 v233, v233, v7 /*v263*/, v6 /*v262*/
	s_set_vgpr_msb 0                        ;  msbs: dst=0 src0=0 src1=0 src2=0
	v_ashrrev_i16 v33, 8, v33
	v_lshrrev_b32_e32 v36, 8, v36
	s_set_vgpr_msb 0x44                     ;  msbs: dst=1 src0=0 src1=1 src2=0
	v_dual_lshlrev_b32 v6 /*v262*/, 20, v8 /*v264*/ :: v_dual_lshlrev_b32 v8 /*v264*/, 28, v9 /*v265*/
	s_set_vgpr_msb 64                       ;  msbs: dst=1 src0=0 src1=0 src2=0
	v_lshlrev_b16 v9 /*v265*/, 8, v233
	s_set_vgpr_msb 0                        ;  msbs: dst=0 src0=0 src1=0 src2=0
	v_cvt_f16_i16_e32 v33, v33
	v_bfe_i32 v36, v36, 0, 8
	v_pk_fma_f16 v45, v32, v133, v45
	s_wait_loadcnt 0x11
	s_set_vgpr_msb 0x45                     ;  msbs: dst=1 src0=1 src1=1 src2=0
	v_lshrrev_b32_e32 v10 /*v266*/, v5 /*v261*/, v14 /*v270*/
	s_set_vgpr_msb 0                        ;  msbs: dst=0 src0=0 src1=0 src2=0
	v_cvt_f16_i16_e32 v36, v36
	s_delay_alu instid0(VALU_DEP_1)
	v_pack_b32_f16 v33, v33, v36
	s_set_vgpr_msb 4                        ;  msbs: dst=0 src0=0 src1=1 src2=0
	v_add_nc_u16 v36, 0xf000, v9 /*v265*/
	s_set_vgpr_msb 0x45                     ;  msbs: dst=1 src0=1 src1=1 src2=0
	v_lshrrev_b32_e32 v9 /*v265*/, v4 /*v260*/, v14 /*v270*/
	s_set_vgpr_msb 0                        ;  msbs: dst=0 src0=0 src1=0 src2=0
	v_pk_mul_f16 v33, v33, v232
	v_lshrrev_b16 v36, 8, v36
	s_delay_alu instid0(VALU_DEP_2) | instskip(NEXT) | instid1(VALU_DEP_2)
	v_pk_fma_f16 v47, v33, v133, v47
	v_bitop3_b16 v36, v233, v36, 0x1f00 bitop3:0xec
	v_pk_fma_f16 v43, v33, v231, v43
	s_set_vgpr_msb 5                        ;  msbs: dst=0 src0=1 src1=1 src2=0
	v_lshrrev_b32_e32 v233, v5 /*v261*/, v50 /*v306*/
	s_set_vgpr_msb 0                        ;  msbs: dst=0 src0=0 src1=0 src2=0
	v_add_nc_u16 v36, 0xf000, v36
	v_lshrrev_b32_e32 v230, 8, v37
	v_bfe_i32 v37, v37, 0, 8
	v_lshlrev_b32_e32 v233, 28, v233
	s_delay_alu instid0(VALU_DEP_3) | instskip(NEXT) | instid1(VALU_DEP_3)
	v_bfe_i32 v230, v230, 0, 8
	v_cvt_f16_i16_e32 v37, v37
	s_delay_alu instid0(VALU_DEP_3) | instskip(NEXT) | instid1(VALU_DEP_3)
	v_and_b32_e32 v233, 0x10000000, v233
	v_cvt_f16_i16_e64 v230, v230
	s_delay_alu instid0(VALU_DEP_1)
	v_pack_b32_f16 v37, v37, v230
	s_set_vgpr_msb 4                        ;  msbs: dst=0 src0=0 src1=1 src2=0
	v_and_b32_e32 v230, 0x100000, v6 /*v262*/
	s_set_vgpr_msb 0x44                     ;  msbs: dst=1 src0=0 src1=1 src2=0
	v_and_b32_e32 v6 /*v262*/, 0x10000000, v8 /*v264*/
	s_set_vgpr_msb 0                        ;  msbs: dst=0 src0=0 src1=0 src2=0
	v_pk_mul_f16 v37, v37, v232
	s_wait_loadcnt 0x10
	s_set_vgpr_msb 4                        ;  msbs: dst=0 src0=0 src1=1 src2=0
	v_mul_u32_u24_e32 v232, 0x10001, v15 /*v271*/
	s_set_vgpr_msb 17                       ;  msbs: dst=0 src0=1 src1=0 src2=1
	v_or3_b32 v32, v7 /*v263*/, v230, v6 /*v262*/
	s_set_vgpr_msb 5                        ;  msbs: dst=0 src0=1 src1=1 src2=0
	v_ashrrev_i32_e32 v230, v2 /*v258*/, v48 /*v304*/
	s_set_vgpr_msb 0x45                     ;  msbs: dst=1 src0=1 src1=1 src2=0
	v_lshrrev_b32_e32 v7 /*v263*/, v3 /*v259*/, v14 /*v270*/
	s_set_vgpr_msb 0                        ;  msbs: dst=0 src0=0 src1=0 src2=0
	v_pk_fma_f16 v42, v37, v231, v42
	v_pk_fma_f16 v46, v37, v133, v46
	v_and_b32_e32 v37, 0xffff, v38
	s_set_vgpr_msb 4                        ;  msbs: dst=0 src0=0 src1=1 src2=0
	v_lshrrev_b32_e32 v38, v254, v50 /*v306*/
	s_set_vgpr_msb 5                        ;  msbs: dst=0 src0=1 src1=1 src2=0
	v_lshrrev_b32_e32 v133, v3 /*v259*/, v50 /*v306*/
	s_set_vgpr_msb 0                        ;  msbs: dst=0 src0=0 src1=0 src2=0
	v_lshrrev_b32_e32 v32, 16, v32
	v_and_b32_e32 v230, 0xf0f0f0f, v230
	v_dual_lshrrev_b32 v231, 8, v36 :: v_dual_lshlrev_b32 v38, 4, v38
	v_lshlrev_b32_e32 v133, 12, v133
	s_delay_alu instid0(VALU_DEP_4)
	v_lshlrev_b16 v33, 8, v32
	v_and_b32_e32 v32, 0x1f00, v32
	v_bfe_i32 v36, v36, 0, 8
	v_and_b32_e32 v38, 16, v38
	v_and_b32_e32 v133, 0x1000, v133
	v_add_nc_u16 v33, 0xf000, v33
	v_add_nc_u16 v32, 0xf000, v32
	v_bfe_i32 v231, v231, 0, 8
	s_wait_loadcnt 0xf
	s_set_vgpr_msb 0x45                     ;  msbs: dst=1 src0=1 src1=1 src2=0
	v_ashrrev_i32_e32 v8 /*v264*/, v2 /*v258*/, v16 /*v272*/
	s_set_vgpr_msb 0                        ;  msbs: dst=0 src0=0 src1=0 src2=0
	v_or3_b32 v38, v38, v230, v133
	s_set_vgpr_msb 5                        ;  msbs: dst=0 src0=1 src1=1 src2=0
	v_lshrrev_b32_e32 v133, v4 /*v260*/, v50 /*v306*/
	s_set_vgpr_msb 0                        ;  msbs: dst=0 src0=0 src1=0 src2=0
	v_lshrrev_b32_e32 v32, 8, v32
	v_ashrrev_i16 v33, 8, v33
	s_set_vgpr_msb 0x44                     ;  msbs: dst=1 src0=0 src1=1 src2=0
	v_lshlrev_b32_e32 v7 /*v263*/, 12, v7 /*v263*/
	s_set_vgpr_msb 64                       ;  msbs: dst=1 src0=0 src1=0 src2=0
	v_lshlrev_b16 v6 /*v262*/, 8, v38
	s_set_vgpr_msb 0                        ;  msbs: dst=0 src0=0 src1=0 src2=0
	v_lshlrev_b32_e32 v133, 20, v133
	v_bfe_i32 v32, v32, 0, 8
	v_cvt_f16_i16_e32 v33, v33
	v_cvt_f16_i16_e32 v36, v36
	s_set_vgpr_msb 0x44                     ;  msbs: dst=1 src0=0 src1=1 src2=0
	v_add_nc_u16 v6 /*v262*/, 0xf000, v6 /*v262*/
	s_set_vgpr_msb 0                        ;  msbs: dst=0 src0=0 src1=0 src2=0
	v_and_b32_e32 v133, 0x100000, v133
	v_cvt_f16_i16_e32 v32, v32
	v_cvt_f16_i16_e64 v231, v231
	s_set_vgpr_msb 0x44                     ;  msbs: dst=1 src0=0 src1=1 src2=0
	v_and_b32_e32 v8 /*v264*/, 0xf0f0f0f, v8 /*v264*/
	v_lshrrev_b16 v6 /*v262*/, 8, v6 /*v262*/
	s_set_vgpr_msb 0                        ;  msbs: dst=0 src0=0 src1=0 src2=0
	v_or3_b32 v133, v230, v133, v233
	v_pack_b32_f16 v32, v33, v32
	s_set_vgpr_msb 4                        ;  msbs: dst=0 src0=0 src1=1 src2=0
	v_lshrrev_b32_e32 v233, v254, v14 /*v270*/
	s_set_vgpr_msb 0x44                     ;  msbs: dst=1 src0=0 src1=1 src2=0
	v_and_b32_e32 v7 /*v263*/, 0x1000, v7 /*v263*/
	s_set_vgpr_msb 4                        ;  msbs: dst=0 src0=0 src1=1 src2=0
	v_bitop3_b16 v33, v38, v6 /*v262*/, 0x1f00 bitop3:0xec
	s_set_vgpr_msb 0                        ;  msbs: dst=0 src0=0 src1=0 src2=0
	v_lshrrev_b32_e32 v38, 16, v133
	v_pack_b32_f16 v36, v36, v231
	v_lshlrev_b32_e32 v233, 4, v233
	v_mul_u32_u24_e32 v37, 0x10001, v37
	v_pk_mul_f16 v32, v32, v232
	v_lshlrev_b16 v133, 8, v38
	v_and_b32_e32 v38, 0x1f00, v38
	v_and_b32_e32 v233, 16, v233
	v_pk_mul_f16 v36, v36, v232
	v_add_nc_u16 v33, 0xf000, v33
	v_add_nc_u16 v133, 0xf000, v133
	;; [unrolled: 1-line block ×3, first 2 shown]
	s_set_vgpr_msb 0x54                     ;  msbs: dst=1 src0=0 src1=1 src2=1
	v_or3_b32 v11 /*v267*/, v233, v8 /*v264*/, v7 /*v263*/
	s_set_vgpr_msb 4                        ;  msbs: dst=0 src0=0 src1=1 src2=0
	v_lshlrev_b32_e32 v233, 20, v9 /*v265*/
	s_set_vgpr_msb 0x44                     ;  msbs: dst=1 src0=0 src1=1 src2=0
	v_lshlrev_b32_e32 v7 /*v263*/, 28, v10 /*v266*/
	s_set_vgpr_msb 0                        ;  msbs: dst=0 src0=0 src1=0 src2=0
	v_ashrrev_i16 v133, 8, v133
	v_lshrrev_b32_e32 v38, 8, v38
	s_set_vgpr_msb 4                        ;  msbs: dst=0 src0=0 src1=1 src2=0
	v_mul_u32_u24_e32 v232, 0x10001, v51 /*v307*/
	s_set_vgpr_msb 0                        ;  msbs: dst=0 src0=0 src1=0 src2=0
	v_pk_fma_f16 v230, v36, v37, v40
	s_set_vgpr_msb 64                       ;  msbs: dst=1 src0=0 src1=0 src2=0
	v_pk_fma_f16 v6 /*v262*/, v36, v34, v44
	s_set_vgpr_msb 0                        ;  msbs: dst=0 src0=0 src1=0 src2=0
	v_cvt_f16_i16_e64 v133, v133
	v_bfe_i32 v38, v38, 0, 8
	v_pk_fma_f16 v231, v32, v37, v41
	ds_store_b128 v239, v[40:43]
	ds_store_b128 v239, v[44:47] offset:16
	s_set_vgpr_msb 4                        ;  msbs: dst=0 src0=0 src1=1 src2=0
	v_mul_u32_u24_e32 v41, 0x10001, v49 /*v305*/
	v_cvt_f16_i16_e32 v38, v38
	s_set_vgpr_msb 0                        ;  msbs: dst=0 src0=0 src1=0 src2=0
	s_delay_alu instid0(VALU_DEP_1)
	v_pack_b32_f16 v38, v133, v38
	v_and_b32_e32 v133, 0x100000, v233
	s_set_vgpr_msb 4                        ;  msbs: dst=0 src0=0 src1=1 src2=0
	v_and_b32_e32 v233, 0x10000000, v7 /*v263*/
	s_set_vgpr_msb 64                       ;  msbs: dst=1 src0=0 src1=0 src2=0
	v_pk_fma_f16 v7 /*v263*/, v32, v34, v45
	s_set_vgpr_msb 0                        ;  msbs: dst=0 src0=0 src1=0 src2=0
	v_pk_mul_f16 v32, v38, v232
	s_set_vgpr_msb 1                        ;  msbs: dst=0 src0=1 src1=0 src2=0
	v_or3_b32 v38, v8 /*v264*/, v133, v233
	v_lshrrev_b32_e32 v36, 8, v33
	s_set_vgpr_msb 0                        ;  msbs: dst=0 src0=0 src1=0 src2=0
	v_bfe_i32 v33, v33, 0, 8
	v_pk_fma_f16 v233, v32, v37, v43
	s_set_vgpr_msb 64                       ;  msbs: dst=1 src0=0 src1=0 src2=0
	v_pk_fma_f16 v9 /*v265*/, v32, v34, v47
	s_wait_loadcnt 0x9
	s_set_vgpr_msb 4                        ;  msbs: dst=0 src0=0 src1=1 src2=0
	v_lshrrev_b32_e32 v45, v254, v34 /*v290*/
	v_bfe_i32 v36, v36, 0, 8
	v_cvt_f16_i16_e32 v33, v33
	s_set_vgpr_msb 5                        ;  msbs: dst=0 src0=1 src1=1 src2=0
	v_ashrrev_i32_e32 v47, v2 /*v258*/, v26 /*v282*/
	v_lshrrev_b32_e32 v133, v4 /*v260*/, v34 /*v290*/
	s_set_vgpr_msb 0                        ;  msbs: dst=0 src0=0 src1=0 src2=0
	v_lshlrev_b32_e32 v45, 4, v45
	v_cvt_f16_i16_e32 v36, v36
	v_and_b32_e32 v47, 0xf0f0f0f, v47
	s_delay_alu instid0(VALU_DEP_3) | instskip(NEXT) | instid1(VALU_DEP_3)
	v_and_b32_e32 v45, 16, v45
	v_pack_b32_f16 v33, v33, v36
	s_set_vgpr_msb 4                        ;  msbs: dst=0 src0=0 src1=1 src2=0
	v_lshlrev_b16 v36, 8, v11 /*v267*/
	s_set_vgpr_msb 0                        ;  msbs: dst=0 src0=0 src1=0 src2=0
	s_delay_alu instid0(VALU_DEP_2) | instskip(NEXT) | instid1(VALU_DEP_2)
	v_pk_mul_f16 v33, v33, v232
	v_add_nc_u16 v36, 0xf000, v36
	s_delay_alu instid0(VALU_DEP_2) | instskip(NEXT) | instid1(VALU_DEP_2)
	v_pk_fma_f16 v232, v33, v37, v42
	v_lshrrev_b16 v36, 8, v36
	s_set_vgpr_msb 5                        ;  msbs: dst=0 src0=1 src1=1 src2=0
	v_lshrrev_b32_e32 v37, v3 /*v259*/, v31 /*v287*/
	s_set_vgpr_msb 64                       ;  msbs: dst=1 src0=0 src1=0 src2=0
	v_pk_fma_f16 v8 /*v264*/, v33, v34, v46
	s_set_vgpr_msb 0                        ;  msbs: dst=0 src0=0 src1=0 src2=0
	v_lshrrev_b32_e32 v33, 16, v38
	s_set_vgpr_msb 5                        ;  msbs: dst=0 src0=1 src1=1 src2=0
	v_dual_ashrrev_i32 v38, v2 /*v258*/, v27 /*v283*/ :: v_dual_lshrrev_b32 v46, v3 /*v259*/, v34 /*v290*/
	s_set_vgpr_msb 1                        ;  msbs: dst=0 src0=1 src1=0 src2=0
	v_bitop3_b16 v32, v11 /*v267*/, v36, 0x1f00 bitop3:0xec
	s_set_vgpr_msb 4                        ;  msbs: dst=0 src0=0 src1=1 src2=0
	v_lshrrev_b32_e32 v36, v254, v31 /*v287*/
	s_set_vgpr_msb 0                        ;  msbs: dst=0 src0=0 src1=0 src2=0
	v_lshlrev_b16 v34, 8, v33
	v_and_b32_e32 v33, 0x1f00, v33
	v_and_b32_e32 v38, 0xf0f0f0f, v38
	v_add_nc_u16 v32, 0xf000, v32
	v_dual_lshlrev_b32 v36, 4, v36 :: v_dual_lshlrev_b32 v37, 12, v37
	s_delay_alu instid0(VALU_DEP_4)
	v_add_nc_u16 v33, 0xf000, v33
	s_set_vgpr_msb 5                        ;  msbs: dst=0 src0=1 src1=1 src2=0
	v_lshrrev_b32_e32 v42, v5 /*v261*/, v31 /*v287*/
	s_set_vgpr_msb 0                        ;  msbs: dst=0 src0=0 src1=0 src2=0
	v_lshrrev_b32_e32 v40, 8, v32
	v_and_b32_e32 v36, 16, v36
	v_and_b32_e32 v37, 0x1000, v37
	v_add_nc_u16 v34, 0xf000, v34
	v_bfe_i32 v32, v32, 0, 8
	v_bfe_i32 v40, v40, 0, 8
	v_lshrrev_b32_e32 v33, 8, v33
	v_or3_b32 v36, v36, v38, v37
	s_set_vgpr_msb 5                        ;  msbs: dst=0 src0=1 src1=1 src2=0
	v_lshrrev_b32_e32 v37, v4 /*v260*/, v31 /*v287*/
	s_set_vgpr_msb 0                        ;  msbs: dst=0 src0=0 src1=0 src2=0
	v_lshlrev_b32_e32 v42, 28, v42
	v_cvt_f16_i16_e32 v32, v32
	v_cvt_f16_i16_e32 v40, v40
	v_lshlrev_b16 v43, 8, v36
	v_lshlrev_b32_e32 v37, 20, v37
	v_ashrrev_i16 v34, 8, v34
	v_bfe_i32 v33, v33, 0, 8
	v_and_b32_e32 v42, 0x10000000, v42
	v_add_nc_u16 v43, 0xf000, v43
	v_and_b32_e32 v37, 0x100000, v37
	v_cvt_f16_i16_e32 v34, v34
	v_cvt_f16_i16_e32 v33, v33
	v_pack_b32_f16 v32, v32, v40
	v_lshrrev_b16 v43, 8, v43
	v_or3_b32 v37, v38, v37, v42
	s_set_vgpr_msb 4                        ;  msbs: dst=0 src0=0 src1=1 src2=0
	v_mul_u32_u24_e32 v38, 0x10001, v29 /*v285*/
	s_set_vgpr_msb 0                        ;  msbs: dst=0 src0=0 src1=0 src2=0
	v_pack_b32_f16 v33, v34, v33
	v_pk_mul_f16 v32, v32, v41
	v_bitop3_b16 v34, v36, v43, 0x1f00 bitop3:0xec
	v_dual_lshrrev_b32 v36, 16, v37 :: v_dual_lshlrev_b32 v46, 12, v46
	s_set_vgpr_msb 4                        ;  msbs: dst=0 src0=0 src1=1 src2=0
	v_mul_u32_u24_e32 v37, 0x10001, v46 /*v302*/
	s_set_vgpr_msb 0                        ;  msbs: dst=0 src0=0 src1=0 src2=0
	v_pk_fma_f16 v40, v32, v38, v230
	v_add_nc_u16 v34, 0xf000, v34
	v_lshlrev_b16 v42, 8, v36
	ds_store_b128 v239, v[230:233]
	s_set_vgpr_msb 4                        ;  msbs: dst=0 src0=0 src1=1 src2=0
	ds_store_b128 v239, v[6:9] /*v[262:265]*/ offset:16
	s_set_vgpr_msb 16                       ;  msbs: dst=0 src0=0 src1=0 src2=1
	v_pk_fma_f16 v44, v32, v37, v6 /*v262*/
	v_and_b32_e32 v32, 0x1f00, v36
	v_lshrrev_b32_e32 v36, 8, v34
	v_pk_mul_f16 v33, v33, v41
	v_add_nc_u16 v42, 0xf000, v42
	v_bfe_i32 v34, v34, 0, 8
	v_add_nc_u16 v32, 0xf000, v32
	v_bfe_i32 v36, v36, 0, 8
	v_and_b32_e32 v46, 0x1000, v46
	s_set_vgpr_msb 5                        ;  msbs: dst=0 src0=1 src1=1 src2=0
	v_lshrrev_b32_e32 v230, v5 /*v261*/, v34 /*v290*/
	s_set_vgpr_msb 0                        ;  msbs: dst=0 src0=0 src1=0 src2=0
	v_pk_fma_f16 v41, v33, v38, v231
	v_lshrrev_b32_e32 v32, 8, v32
	v_cvt_f16_i16_e32 v34, v34
	v_cvt_f16_i16_e32 v36, v36
	v_ashrrev_i16 v42, 8, v42
	v_lshlrev_b32_e32 v133, 20, v133
	v_bfe_i32 v32, v32, 0, 8
	v_or3_b32 v231, v45, v47, v46
	v_lshlrev_b32_e32 v45, 28, v230
	s_wait_loadcnt 0x8
	s_set_vgpr_msb 4                        ;  msbs: dst=0 src0=0 src1=1 src2=0
	v_mul_u32_u24_e32 v43, 0x10001, v35 /*v291*/
	v_cvt_f16_i16_e32 v42, v42
	v_cvt_f16_i16_e32 v32, v32
	s_set_vgpr_msb 16                       ;  msbs: dst=0 src0=0 src1=0 src2=1
	v_pack_b32_f16 v34, v34, v36
	v_and_b32_e32 v36, 0x100000, v133
	v_and_b32_e32 v133, 0x10000000, v45
	v_lshlrev_b16 v46, 8, v231
	v_pack_b32_f16 v32, v42, v32
	v_pk_mul_f16 v34, v34, v43
	v_pk_fma_f16 v45, v33, v37, v7 /*v263*/
	s_set_vgpr_msb 0                        ;  msbs: dst=0 src0=0 src1=0 src2=0
	v_or3_b32 v36, v47, v36, v133
	v_add_nc_u16 v33, 0xf000, v46
	v_pk_mul_f16 v32, v32, v43
	v_pk_fma_f16 v42, v34, v38, v232
	s_set_vgpr_msb 16                       ;  msbs: dst=0 src0=0 src1=0 src2=1
	v_pk_fma_f16 v46, v34, v37, v8 /*v264*/
	v_lshrrev_b32_e32 v34, 16, v36
	v_lshrrev_b16 v33, 8, v33
	s_set_vgpr_msb 0                        ;  msbs: dst=0 src0=0 src1=0 src2=0
	v_pk_fma_f16 v43, v32, v38, v233
	s_set_vgpr_msb 16                       ;  msbs: dst=0 src0=0 src1=0 src2=1
	v_pk_fma_f16 v47, v32, v37, v9 /*v265*/
	v_and_b32_e32 v32, 0xffff, v39
	v_lshlrev_b16 v36, 8, v34
	v_bitop3_b16 v33, v231, v33, 0x1f00 bitop3:0xec
	s_wait_loadcnt 0x0
	s_set_vgpr_msb 5                        ;  msbs: dst=0 src0=1 src1=1 src2=0
	v_dual_lshrrev_b32 v37, v3 /*v259*/, v44 /*v300*/ :: v_dual_ashrrev_i32 v133, v2 /*v258*/, v23 /*v279*/
	v_lshrrev_b32_e32 v231, v4 /*v260*/, v44 /*v300*/
	s_set_vgpr_msb 0                        ;  msbs: dst=0 src0=0 src1=0 src2=0
	v_mul_u32_u24_e32 v39, 0x10001, v32
	v_and_b32_e32 v32, 0x1f00, v34
	v_add_nc_u16 v34, 0xf000, v36
	s_set_vgpr_msb 4                        ;  msbs: dst=0 src0=0 src1=1 src2=0
	v_lshrrev_b32_e32 v36, v254, v44 /*v300*/
	s_set_vgpr_msb 0                        ;  msbs: dst=0 src0=0 src1=0 src2=0
	v_add_nc_u16 v33, 0xf000, v33
	v_and_b32_e32 v133, 0xf0f0f0f, v133
	v_add_nc_u16 v32, 0xf000, v32
	s_set_vgpr_msb 5                        ;  msbs: dst=0 src0=1 src1=1 src2=0
	v_lshrrev_b32_e32 v232, v5 /*v261*/, v44 /*v300*/
	s_set_vgpr_msb 0                        ;  msbs: dst=0 src0=0 src1=0 src2=0
	v_dual_lshlrev_b32 v36, 4, v36 :: v_dual_lshlrev_b32 v37, 12, v37
	v_dual_lshrrev_b32 v230, 8, v33 :: v_dual_lshrrev_b32 v32, 8, v32
	v_bfe_i32 v33, v33, 0, 8
	s_delay_alu instid0(VALU_DEP_3) | instskip(NEXT) | instid1(VALU_DEP_4)
	v_and_b32_e32 v36, 16, v36
	v_and_b32_e32 v37, 0x1000, v37
	s_delay_alu instid0(VALU_DEP_4)
	v_bfe_i32 v230, v230, 0, 8
	v_ashrrev_i16 v34, 8, v34
	v_cvt_f16_i16_e32 v33, v33
	v_bfe_i32 v32, v32, 0, 8
	v_or3_b32 v36, v36, v133, v37
	v_cvt_f16_i16_e64 v37, v230
	v_dual_lshlrev_b32 v230, 20, v231 :: v_dual_lshlrev_b32 v231, 28, v232
	v_cvt_f16_i16_e32 v34, v34
	s_delay_alu instid0(VALU_DEP_4) | instskip(SKIP_1) | instid1(VALU_DEP_4)
	v_lshlrev_b16 v232, 8, v36
	v_cvt_f16_i16_e32 v32, v32
	v_and_b32_e32 v230, 0x100000, v230
	v_and_b32_e32 v231, 0x10000000, v231
	v_pack_b32_f16 v33, v33, v37
	v_add_nc_u16 v232, 0xf000, v232
	s_set_vgpr_msb 4                        ;  msbs: dst=0 src0=0 src1=1 src2=0
	v_mul_u32_u24_e32 v38, 0x10001, v30 /*v286*/
	s_set_vgpr_msb 0                        ;  msbs: dst=0 src0=0 src1=0 src2=0
	v_pack_b32_f16 v32, v34, v32
	v_or3_b32 v37, v133, v230, v231
	ds_store_b128 v239, v[40:43]
	ds_store_b128 v239, v[44:47] offset:16
	v_lshrrev_b16 v133, 8, v232
	v_pk_mul_f16 v33, v33, v38
	s_delay_alu instid0(VALU_DEP_2) | instskip(SKIP_2) | instid1(VALU_DEP_4)
	v_bitop3_b16 v36, v36, v133, 0x1f00 bitop3:0xec
	v_mul_u32_u24_e32 v133, 0x10001, v35
	v_pk_mul_f16 v35, v32, v38
	v_pk_fma_f16 v32, v33, v39, v40
	s_delay_alu instid0(VALU_DEP_4)
	v_add_nc_u16 v38, 0xf000, v36
	v_lshrrev_b32_e32 v34, 16, v37
	v_pk_fma_f16 v36, v33, v133, v44
	v_pk_fma_f16 v33, v35, v39, v41
	s_set_vgpr_msb 4                        ;  msbs: dst=0 src0=0 src1=1 src2=0
	v_lshrrev_b32_e32 v44, v254, v37 /*v293*/
	s_set_vgpr_msb 0                        ;  msbs: dst=0 src0=0 src1=0 src2=0
	v_lshrrev_b32_e32 v41, 8, v38
	v_and_b32_e32 v37, 0x1f00, v34
	v_lshlrev_b16 v34, 8, v34
	s_delay_alu instid0(VALU_DEP_2) | instskip(NEXT) | instid1(VALU_DEP_2)
	v_add_nc_u16 v40, 0xf000, v37
	v_add_nc_u16 v34, 0xf000, v34
	v_pk_fma_f16 v37, v35, v133, v45
	v_bfe_i32 v35, v38, 0, 8
	s_set_vgpr_msb 5                        ;  msbs: dst=0 src0=1 src1=1 src2=0
	v_lshrrev_b32_e32 v45, v3 /*v259*/, v37 /*v293*/
	s_set_vgpr_msb 0                        ;  msbs: dst=0 src0=0 src1=0 src2=0
	v_lshrrev_b32_e32 v38, 8, v40
	v_bfe_i32 v40, v41, 0, 8
	v_ashrrev_i16 v34, 8, v34
	v_cvt_f16_i16_e32 v35, v35
	v_lshlrev_b32_e32 v45, 12, v45
	v_bfe_i32 v38, v38, 0, 8
	v_cvt_f16_i16_e32 v40, v40
	s_set_vgpr_msb 4                        ;  msbs: dst=0 src0=0 src1=1 src2=0
	v_mul_u32_u24_e32 v41, 0x10001, v33 /*v289*/
	v_cvt_f16_i16_e32 v34, v34
	s_set_vgpr_msb 0                        ;  msbs: dst=0 src0=0 src1=0 src2=0
	v_and_b32_e32 v45, 0x1000, v45
	v_cvt_f16_i16_e32 v38, v38
	v_pack_b32_f16 v35, v35, v40
	s_set_vgpr_msb 5                        ;  msbs: dst=0 src0=1 src1=1 src2=0
	v_ashrrev_i32_e32 v40, v2 /*v258*/, v24 /*v280*/
	s_set_vgpr_msb 0                        ;  msbs: dst=0 src0=0 src1=0 src2=0
	v_pack_b32_f16 v34, v34, v38
	v_pk_mul_f16 v35, v35, v41
	s_delay_alu instid0(VALU_DEP_2) | instskip(NEXT) | instid1(VALU_DEP_2)
	v_pk_mul_f16 v41, v34, v41
	v_pk_fma_f16 v34, v35, v39, v42
	s_set_vgpr_msb 5                        ;  msbs: dst=0 src0=1 src1=1 src2=0
	v_lshrrev_b32_e32 v42, v4 /*v260*/, v37 /*v293*/
	s_set_vgpr_msb 0                        ;  msbs: dst=0 src0=0 src1=0 src2=0
	v_pk_fma_f16 v38, v35, v133, v46
	s_set_vgpr_msb 4                        ;  msbs: dst=0 src0=0 src1=1 src2=0
	v_lshrrev_b32_e32 v46, v254, v32 /*v288*/
	s_set_vgpr_msb 0                        ;  msbs: dst=0 src0=0 src1=0 src2=0
	v_lshlrev_b32_e32 v44, 4, v44
	v_and_b32_e32 v40, 0xf0f0f0f, v40
	v_pk_fma_f16 v35, v41, v39, v43
	v_pk_fma_f16 v39, v41, v133, v47
	v_lshlrev_b32_e32 v41, 20, v42
	s_set_vgpr_msb 5                        ;  msbs: dst=0 src0=1 src1=1 src2=0
	v_dual_lshrrev_b32 v42, v5 /*v261*/, v37 /*v293*/ :: v_dual_lshrrev_b32 v47, v3 /*v259*/, v32 /*v288*/
	s_set_vgpr_msb 0                        ;  msbs: dst=0 src0=0 src1=0 src2=0
	v_and_b32_e32 v44, 16, v44
	s_set_vgpr_msb 5                        ;  msbs: dst=0 src0=1 src1=1 src2=0
	v_ashrrev_i32_e32 v133, v2 /*v258*/, v25 /*v281*/
	s_set_vgpr_msb 0                        ;  msbs: dst=0 src0=0 src1=0 src2=0
	v_and_b32_e32 v41, 0x100000, v41
	v_lshlrev_b32_e32 v42, 28, v42
	v_dual_lshlrev_b32 v46, 4, v46 :: v_dual_lshlrev_b32 v47, 12, v47
	v_or3_b32 v44, v44, v40, v45
	s_set_vgpr_msb 4                        ;  msbs: dst=0 src0=0 src1=1 src2=0
	v_mul_u32_u24_e32 v45, 0x10001, v38 /*v294*/
	s_set_vgpr_msb 0                        ;  msbs: dst=0 src0=0 src1=0 src2=0
	v_and_b32_e32 v42, 0x10000000, v42
	ds_store_b128 v239, v[32:35]
	ds_store_b128 v239, v[36:39] offset:16
	v_lshlrev_b16 v43, 8, v44
	v_or3_b32 v40, v40, v41, v42
	s_delay_alu instid0(VALU_DEP_2) | instskip(NEXT) | instid1(VALU_DEP_2)
	v_add_nc_u16 v43, 0xf000, v43
	v_lshrrev_b32_e32 v40, 16, v40
	s_delay_alu instid0(VALU_DEP_2) | instskip(NEXT) | instid1(VALU_DEP_2)
	v_lshrrev_b16 v43, 8, v43
	v_lshlrev_b16 v230, 8, v40
	v_and_b32_e32 v40, 0x1f00, v40
	s_delay_alu instid0(VALU_DEP_3)
	v_bitop3_b16 v41, v44, v43, 0x1f00 bitop3:0xec
	v_and_b32_e32 v43, 16, v46
	v_and_b32_e32 v44, 0x1000, v47
	s_set_vgpr_msb 5                        ;  msbs: dst=0 src0=1 src1=1 src2=0
	v_lshrrev_b32_e32 v46, v4 /*v260*/, v32 /*v288*/
	s_set_vgpr_msb 0                        ;  msbs: dst=0 src0=0 src1=0 src2=0
	v_and_b32_e32 v42, 0xf0f0f0f, v133
	s_set_vgpr_msb 5                        ;  msbs: dst=0 src0=1 src1=1 src2=0
	v_lshrrev_b32_e32 v47, v5 /*v261*/, v32 /*v288*/
	s_set_vgpr_msb 0                        ;  msbs: dst=0 src0=0 src1=0 src2=0
	v_add_nc_u16 v41, 0xf000, v41
	v_add_nc_u16 v40, 0xf000, v40
	v_or3_b32 v43, v43, v42, v44
	v_dual_lshlrev_b32 v44, 20, v46 :: v_dual_lshlrev_b32 v46, 28, v47
	s_delay_alu instid0(VALU_DEP_2) | instskip(NEXT) | instid1(VALU_DEP_2)
	v_lshlrev_b16 v133, 8, v43
	v_and_b32_e32 v44, 0x100000, v44
	s_delay_alu instid0(VALU_DEP_3) | instskip(NEXT) | instid1(VALU_DEP_3)
	v_and_b32_e32 v46, 0x10000000, v46
	v_add_nc_u16 v133, 0xf000, v133
	s_delay_alu instid0(VALU_DEP_2) | instskip(SKIP_2) | instid1(VALU_DEP_4)
	v_or3_b32 v42, v42, v44, v46
	v_lshrrev_b32_e32 v47, 8, v41
	v_bfe_i32 v41, v41, 0, 8
	v_lshrrev_b16 v46, 8, v133
	s_delay_alu instid0(VALU_DEP_4) | instskip(NEXT) | instid1(VALU_DEP_4)
	v_lshrrev_b32_e32 v42, 16, v42
	v_bfe_i32 v47, v47, 0, 8
	s_delay_alu instid0(VALU_DEP_4) | instskip(NEXT) | instid1(VALU_DEP_4)
	v_cvt_f16_i16_e32 v41, v41
	v_bitop3_b16 v43, v43, v46, 0x1f00 bitop3:0xec
	s_delay_alu instid0(VALU_DEP_4) | instskip(NEXT) | instid1(VALU_DEP_4)
	v_and_b32_e32 v46, 0x1f00, v42
	v_cvt_f16_i16_e32 v44, v47
	v_lshlrev_b16 v42, 8, v42
	s_delay_alu instid0(VALU_DEP_4)
	v_add_nc_u16 v43, 0xf000, v43
	v_lshrrev_b32_e32 v40, 8, v40
	v_add_nc_u16 v46, 0xf000, v46
	v_pack_b32_f16 v41, v41, v44
	v_add_nc_u16 v44, 0xf000, v230
	v_lshrrev_b32_e32 v133, 8, v43
	v_add_nc_u16 v42, 0xf000, v42
	v_lshrrev_b32_e32 v46, 8, v46
	v_bfe_i32 v40, v40, 0, 8
	v_ashrrev_i16 v44, 8, v44
	v_bfe_i32 v43, v43, 0, 8
	v_bfe_i32 v133, v133, 0, 8
	v_ashrrev_i16 v42, 8, v42
	v_bfe_i32 v46, v46, 0, 8
	s_set_vgpr_msb 4                        ;  msbs: dst=0 src0=0 src1=1 src2=0
	v_mul_u32_u24_e32 v47, 0x10001, v43 /*v299*/
	v_cvt_f16_i16_e32 v44, v44
	v_cvt_f16_i16_e32 v40, v40
	;; [unrolled: 1-line block ×3, first 2 shown]
	v_cvt_f16_i16_e64 v133, v133
	v_cvt_f16_i16_e32 v42, v42
	v_cvt_f16_i16_e32 v46, v46
	s_set_vgpr_msb 0                        ;  msbs: dst=0 src0=0 src1=0 src2=0
	v_pk_mul_f16 v41, v41, v47
	v_pack_b32_f16 v40, v44, v40
	s_set_vgpr_msb 4                        ;  msbs: dst=0 src0=0 src1=1 src2=0
	v_mul_u32_u24_e32 v44, 0x10001, v36 /*v292*/
	s_set_vgpr_msb 0                        ;  msbs: dst=0 src0=0 src1=0 src2=0
	v_pack_b32_f16 v43, v43, v133
	v_mul_u32_u24_e32 v133, 0x10001, v227
	v_pack_b32_f16 v42, v42, v46
	v_pk_mul_f16 v40, v40, v47
	v_pk_fma_f16 v32, v41, v45, v32
	v_pk_mul_f16 v43, v43, v44
	v_pk_fma_f16 v36, v41, v133, v36
	;; [unrolled: 2-line block ×3, first 2 shown]
	v_pk_fma_f16 v37, v40, v133, v37
	v_pk_fma_f16 v34, v43, v45, v34
	;; [unrolled: 1-line block ×5, first 2 shown]
	ds_store_b128 v239, v[32:35]
	ds_store_b128 v239, v[36:39] offset:16
	s_cbranch_scc1 .LBB28_32
; %bb.30:                               ;   in Loop: Header=BB28_21 Depth=1
	v_dual_mov_b32 v42, v228 :: v_dual_mov_b32 v43, v229
	s_branch .LBB28_21
.LBB28_31:
	v_mov_b64_e32 v[228:229], 0xfefffffffeffffff
	v_mov_b64_e32 v[52:53], 0
.LBB28_32:
	s_cmp_eq_u64 s[16:17], 0
	s_cselect_b32 s1, -1, 0
	s_cmp_lg_u32 s38, 0
	s_cselect_b32 s4, -1, 0
	s_delay_alu instid0(SALU_CYCLE_1) | instskip(NEXT) | instid1(SALU_CYCLE_1)
	s_or_b32 s1, s4, s1
	s_nor_b32 s0, s1, s0
	s_delay_alu instid0(SALU_CYCLE_1)
	s_and_saveexec_b32 s1, s0
	s_cbranch_execz .LBB28_34
; %bb.33:
	s_ashr_i32 s35, s34, 31
	v_cmp_eq_u32_e32 vcc_lo, 1, v225
	s_lshl_b64 s[4:5], s[34:35], 2
	s_delay_alu instid0(SALU_CYCLE_1) | instskip(SKIP_2) | instid1(VALU_DEP_1)
	s_add_nc_u64 s[4:5], s[16:17], s[4:5]
	s_load_b32 s0, s[4:5], 0x0
	v_cndmask_b32_e32 v0, v228, v229, vcc_lo
	v_max_num_f32_e32 v1, v0, v0
	s_wait_kmcnt 0x0
	v_max_num_f32_e64 v2, s0, s0
	s_delay_alu instid0(VALU_DEP_1) | instskip(NEXT) | instid1(VALU_DEP_1)
	v_max_num_f32_e32 v4, v2, v1
	v_sub_f32_e32 v6, s0, v4
	s_delay_alu instid0(VALU_DEP_1) | instskip(SKIP_1) | instid1(VALU_DEP_2)
	v_mul_f32_e32 v1, 0x3fb8aa3b, v6
	v_dual_sub_f32 v5, v0, v4 :: v_dual_cndmask_b32 v229, v229, v4, vcc_lo
	v_fma_f32 v7, 0x3fb8aa3b, v6, -v1
	s_delay_alu instid0(VALU_DEP_2) | instskip(SKIP_1) | instid1(VALU_DEP_3)
	v_mul_f32_e32 v0, 0x3fb8aa3b, v5
	v_rndne_f32_e32 v8, v1
	v_fmac_f32_e32 v7, 0x32a5705f, v6
	s_delay_alu instid0(VALU_DEP_3) | instskip(SKIP_1) | instid1(VALU_DEP_1)
	v_fma_f32 v2, 0x3fb8aa3b, v5, -v0
	v_rndne_f32_e32 v3, v0
	v_sub_f32_e32 v0, v0, v3
	s_delay_alu instid0(VALU_DEP_3) | instskip(SKIP_1) | instid1(VALU_DEP_2)
	v_dual_fmac_f32 v2, 0x32a5705f, v5 :: v_dual_sub_f32 v1, v1, v8
	v_cmp_ngt_f32_e64 s0, 0xc2ce8ed0, v5
	v_add_f32_e32 v0, v0, v2
	v_cvt_i32_f32_e32 v2, v3
	v_cvt_i32_f32_e32 v3, v8
	s_delay_alu instid0(VALU_DEP_3) | instskip(SKIP_1) | instid1(TRANS32_DEP_1)
	v_exp_f32_e32 v0, v0
	v_nop
	v_ldexp_f32 v0, v0, v2
	v_add_f32_e32 v1, v1, v7
	v_lshl_add_u32 v7, v225, 4, v239
	s_delay_alu instid0(VALU_DEP_3) | instskip(NEXT) | instid1(VALU_DEP_3)
	v_cndmask_b32_e64 v9, 0, v0, s0
	v_exp_f32_e32 v1, v1
	v_cmp_ngt_f32_e64 s0, 0xc2ce8ed0, v6
	s_delay_alu instid0(TRANS32_DEP_1) | instskip(SKIP_3) | instid1(VALU_DEP_1)
	v_ldexp_f32 v8, v1, v3
	ds_load_b128 v[0:3], v7
	v_cndmask_b32_e64 v8, 0, v8, s0
	v_cmp_nlt_f32_e64 s0, 0x42b17218, v5
	v_cndmask_b32_e64 v5, 0x7f800000, v9, s0
	v_cmp_nlt_f32_e64 s0, 0x42b17218, v6
	v_cndmask_b32_e32 v9, v52, v53, vcc_lo
	s_delay_alu instid0(VALU_DEP_2) | instskip(NEXT) | instid1(VALU_DEP_4)
	v_cndmask_b32_e64 v6, 0x7f800000, v8, s0
	v_cvt_f16_f32_e32 v8, v5
	v_cmp_eq_u32_e64 s0, 0, v221
	s_delay_alu instid0(VALU_DEP_2) | instskip(NEXT) | instid1(VALU_DEP_2)
	v_and_b32_e32 v8, 0xffff, v8
	v_cndmask_b32_e64 v6, 0, v6, s0
	v_cmp_eq_u32_e64 s0, 0, v225
	s_delay_alu instid0(VALU_DEP_1) | instskip(NEXT) | instid1(VALU_DEP_4)
	v_dual_fmac_f32 v6, v9, v5 :: v_dual_cndmask_b32 v228, v228, v4, s0
	v_mul_u32_u24_e32 v5, 0x10001, v8
	s_delay_alu instid0(VALU_DEP_2) | instskip(SKIP_1) | instid1(VALU_DEP_2)
	v_dual_cndmask_b32 v53, v53, v6, vcc_lo :: v_dual_cndmask_b32 v52, v52, v6, s0
	s_wait_dscnt 0x0
	v_pk_mul_f16 v0, v0, v5
	v_pk_mul_f16 v1, v1, v5
	;; [unrolled: 1-line block ×4, first 2 shown]
	ds_store_b128 v7, v[0:3]
.LBB28_34:
	s_or_b32 exec_lo, exec_lo, s1
	v_add_nc_u32_e32 v2, 0x900, v235
	v_add_nc_u32_e32 v8, 0x800, v235
	s_mov_b32 s0, exec_lo
	v_cmpx_eq_u32_e32 0, v225
	s_cbranch_execz .LBB28_36
; %bb.35:
	v_dual_mov_b32 v0, 0xfeffffff :: v_dual_mov_b32 v1, 0
	ds_store_2addr_b32 v8, v0, v0 offset1:32
	ds_store_2addr_b32 v2, v1, v1 offset1:32
.LBB28_36:
	s_or_b32 exec_lo, exec_lo, s0
	v_cmp_eq_u32_e64 s0, 0, v221
	s_wait_dscnt 0x0
	s_barrier_signal -1
	s_barrier_wait -1
	s_and_saveexec_b32 s1, s0
; %bb.37:
	v_lshlrev_b32_e32 v0, 2, v225
	s_delay_alu instid0(VALU_DEP_1)
	v_add_nc_u32_e32 v0, 0x800, v0
	ds_store_2addr_b32 v0, v228, v229 offset1:32
; %bb.38:
	s_or_b32 exec_lo, exec_lo, s1
	s_cmp_lt_i32 s33, s28
	s_wait_dscnt 0x0
	s_barrier_signal -1
	s_barrier_wait -1
	s_cbranch_scc1 .LBB28_40
; %bb.39:
	s_load_b32 s4, s[2:3], 0xd4
	s_cbranch_execz .LBB28_41
	s_branch .LBB28_48
.LBB28_40:
                                        ; implicit-def: $sgpr4
.LBB28_41:
	ds_load_b32 v0, v8
	v_xor_b32_e32 v5, 4, v240
	v_xor_b32_e32 v1, 16, v240
	ds_load_b128 v[12:15], v239
	s_wait_kmcnt 0x0
	s_load_b32 s4, s[2:3], 0xd4
	v_xor_b32_e32 v4, 8, v240
	v_xor_b32_e32 v6, 2, v240
	v_cmp_gt_i32_e32 vcc_lo, 32, v1
	v_cndmask_b32_e32 v1, v240, v1, vcc_lo
	s_delay_alu instid0(VALU_DEP_4) | instskip(NEXT) | instid1(VALU_DEP_2)
	v_cmp_gt_i32_e32 vcc_lo, 32, v4
	v_dual_cndmask_b32 v4, v240, v4 :: v_dual_lshlrev_b32 v3, 2, v1
	s_wait_dscnt 0x1
	ds_bpermute_b32 v1, v3, v0
	s_wait_dscnt 0x0
	v_dual_max_num_f32 v0, v0, v0 :: v_dual_max_num_f32 v1, v1, v1
	s_delay_alu instid0(VALU_DEP_1) | instskip(SKIP_4) | instid1(VALU_DEP_2)
	v_dual_lshlrev_b32 v4, 2, v4 :: v_dual_max_num_f32 v0, v0, v1
	ds_bpermute_b32 v1, v4, v0
	s_wait_dscnt 0x0
	v_max_num_f32_e32 v1, v1, v1
	v_cmp_gt_i32_e32 vcc_lo, 32, v5
	v_max_num_f32_e32 v0, v0, v1
	v_cndmask_b32_e32 v5, v240, v5, vcc_lo
	v_cmp_gt_i32_e32 vcc_lo, 32, v6
	s_delay_alu instid0(VALU_DEP_2) | instskip(SKIP_3) | instid1(VALU_DEP_1)
	v_dual_cndmask_b32 v6, v240, v6 :: v_dual_lshlrev_b32 v5, 2, v5
	ds_bpermute_b32 v1, v5, v0
	s_wait_dscnt 0x0
	v_dual_max_num_f32 v1, v1, v1 :: v_dual_lshlrev_b32 v7, 2, v6
	v_max_num_f32_e32 v0, v0, v1
	ds_bpermute_b32 v1, v7, v0
	s_wait_dscnt 0x0
	v_dual_max_num_f32 v1, v1, v1 :: v_dual_bitop2_b32 v6, 1, v240 bitop3:0x14
	s_delay_alu instid0(VALU_DEP_1) | instskip(NEXT) | instid1(VALU_DEP_2)
	v_max_num_f32_e32 v0, v0, v1
	v_cmp_gt_i32_e32 vcc_lo, 32, v6
	v_cndmask_b32_e32 v6, v240, v6, vcc_lo
	s_delay_alu instid0(VALU_DEP_1) | instskip(SKIP_3) | instid1(VALU_DEP_1)
	v_lshlrev_b32_e32 v6, 2, v6
	ds_bpermute_b32 v1, v6, v0
	s_wait_dscnt 0x0
	v_max_num_f32_e32 v1, v1, v1
	v_max_num_f32_e32 v0, v0, v1
	s_delay_alu instid0(VALU_DEP_1) | instskip(NEXT) | instid1(VALU_DEP_1)
	v_sub_f32_e32 v1, v228, v0
	v_mul_f32_e32 v9, 0x3fb8aa3b, v1
	s_delay_alu instid0(VALU_DEP_1) | instskip(SKIP_1) | instid1(VALU_DEP_1)
	v_fma_f32 v10, 0x3fb8aa3b, v1, -v9
	v_rndne_f32_e32 v11, v9
	v_sub_f32_e32 v9, v9, v11
	v_cmp_ngt_f32_e32 vcc_lo, 0xc2ce8ed0, v1
	s_delay_alu instid0(VALU_DEP_4) | instskip(NEXT) | instid1(VALU_DEP_1)
	v_fmamk_f32 v10, v1, 0x32a5705f, v10
	v_add_f32_e32 v9, v9, v10
	v_cvt_i32_f32_e32 v10, v11
	s_delay_alu instid0(VALU_DEP_2) | instskip(SKIP_1) | instid1(TRANS32_DEP_1)
	v_exp_f32_e32 v9, v9
	v_nop
	v_ldexp_f32 v9, v9, v10
	s_delay_alu instid0(VALU_DEP_1) | instskip(SKIP_1) | instid1(VALU_DEP_2)
	v_cndmask_b32_e32 v9, 0, v9, vcc_lo
	v_cmp_nlt_f32_e32 vcc_lo, 0x42b17218, v1
	v_cndmask_b32_e32 v1, 0x7f800000, v9, vcc_lo
	s_delay_alu instid0(VALU_DEP_1)
	v_mul_f32_e32 v9, v52, v1
	v_cvt_f16_f32_e32 v11, v1
	ds_bpermute_b32 v9, v3, v9
	s_wait_dscnt 0x0
	v_fmac_f32_e32 v9, v52, v1
	ds_bpermute_b32 v10, v4, v9
	s_wait_dscnt 0x0
	v_add_f32_e32 v9, v9, v10
	ds_bpermute_b32 v10, v5, v9
	s_wait_dscnt 0x0
	v_add_f32_e32 v9, v9, v10
	;; [unrolled: 3-line block ×3, first 2 shown]
	v_and_b32_e32 v9, 0xffff, v11
	v_lshlrev_b32_e32 v10, 3, v221
	ds_bpermute_b32 v11, v6, v1
	v_mul_u32_u24_e32 v9, 0x10001, v9
	v_add_nc_u32_e32 v10, v234, v10
	s_delay_alu instid0(VALU_DEP_2)
	v_pk_mul_f16 v12, v12, v9
	v_pk_mul_f16 v13, v13, v9
	;; [unrolled: 1-line block ×4, first 2 shown]
	v_lshl_add_u32 v9, v225, 2, 0x900
	ds_store_b128 v239, v[12:15]
	ds_store_2addr_b64 v10, v[12:13], v[14:15] offset1:32
	s_and_saveexec_b32 s1, s0
	s_cbranch_execz .LBB28_43
; %bb.42:
	s_wait_dscnt 0x2
	v_add_f32_e32 v1, v1, v11
	ds_store_b32 v9, v1
.LBB28_43:
	s_or_b32 exec_lo, exec_lo, s1
	s_wait_dscnt 0x0
	s_barrier_signal -1
	s_barrier_wait -1
	ds_load_b32 v1, v2
	ds_load_u16 v11, v238
	ds_load_u16 v12, v238 offset:1280
	ds_load_u16 v13, v238 offset:768
	;; [unrolled: 1-line block ×6, first 2 shown]
	s_wait_kmcnt 0x0
	s_cmp_eq_u32 s4, 1
	s_mul_i32 s2, s30, s28
	s_wait_dscnt 0x7
	ds_bpermute_b32 v15, v3, v1
	s_wait_dscnt 0x7
	v_cvt_f32_f16_e32 v11, v11
	s_wait_dscnt 0x6
	v_cvt_f32_f16_e32 v12, v12
	;; [unrolled: 2-line block ×3, first 2 shown]
	v_cvt_f32_f16_e32 v14, v14
	v_cvt_f32_f16_e32 v13, v13
	v_add_f32_e32 v11, 0, v11
	s_wait_dscnt 0x2
	v_cvt_f32_f16_e32 v17, v17
	s_delay_alu instid0(VALU_DEP_2) | instskip(NEXT) | instid1(VALU_DEP_1)
	v_dual_add_f32 v14, 0, v14 :: v_dual_add_f32 v11, v11, v16
	v_add_f32_e32 v13, v14, v13
	s_wait_dscnt 0x1
	v_cvt_f32_f16_e32 v14, v18
	s_delay_alu instid0(VALU_DEP_2)
	v_dual_add_f32 v11, v11, v17 :: v_dual_add_f32 v12, v13, v12
	s_wait_dscnt 0x0
	v_add_f32_e32 v1, v1, v15
	ds_bpermute_b32 v15, v4, v1
	s_wait_dscnt 0x0
	v_add_f32_e32 v1, v1, v15
	ds_bpermute_b32 v15, v5, v1
	;; [unrolled: 3-line block ×3, first 2 shown]
	s_wait_dscnt 0x0
	v_add_f32_e32 v1, v1, v15
	ds_load_u16 v15, v238 offset:1792
	ds_bpermute_b32 v19, v6, v1
	v_add_f32_e32 v11, v11, v14
	s_wait_dscnt 0x1
	v_cvt_f32_f16_e32 v15, v15
	s_wait_dscnt 0x0
	v_add_f32_e32 v52, v1, v19
	s_delay_alu instid0(VALU_DEP_2) | instskip(NEXT) | instid1(VALU_DEP_2)
	v_add_f32_e32 v1, v12, v15
	v_div_scale_f32 v12, null, v52, v52, v11
	s_delay_alu instid0(VALU_DEP_2) | instskip(SKIP_1) | instid1(VALU_DEP_3)
	v_div_scale_f32 v13, null, v52, v52, v1
	v_div_scale_f32 v18, vcc_lo, v11, v52, v11
	v_rcp_f32_e32 v14, v12
	s_delay_alu instid0(VALU_DEP_2) | instskip(NEXT) | instid1(TRANS32_DEP_2)
	v_rcp_f32_e32 v15, v13
	v_fma_f32 v16, -v12, v14, 1.0
	s_delay_alu instid0(TRANS32_DEP_1) | instskip(NEXT) | instid1(VALU_DEP_1)
	v_fma_f32 v17, -v13, v15, 1.0
	v_dual_fmac_f32 v15, v17, v15 :: v_dual_fmac_f32 v14, v16, v14
	v_div_scale_f32 v16, s1, v1, v52, v1
	s_delay_alu instid0(VALU_DEP_1) | instskip(NEXT) | instid1(VALU_DEP_1)
	v_dual_mul_f32 v19, v16, v15 :: v_dual_mul_f32 v17, v18, v14
	v_dual_fma_f32 v21, -v13, v19, v16 :: v_dual_fma_f32 v20, -v12, v17, v18
	s_delay_alu instid0(VALU_DEP_1) | instskip(NEXT) | instid1(VALU_DEP_1)
	v_dual_fmac_f32 v19, v21, v15 :: v_dual_fmac_f32 v17, v20, v14
	v_dual_fma_f32 v13, -v13, v19, v16 :: v_dual_fma_f32 v12, -v12, v17, v18
	s_delay_alu instid0(VALU_DEP_1) | instskip(SKIP_2) | instid1(VALU_DEP_2)
	v_div_fmas_f32 v12, v12, v14, v17
	s_mov_b32 vcc_lo, s1
	s_cselect_b32 s1, -1, 0
	v_div_fmas_f32 v13, v13, v15, v19
	s_add_co_i32 s2, s2, s33
	v_div_fixup_f32 v12, v12, v52, v11
	s_mul_i32 s2, s2, s29
	s_delay_alu instid0(SALU_CYCLE_1) | instskip(SKIP_4) | instid1(SALU_CYCLE_1)
	s_add_co_i32 s2, s2, s34
	v_div_fixup_f32 v13, v13, v52, v1
	s_mul_i32 s3, s4, s2
	v_cndmask_b32_e64 v11, v11, v12, s1
	s_add_co_i32 s3, s3, s38
	v_lshl_or_b32 v12, s3, 8, v236
	v_cndmask_b32_e64 v13, v1, v13, s1
	v_mov_b32_e32 v1, v229
	s_or_b32 s3, s33, 1
	s_clause 0x1
	global_store_b32 v12, v11, s[20:21] scale_offset
	global_store_b32 v12, v13, s[20:21] offset:512 scale_offset
	s_cmp_ge_i32 s3, s28
	s_wait_storecnt 0x0
	s_barrier_signal -1
	s_barrier_wait -1
	s_cbranch_scc1 .LBB28_47
; %bb.44:
	ds_load_b32 v1, v8 offset:128
	s_wait_dscnt 0x0
	ds_bpermute_b32 v8, v3, v1
	s_wait_dscnt 0x0
	v_dual_max_num_f32 v1, v1, v1 :: v_dual_max_num_f32 v8, v8, v8
	s_delay_alu instid0(VALU_DEP_1) | instskip(SKIP_3) | instid1(VALU_DEP_1)
	v_max_num_f32_e32 v1, v1, v8
	ds_bpermute_b32 v8, v4, v1
	s_wait_dscnt 0x0
	v_max_num_f32_e32 v8, v8, v8
	v_max_num_f32_e32 v1, v1, v8
	ds_bpermute_b32 v8, v5, v1
	s_wait_dscnt 0x0
	v_max_num_f32_e32 v8, v8, v8
	s_delay_alu instid0(VALU_DEP_1) | instskip(SKIP_3) | instid1(VALU_DEP_1)
	v_max_num_f32_e32 v1, v1, v8
	ds_bpermute_b32 v8, v7, v1
	s_wait_dscnt 0x0
	v_max_num_f32_e32 v8, v8, v8
	v_max_num_f32_e32 v1, v1, v8
	ds_bpermute_b32 v8, v6, v1
	s_wait_dscnt 0x0
	v_max_num_f32_e32 v8, v8, v8
	s_delay_alu instid0(VALU_DEP_1) | instskip(NEXT) | instid1(VALU_DEP_1)
	v_max_num_f32_e32 v1, v1, v8
	v_sub_f32_e32 v8, v229, v1
	s_wait_xcnt 0x1
	s_delay_alu instid0(VALU_DEP_1) | instskip(SKIP_1) | instid1(VALU_DEP_1)
	v_mul_f32_e32 v11, 0x3fb8aa3b, v8
	s_wait_xcnt 0x0
	v_fma_f32 v12, 0x3fb8aa3b, v8, -v11
	v_rndne_f32_e32 v13, v11
	s_delay_alu instid0(VALU_DEP_1) | instskip(NEXT) | instid1(VALU_DEP_1)
	v_dual_fmamk_f32 v12, v8, 0x32a5705f, v12 :: v_dual_sub_f32 v11, v11, v13
	v_add_f32_e32 v11, v11, v12
	v_cvt_i32_f32_e32 v12, v13
	v_cmp_ngt_f32_e32 vcc_lo, 0xc2ce8ed0, v8
	s_delay_alu instid0(VALU_DEP_3) | instskip(SKIP_1) | instid1(TRANS32_DEP_1)
	v_exp_f32_e32 v11, v11
	v_nop
	v_ldexp_f32 v11, v11, v12
	s_delay_alu instid0(VALU_DEP_1) | instskip(SKIP_1) | instid1(VALU_DEP_2)
	v_cndmask_b32_e32 v11, 0, v11, vcc_lo
	v_cmp_nlt_f32_e32 vcc_lo, 0x42b17218, v8
	v_cndmask_b32_e32 v8, 0x7f800000, v11, vcc_lo
	s_delay_alu instid0(VALU_DEP_1)
	v_mul_f32_e32 v11, v53, v8
	ds_bpermute_b32 v11, v3, v11
	s_wait_dscnt 0x0
	v_fmac_f32_e32 v11, v53, v8
	ds_bpermute_b32 v12, v4, v11
	s_wait_dscnt 0x0
	v_add_f32_e32 v11, v11, v12
	v_cvt_f16_f32_e32 v17, v8
	ds_bpermute_b32 v12, v5, v11
	s_wait_dscnt 0x0
	v_add_f32_e32 v11, v11, v12
	ds_load_b128 v[12:15], v239 offset:16
	ds_bpermute_b32 v16, v7, v11
	s_wait_dscnt 0x0
	v_add_f32_e32 v8, v11, v16
	v_and_b32_e32 v16, 0xffff, v17
	ds_bpermute_b32 v11, v6, v8
	v_mul_u32_u24_e32 v16, 0x10001, v16
	s_delay_alu instid0(VALU_DEP_1)
	v_pk_mul_f16 v12, v12, v16
	v_pk_mul_f16 v13, v13, v16
	;; [unrolled: 1-line block ×4, first 2 shown]
	ds_store_b128 v239, v[12:15] offset:16
	ds_store_2addr_b64 v10, v[12:13], v[14:15] offset1:32
	s_and_saveexec_b32 s3, s0
	s_cbranch_execz .LBB28_46
; %bb.45:
	s_wait_dscnt 0x2
	v_add_f32_e32 v8, v8, v11
	ds_store_b32 v9, v8 offset:128
.LBB28_46:
	s_or_b32 exec_lo, exec_lo, s3
	s_wait_dscnt 0x0
	s_barrier_signal -1
	s_barrier_wait -1
	ds_load_b32 v2, v2 offset:128
	ds_load_u16 v8, v238
	ds_load_u16 v9, v238 offset:1280
	ds_load_u16 v10, v238 offset:768
	ds_load_u16 v11, v238 offset:256
	s_add_co_i32 s2, s2, s29
	s_wait_dscnt 0x4
	ds_bpermute_b32 v3, v3, v2
	s_wait_dscnt 0x4
	v_cvt_f32_f16_e32 v8, v8
	s_wait_dscnt 0x2
	v_cvt_f32_f16_e32 v10, v10
	;; [unrolled: 2-line block ×3, first 2 shown]
	s_delay_alu instid0(VALU_DEP_1)
	v_dual_add_f32 v8, 0, v8 :: v_dual_add_f32 v11, 0, v11
	s_wait_dscnt 0x0
	v_add_f32_e32 v2, v2, v3
	ds_bpermute_b32 v3, v4, v2
	s_wait_dscnt 0x0
	v_add_f32_e32 v2, v2, v3
	ds_bpermute_b32 v3, v5, v2
	;; [unrolled: 3-line block ×3, first 2 shown]
	ds_load_u16 v4, v238 offset:512
	ds_load_u16 v5, v238 offset:1024
	ds_load_u16 v7, v238 offset:1536
	s_wait_dscnt 0x2
	v_cvt_f32_f16_e32 v4, v4
	s_wait_dscnt 0x1
	v_cvt_f32_f16_e32 v5, v5
	;; [unrolled: 2-line block ×3, first 2 shown]
	v_add_f32_e32 v4, v8, v4
	v_cvt_f32_f16_e32 v8, v9
	v_dual_add_f32 v9, v11, v10 :: v_dual_add_f32 v2, v2, v3
	ds_load_u16 v3, v238 offset:1792
	v_dual_add_f32 v4, v4, v5 :: v_dual_add_f32 v5, v9, v8
	ds_bpermute_b32 v6, v6, v2
	v_add_f32_e32 v4, v4, v7
	s_wait_dscnt 0x1
	v_cvt_f32_f16_e32 v3, v3
	s_wait_dscnt 0x0
	s_delay_alu instid0(VALU_DEP_1) | instskip(NEXT) | instid1(VALU_DEP_1)
	v_dual_add_f32 v53, v2, v6 :: v_dual_add_f32 v2, v5, v3
	v_div_scale_f32 v3, null, v53, v53, v4
	v_div_scale_f32 v10, vcc_lo, v4, v53, v4
	s_delay_alu instid0(VALU_DEP_2) | instskip(SKIP_1) | instid1(TRANS32_DEP_1)
	v_rcp_f32_e32 v6, v3
	v_nop
	v_fma_f32 v8, -v3, v6, 1.0
	s_delay_alu instid0(VALU_DEP_1) | instskip(SKIP_2) | instid1(VALU_DEP_2)
	v_fmac_f32_e32 v6, v8, v6
	v_div_scale_f32 v5, null, v53, v53, v2
	v_div_scale_f32 v8, s0, v2, v53, v2
	v_rcp_f32_e32 v7, v5
	v_nop
	s_delay_alu instid0(TRANS32_DEP_1) | instskip(NEXT) | instid1(VALU_DEP_1)
	v_fma_f32 v9, -v5, v7, 1.0
	v_dual_fmac_f32 v7, v9, v7 :: v_dual_mul_f32 v9, v10, v6
	s_delay_alu instid0(VALU_DEP_1) | instskip(NEXT) | instid1(VALU_DEP_1)
	v_dual_mul_f32 v11, v8, v7 :: v_dual_fma_f32 v12, -v3, v9, v10
	v_dual_fma_f32 v13, -v5, v11, v8 :: v_dual_fmac_f32 v9, v12, v6
	s_delay_alu instid0(VALU_DEP_1) | instskip(NEXT) | instid1(VALU_DEP_1)
	v_dual_fmac_f32 v11, v13, v7 :: v_dual_fma_f32 v3, -v3, v9, v10
	v_fma_f32 v5, -v5, v11, v8
	s_delay_alu instid0(VALU_DEP_2) | instskip(SKIP_2) | instid1(VALU_DEP_2)
	v_div_fmas_f32 v3, v3, v6, v9
	s_mov_b32 vcc_lo, s0
	s_mul_i32 s0, s4, s2
	v_div_fmas_f32 v5, v5, v7, v11
	s_delay_alu instid0(VALU_DEP_2) | instskip(SKIP_1) | instid1(SALU_CYCLE_1)
	v_div_fixup_f32 v3, v3, v53, v4
	s_add_co_i32 s0, s0, s38
	v_lshl_or_b32 v6, s0, 8, v236
	s_delay_alu instid0(VALU_DEP_3) | instskip(NEXT) | instid1(VALU_DEP_1)
	v_div_fixup_f32 v5, v5, v53, v2
	v_dual_cndmask_b32 v3, v4, v3, s1 :: v_dual_cndmask_b32 v2, v2, v5, s1
	s_clause 0x1
	global_store_b32 v6, v3, s[20:21] scale_offset
	global_store_b32 v6, v2, s[20:21] offset:512 scale_offset
.LBB28_47:
	v_mov_b64_e32 v[228:229], v[0:1]
.LBB28_48:
	v_or_b32_e32 v0, s33, v221
	v_cmp_gt_u32_e32 vcc_lo, 2, v236
	s_wait_kmcnt 0x0
	s_cmp_lg_u32 s4, 1
	s_cselect_b32 s1, -1, 0
	v_cmp_gt_i32_e64 s0, s28, v0
	s_and_b32 s1, s1, vcc_lo
	s_delay_alu instid0(SALU_CYCLE_1) | instskip(NEXT) | instid1(SALU_CYCLE_1)
	s_and_b32 s0, s1, s0
	s_and_saveexec_b32 s1, s0
	s_cbranch_execz .LBB28_50
; %bb.49:
	v_mad_u32 v0, s30, s28, v0
	v_cmp_eq_u32_e32 vcc_lo, 1, v236
	v_cndmask_b32_e32 v1, v52, v53, vcc_lo
	s_delay_alu instid0(VALU_DEP_3) | instskip(NEXT) | instid1(VALU_DEP_1)
	v_mad_u32 v0, v0, s29, s34
	v_mad_u32 v2, s4, v0, s38
	v_cndmask_b32_e32 v0, v228, v229, vcc_lo
	global_store_b64 v2, v[0:1], s[22:23] scale_offset
.LBB28_50:
	s_sendmsg sendmsg(MSG_DEALLOC_VGPRS)
	s_endpgm
	.section	.rodata,"a",@progbits
	.p2align	6, 0x0
	.amdhsa_kernel _ZL18flash_attn_ext_vecILi256ELi2EL9ggml_type6ELS0_6ELb0EEvPKcS2_S2_S2_S2_PKiPfP15HIP_vector_typeIfLj2EEffffjfiS6_IjLj3EEiiiiiiiiiiiliiliiiiil
		.amdhsa_group_segment_fixed_size 6656
		.amdhsa_private_segment_fixed_size 0
		.amdhsa_kernarg_size 464
		.amdhsa_user_sgpr_count 4
		.amdhsa_user_sgpr_dispatch_ptr 1
		.amdhsa_user_sgpr_queue_ptr 0
		.amdhsa_user_sgpr_kernarg_segment_ptr 1
		.amdhsa_user_sgpr_dispatch_id 0
		.amdhsa_user_sgpr_kernarg_preload_length 0
		.amdhsa_user_sgpr_kernarg_preload_offset 0
		.amdhsa_user_sgpr_private_segment_size 0
		.amdhsa_wavefront_size32 1
		.amdhsa_uses_dynamic_stack 0
		.amdhsa_enable_private_segment 0
		.amdhsa_system_sgpr_workgroup_id_x 1
		.amdhsa_system_sgpr_workgroup_id_y 1
		.amdhsa_system_sgpr_workgroup_id_z 1
		.amdhsa_system_sgpr_workgroup_info 0
		.amdhsa_system_vgpr_workitem_id 2
		.amdhsa_next_free_vgpr 335
		.amdhsa_next_free_sgpr 51
		.amdhsa_named_barrier_count 0
		.amdhsa_reserve_vcc 1
		.amdhsa_float_round_mode_32 0
		.amdhsa_float_round_mode_16_64 0
		.amdhsa_float_denorm_mode_32 3
		.amdhsa_float_denorm_mode_16_64 3
		.amdhsa_fp16_overflow 0
		.amdhsa_memory_ordered 1
		.amdhsa_forward_progress 1
		.amdhsa_inst_pref_size 255
		.amdhsa_round_robin_scheduling 0
		.amdhsa_exception_fp_ieee_invalid_op 0
		.amdhsa_exception_fp_denorm_src 0
		.amdhsa_exception_fp_ieee_div_zero 0
		.amdhsa_exception_fp_ieee_overflow 0
		.amdhsa_exception_fp_ieee_underflow 0
		.amdhsa_exception_fp_ieee_inexact 0
		.amdhsa_exception_int_div_zero 0
	.end_amdhsa_kernel
	.section	.text._ZL18flash_attn_ext_vecILi256ELi2EL9ggml_type6ELS0_6ELb0EEvPKcS2_S2_S2_S2_PKiPfP15HIP_vector_typeIfLj2EEffffjfiS6_IjLj3EEiiiiiiiiiiiliiliiiiil,"axG",@progbits,_ZL18flash_attn_ext_vecILi256ELi2EL9ggml_type6ELS0_6ELb0EEvPKcS2_S2_S2_S2_PKiPfP15HIP_vector_typeIfLj2EEffffjfiS6_IjLj3EEiiiiiiiiiiiliiliiiiil,comdat
.Lfunc_end28:
	.size	_ZL18flash_attn_ext_vecILi256ELi2EL9ggml_type6ELS0_6ELb0EEvPKcS2_S2_S2_S2_PKiPfP15HIP_vector_typeIfLj2EEffffjfiS6_IjLj3EEiiiiiiiiiiiliiliiiiil, .Lfunc_end28-_ZL18flash_attn_ext_vecILi256ELi2EL9ggml_type6ELS0_6ELb0EEvPKcS2_S2_S2_S2_PKiPfP15HIP_vector_typeIfLj2EEffffjfiS6_IjLj3EEiiiiiiiiiiiliiliiiiil
                                        ; -- End function
	.set _ZL18flash_attn_ext_vecILi256ELi2EL9ggml_type6ELS0_6ELb0EEvPKcS2_S2_S2_S2_PKiPfP15HIP_vector_typeIfLj2EEffffjfiS6_IjLj3EEiiiiiiiiiiiliiliiiiil.num_vgpr, 335
	.set _ZL18flash_attn_ext_vecILi256ELi2EL9ggml_type6ELS0_6ELb0EEvPKcS2_S2_S2_S2_PKiPfP15HIP_vector_typeIfLj2EEffffjfiS6_IjLj3EEiiiiiiiiiiiliiliiiiil.num_agpr, 0
	.set _ZL18flash_attn_ext_vecILi256ELi2EL9ggml_type6ELS0_6ELb0EEvPKcS2_S2_S2_S2_PKiPfP15HIP_vector_typeIfLj2EEffffjfiS6_IjLj3EEiiiiiiiiiiiliiliiiiil.numbered_sgpr, 51
	.set _ZL18flash_attn_ext_vecILi256ELi2EL9ggml_type6ELS0_6ELb0EEvPKcS2_S2_S2_S2_PKiPfP15HIP_vector_typeIfLj2EEffffjfiS6_IjLj3EEiiiiiiiiiiiliiliiiiil.num_named_barrier, 0
	.set _ZL18flash_attn_ext_vecILi256ELi2EL9ggml_type6ELS0_6ELb0EEvPKcS2_S2_S2_S2_PKiPfP15HIP_vector_typeIfLj2EEffffjfiS6_IjLj3EEiiiiiiiiiiiliiliiiiil.private_seg_size, 0
	.set _ZL18flash_attn_ext_vecILi256ELi2EL9ggml_type6ELS0_6ELb0EEvPKcS2_S2_S2_S2_PKiPfP15HIP_vector_typeIfLj2EEffffjfiS6_IjLj3EEiiiiiiiiiiiliiliiiiil.uses_vcc, 1
	.set _ZL18flash_attn_ext_vecILi256ELi2EL9ggml_type6ELS0_6ELb0EEvPKcS2_S2_S2_S2_PKiPfP15HIP_vector_typeIfLj2EEffffjfiS6_IjLj3EEiiiiiiiiiiiliiliiiiil.uses_flat_scratch, 0
	.set _ZL18flash_attn_ext_vecILi256ELi2EL9ggml_type6ELS0_6ELb0EEvPKcS2_S2_S2_S2_PKiPfP15HIP_vector_typeIfLj2EEffffjfiS6_IjLj3EEiiiiiiiiiiiliiliiiiil.has_dyn_sized_stack, 0
	.set _ZL18flash_attn_ext_vecILi256ELi2EL9ggml_type6ELS0_6ELb0EEvPKcS2_S2_S2_S2_PKiPfP15HIP_vector_typeIfLj2EEffffjfiS6_IjLj3EEiiiiiiiiiiiliiliiiiil.has_recursion, 0
	.set _ZL18flash_attn_ext_vecILi256ELi2EL9ggml_type6ELS0_6ELb0EEvPKcS2_S2_S2_S2_PKiPfP15HIP_vector_typeIfLj2EEffffjfiS6_IjLj3EEiiiiiiiiiiiliiliiiiil.has_indirect_call, 0
	.section	.AMDGPU.csdata,"",@progbits
; Kernel info:
; codeLenInByte = 57900
; TotalNumSgprs: 53
; NumVgprs: 335
; ScratchSize: 0
; MemoryBound: 0
; FloatMode: 240
; IeeeMode: 1
; LDSByteSize: 6656 bytes/workgroup (compile time only)
; SGPRBlocks: 0
; VGPRBlocks: 20
; NumSGPRsForWavesPerEU: 53
; NumVGPRsForWavesPerEU: 335
; NamedBarCnt: 0
; Occupancy: 3
; WaveLimiterHint : 0
; COMPUTE_PGM_RSRC2:SCRATCH_EN: 0
; COMPUTE_PGM_RSRC2:USER_SGPR: 4
; COMPUTE_PGM_RSRC2:TRAP_HANDLER: 0
; COMPUTE_PGM_RSRC2:TGID_X_EN: 1
; COMPUTE_PGM_RSRC2:TGID_Y_EN: 1
; COMPUTE_PGM_RSRC2:TGID_Z_EN: 1
; COMPUTE_PGM_RSRC2:TIDIG_COMP_CNT: 2
	.section	.text._ZL33flash_attn_stream_k_fixup_uniformILi256ELi2ELi1EEvPfPK15HIP_vector_typeIfLj2EEiiiiiiS1_IjLj3EES5_S5_,"axG",@progbits,_ZL33flash_attn_stream_k_fixup_uniformILi256ELi2ELi1EEvPfPK15HIP_vector_typeIfLj2EEiiiiiiS1_IjLj3EES5_S5_,comdat
	.globl	_ZL33flash_attn_stream_k_fixup_uniformILi256ELi2ELi1EEvPfPK15HIP_vector_typeIfLj2EEiiiiiiS1_IjLj3EES5_S5_ ; -- Begin function _ZL33flash_attn_stream_k_fixup_uniformILi256ELi2ELi1EEvPfPK15HIP_vector_typeIfLj2EEiiiiiiS1_IjLj3EES5_S5_
	.p2align	8
	.type	_ZL33flash_attn_stream_k_fixup_uniformILi256ELi2ELi1EEvPfPK15HIP_vector_typeIfLj2EEiiiiiiS1_IjLj3EES5_S5_,@function
_ZL33flash_attn_stream_k_fixup_uniformILi256ELi2ELi1EEvPfPK15HIP_vector_typeIfLj2EEiiiiiiS1_IjLj3EES5_S5_: ; @_ZL33flash_attn_stream_k_fixup_uniformILi256ELi2ELi1EEvPfPK15HIP_vector_typeIfLj2EEiiiiiiS1_IjLj3EES5_S5_
; %bb.0:
	s_load_b256 s[4:11], s[0:1], 0x1c
	s_bfe_u32 s2, ttmp6, 0x40014
	s_lshr_b32 s3, ttmp7, 16
	s_add_co_i32 s2, s2, 1
	s_bfe_u32 s13, ttmp6, 0x40010
	s_mul_i32 s2, s3, s2
	s_bfe_u32 s12, ttmp6, 0x40008
	s_and_b32 s14, ttmp7, 0xffff
	s_add_co_i32 s13, s13, 1
	s_bfe_u32 s15, ttmp6, 0x4000c
	s_add_co_i32 s2, s12, s2
	s_mul_i32 s12, s14, s13
	s_bfe_u32 s13, ttmp6, 0x40004
	s_add_co_i32 s15, s15, 1
	s_add_co_i32 s13, s13, s12
	s_and_b32 s12, ttmp6, 15
	s_mul_i32 s15, ttmp9, s15
	s_getreg_b32 s20, hwreg(HW_REG_IB_STS2, 6, 4)
	s_add_co_i32 s12, s12, s15
	s_load_b128 s[16:19], s[0:1], 0x3c
	s_cmp_eq_u32 s20, 0
	s_cselect_b32 s12, ttmp9, s12
	s_cselect_b32 s13, s14, s13
	s_wait_kmcnt 0x0
	s_mul_hi_u32 s7, s7, s12
	s_cselect_b32 s14, s3, s2
	s_add_co_i32 s2, s12, s7
	s_delay_alu instid0(SALU_CYCLE_1) | instskip(NEXT) | instid1(SALU_CYCLE_1)
	s_lshr_b32 s7, s2, s8
	s_mul_i32 s2, s7, s9
	s_delay_alu instid0(SALU_CYCLE_1) | instskip(NEXT) | instid1(SALU_CYCLE_1)
	s_sub_co_i32 s8, s12, s2
	s_mul_hi_u32 s2, s8, s10
	s_delay_alu instid0(SALU_CYCLE_1) | instskip(SKIP_2) | instid1(SALU_CYCLE_1)
	s_add_co_i32 s9, s8, s2
	s_load_b64 s[2:3], s[0:1], 0x10
	s_lshr_b32 s15, s9, s11
	s_mul_i32 s9, s15, s16
	s_delay_alu instid0(SALU_CYCLE_1) | instskip(NEXT) | instid1(SALU_CYCLE_1)
	s_sub_co_i32 s8, s8, s9
	s_mul_hi_u32 s9, s8, s17
	s_delay_alu instid0(SALU_CYCLE_1) | instskip(NEXT) | instid1(SALU_CYCLE_1)
	s_add_co_i32 s9, s8, s9
	s_lshr_b32 s16, s9, s18
	s_delay_alu instid0(SALU_CYCLE_1) | instskip(NEXT) | instid1(SALU_CYCLE_1)
	s_mul_i32 s9, s16, s19
	s_sub_co_i32 s17, s8, s9
	s_delay_alu instid0(SALU_CYCLE_1) | instskip(NEXT) | instid1(SALU_CYCLE_1)
	s_lshl_b32 s8, s17, 1
	s_add_co_i32 s8, s8, s13
	s_wait_kmcnt 0x0
	s_cmp_lt_i32 s8, s2
	s_cselect_b32 s8, -1, 0
	s_add_co_i32 s9, s16, s14
	s_delay_alu instid0(SALU_CYCLE_1) | instskip(SKIP_1) | instid1(SALU_CYCLE_1)
	s_cmp_lt_i32 s9, s5
	s_cselect_b32 s9, -1, 0
	s_and_b32 s8, s8, s9
	s_delay_alu instid0(SALU_CYCLE_1)
	s_and_not1_b32 vcc_lo, exec_lo, s8
	s_cbranch_vccnz .LBB29_6
; %bb.1:
	s_mul_i32 s2, s7, s2
	s_load_b128 s[8:11], s[0:1], 0x0
	s_wait_xcnt 0x0
	s_add_co_i32 s0, s2, s13
	s_mul_i32 s15, s15, s5
	s_mul_i32 s0, s0, s3
	;; [unrolled: 1-line block ×3, first 2 shown]
	s_add_co_i32 s0, s0, s14
	s_lshl_b32 s1, s1, 9
	s_add_co_i32 s0, s0, s15
	s_mul_i32 s7, s6, s12
	s_add_co_i32 s0, s0, s16
	s_add_co_i32 s5, s7, s6
	s_lshl_b32 s0, s0, 8
	s_add_co_i32 s13, s13, s14
	s_add_co_i32 s1, s1, s0
	s_lshl_b32 s0, s5, 1
	v_or_b32_e32 v4, s1, v0
	s_add_co_i32 s0, s13, s0
	s_add_co_i32 s2, s5, -2
	s_add_co_i32 s0, s0, -2
	s_delay_alu instid0(SALU_CYCLE_1)
	s_ashr_i32 s1, s0, 31
	s_wait_kmcnt 0x0
	global_load_b32 v3, v4, s[8:9] scale_offset
	s_lshl_b64 s[0:1], s[0:1], 3
	v_ashrrev_i32_e32 v5, 31, v4
	s_add_nc_u64 s[0:1], s[10:11], s[0:1]
	s_cmp_lt_i32 s2, s7
	s_load_b32 s14, s[0:1], 0x4
	s_cbranch_scc1 .LBB29_4
; %bb.2:
	s_wait_xcnt 0x0
	s_load_b32 s0, s[0:1], 0x0
	s_add_co_i32 s12, s12, 1
	s_lshl_b32 s3, s13, 8
	s_wait_xcnt 0x0
	s_mul_i32 s1, s6, s12
	s_lshl_b32 s2, s4, 3
	s_lshl_b32 s6, s1, 9
	;; [unrolled: 1-line block ×3, first 2 shown]
	s_add_co_i32 s6, s3, s6
	s_ashr_i32 s3, s2, 31
	s_wait_kmcnt 0x0
	v_dual_mov_b32 v2, s14 :: v_dual_bitop2_b32 v0, s6, v0 bitop3:0x54
	s_add_co_i32 s1, s13, s1
	s_lshl_b32 s4, s4, 1
	s_lshl_b64 s[2:3], s[2:3], 2
	s_delay_alu instid0(VALU_DEP_1)
	v_add_nc_u32_e32 v0, 0xfffffc00, v0
	s_add_co_i32 s4, s1, s4
	s_add_nc_u64 s[2:3], s[10:11], s[2:3]
	s_add_co_i32 s1, s5, -1
	s_add_co_i32 s4, s4, -4
.LBB29_3:                               ; =>This Inner Loop Header: Depth=1
	global_load_b32 v7, v0, s[2:3] scale_offset
	s_ashr_i32 s5, s4, 31
	v_max_num_f32_e64 v1, s0, s0
	s_lshl_b64 s[12:13], s[4:5], 3
	s_delay_alu instid0(SALU_CYCLE_1) | instskip(SKIP_1) | instid1(VALU_DEP_1)
	s_add_nc_u64 s[12:13], s[10:11], s[12:13]
	s_load_b64 s[12:13], s[12:13], 0x0
	v_readfirstlane_b32 s5, v1
	v_add_nc_u32_e32 v0, 0xfffffe00, v0
	s_wait_kmcnt 0x0
	v_max_num_f32_e64 v1, s12, s12
	s_delay_alu instid0(VALU_DEP_1) | instskip(SKIP_1) | instid1(SALU_CYCLE_3)
	v_readfirstlane_b32 s6, v1
	s_max_num_f32 s5, s5, s6
	s_sub_f32 s0, s0, s5
	s_sub_f32 s6, s12, s5
	s_delay_alu instid0(SALU_CYCLE_2) | instskip(NEXT) | instid1(SALU_CYCLE_2)
	s_mul_f32 s12, s0, 0x3fb8aa3b
	s_mul_f32 s14, s6, 0x3fb8aa3b
	s_delay_alu instid0(SALU_CYCLE_2)
	s_xor_b32 s15, s12, 0x80000000
	s_rndne_f32 s16, s12
	s_fmamk_f32 s15, s0, 0x3fb8aa3b, s15
	s_cmp_nlt_f32 s0, 0xc2ce8ed0
	s_rndne_f32 s17, s14
	s_sub_f32 s12, s12, s16
	s_fmamk_f32 s15, s0, 0x32a5705f, s15
	s_cselect_b32 vcc_lo, -1, 0
	s_cmp_ngt_f32 s0, 0x42b17218
	s_delay_alu instid0(SALU_CYCLE_1) | instskip(SKIP_2) | instid1(SALU_CYCLE_1)
	s_add_f32 s12, s12, s15
	s_cvt_i32_f32 s15, s16
	s_sub_f32 s16, s14, s17
	v_s_exp_f32 s12, s12
	v_nop
	s_delay_alu instid0(TRANS32_DEP_1) | instskip(SKIP_1) | instid1(VALU_DEP_1)
	v_ldexp_f32 v1, s12, s15
	s_cvt_i32_f32 s12, s17
	v_cndmask_b32_e32 v1, 0, v1, vcc_lo
	s_cselect_b32 vcc_lo, -1, 0
	s_cmp_ge_f32 s0, 0xc1a00000
	s_delay_alu instid0(VALU_DEP_1)
	v_cndmask_b32_e32 v1, 0x7f800000, v1, vcc_lo
	s_cselect_b32 vcc_lo, -1, 0
	s_xor_b32 s0, s14, 0x80000000
	s_cmp_nlt_f32 s6, 0xc2ce8ed0
	s_fmamk_f32 s0, s6, 0x3fb8aa3b, s0
	v_cndmask_b32_e32 v10, 0, v1, vcc_lo
	s_delay_alu instid0(SALU_CYCLE_2) | instskip(NEXT) | instid1(SALU_CYCLE_3)
	s_fmamk_f32 s0, s6, 0x32a5705f, s0
	s_add_f32 s0, s16, s0
	s_delay_alu instid0(SALU_CYCLE_3) | instskip(SKIP_1) | instid1(TRANS32_DEP_1)
	v_s_exp_f32 s0, s0
	v_nop
	v_ldexp_f32 v6, s0, s12
	s_cselect_b32 s0, -1, 0
	s_cmp_ngt_f32 s6, 0x42b17218
	s_delay_alu instid0(VALU_DEP_1) | instskip(SKIP_2) | instid1(VALU_DEP_1)
	v_cndmask_b32_e64 v6, 0, v6, s0
	s_cselect_b32 s0, -1, 0
	s_cmp_ge_f32 s6, 0xc1a00000
	v_cndmask_b32_e64 v8, 0x7f800000, v6, s0
	s_cselect_b32 s0, -1, 0
	v_mov_b32_e32 v6, s13
	s_add_co_i32 s1, s1, -1
	s_add_co_i32 s4, s4, -2
	v_cndmask_b32_e64 v8, 0, v8, s0
	s_cmp_le_i32 s1, s7
	s_mov_b32 s0, s5
	s_wait_loadcnt 0x0
	s_delay_alu instid0(VALU_DEP_1) | instskip(NEXT) | instid1(VALU_DEP_1)
	v_pk_mul_f32 v[6:7], v[6:7], v[8:9] op_sel_hi:[1,0]
	v_pk_fma_f32 v[2:3], v[2:3], v[10:11], v[6:7] op_sel_hi:[1,0,1]
	s_cbranch_scc0 .LBB29_3
	s_branch .LBB29_5
.LBB29_4:
	s_wait_kmcnt 0x0
	v_mov_b32_e32 v2, s14
.LBB29_5:
	v_lshl_add_u64 v[0:1], v[4:5], 2, s[8:9]
	s_wait_loadcnt 0x0
	s_delay_alu instid0(VALU_DEP_2) | instskip(NEXT) | instid1(VALU_DEP_1)
	v_div_scale_f32 v4, null, v2, v2, v3
	v_rcp_f32_e32 v5, v4
	v_nop
	s_delay_alu instid0(TRANS32_DEP_1) | instskip(NEXT) | instid1(VALU_DEP_1)
	v_fma_f32 v6, -v4, v5, 1.0
	v_fmac_f32_e32 v5, v6, v5
	v_div_scale_f32 v6, vcc_lo, v3, v2, v3
	s_delay_alu instid0(VALU_DEP_1) | instskip(NEXT) | instid1(VALU_DEP_1)
	v_mul_f32_e32 v7, v6, v5
	v_fma_f32 v8, -v4, v7, v6
	s_delay_alu instid0(VALU_DEP_1) | instskip(NEXT) | instid1(VALU_DEP_1)
	v_fmac_f32_e32 v7, v8, v5
	v_fma_f32 v4, -v4, v7, v6
	s_delay_alu instid0(VALU_DEP_1) | instskip(NEXT) | instid1(VALU_DEP_1)
	v_div_fmas_f32 v4, v4, v5, v7
	v_div_fixup_f32 v2, v4, v2, v3
	global_store_b32 v[0:1], v2, off
.LBB29_6:
	s_endpgm
	.section	.rodata,"a",@progbits
	.p2align	6, 0x0
	.amdhsa_kernel _ZL33flash_attn_stream_k_fixup_uniformILi256ELi2ELi1EEvPfPK15HIP_vector_typeIfLj2EEiiiiiiS1_IjLj3EES5_S5_
		.amdhsa_group_segment_fixed_size 0
		.amdhsa_private_segment_fixed_size 0
		.amdhsa_kernarg_size 76
		.amdhsa_user_sgpr_count 2
		.amdhsa_user_sgpr_dispatch_ptr 0
		.amdhsa_user_sgpr_queue_ptr 0
		.amdhsa_user_sgpr_kernarg_segment_ptr 1
		.amdhsa_user_sgpr_dispatch_id 0
		.amdhsa_user_sgpr_kernarg_preload_length 0
		.amdhsa_user_sgpr_kernarg_preload_offset 0
		.amdhsa_user_sgpr_private_segment_size 0
		.amdhsa_wavefront_size32 1
		.amdhsa_uses_dynamic_stack 0
		.amdhsa_enable_private_segment 0
		.amdhsa_system_sgpr_workgroup_id_x 1
		.amdhsa_system_sgpr_workgroup_id_y 1
		.amdhsa_system_sgpr_workgroup_id_z 1
		.amdhsa_system_sgpr_workgroup_info 0
		.amdhsa_system_vgpr_workitem_id 0
		.amdhsa_next_free_vgpr 12
		.amdhsa_next_free_sgpr 21
		.amdhsa_named_barrier_count 0
		.amdhsa_reserve_vcc 1
		.amdhsa_float_round_mode_32 0
		.amdhsa_float_round_mode_16_64 0
		.amdhsa_float_denorm_mode_32 3
		.amdhsa_float_denorm_mode_16_64 3
		.amdhsa_fp16_overflow 0
		.amdhsa_memory_ordered 1
		.amdhsa_forward_progress 1
		.amdhsa_inst_pref_size 9
		.amdhsa_round_robin_scheduling 0
		.amdhsa_exception_fp_ieee_invalid_op 0
		.amdhsa_exception_fp_denorm_src 0
		.amdhsa_exception_fp_ieee_div_zero 0
		.amdhsa_exception_fp_ieee_overflow 0
		.amdhsa_exception_fp_ieee_underflow 0
		.amdhsa_exception_fp_ieee_inexact 0
		.amdhsa_exception_int_div_zero 0
	.end_amdhsa_kernel
	.section	.text._ZL33flash_attn_stream_k_fixup_uniformILi256ELi2ELi1EEvPfPK15HIP_vector_typeIfLj2EEiiiiiiS1_IjLj3EES5_S5_,"axG",@progbits,_ZL33flash_attn_stream_k_fixup_uniformILi256ELi2ELi1EEvPfPK15HIP_vector_typeIfLj2EEiiiiiiS1_IjLj3EES5_S5_,comdat
.Lfunc_end29:
	.size	_ZL33flash_attn_stream_k_fixup_uniformILi256ELi2ELi1EEvPfPK15HIP_vector_typeIfLj2EEiiiiiiS1_IjLj3EES5_S5_, .Lfunc_end29-_ZL33flash_attn_stream_k_fixup_uniformILi256ELi2ELi1EEvPfPK15HIP_vector_typeIfLj2EEiiiiiiS1_IjLj3EES5_S5_
                                        ; -- End function
	.set _ZL33flash_attn_stream_k_fixup_uniformILi256ELi2ELi1EEvPfPK15HIP_vector_typeIfLj2EEiiiiiiS1_IjLj3EES5_S5_.num_vgpr, 12
	.set _ZL33flash_attn_stream_k_fixup_uniformILi256ELi2ELi1EEvPfPK15HIP_vector_typeIfLj2EEiiiiiiS1_IjLj3EES5_S5_.num_agpr, 0
	.set _ZL33flash_attn_stream_k_fixup_uniformILi256ELi2ELi1EEvPfPK15HIP_vector_typeIfLj2EEiiiiiiS1_IjLj3EES5_S5_.numbered_sgpr, 21
	.set _ZL33flash_attn_stream_k_fixup_uniformILi256ELi2ELi1EEvPfPK15HIP_vector_typeIfLj2EEiiiiiiS1_IjLj3EES5_S5_.num_named_barrier, 0
	.set _ZL33flash_attn_stream_k_fixup_uniformILi256ELi2ELi1EEvPfPK15HIP_vector_typeIfLj2EEiiiiiiS1_IjLj3EES5_S5_.private_seg_size, 0
	.set _ZL33flash_attn_stream_k_fixup_uniformILi256ELi2ELi1EEvPfPK15HIP_vector_typeIfLj2EEiiiiiiS1_IjLj3EES5_S5_.uses_vcc, 1
	.set _ZL33flash_attn_stream_k_fixup_uniformILi256ELi2ELi1EEvPfPK15HIP_vector_typeIfLj2EEiiiiiiS1_IjLj3EES5_S5_.uses_flat_scratch, 0
	.set _ZL33flash_attn_stream_k_fixup_uniformILi256ELi2ELi1EEvPfPK15HIP_vector_typeIfLj2EEiiiiiiS1_IjLj3EES5_S5_.has_dyn_sized_stack, 0
	.set _ZL33flash_attn_stream_k_fixup_uniformILi256ELi2ELi1EEvPfPK15HIP_vector_typeIfLj2EEiiiiiiS1_IjLj3EES5_S5_.has_recursion, 0
	.set _ZL33flash_attn_stream_k_fixup_uniformILi256ELi2ELi1EEvPfPK15HIP_vector_typeIfLj2EEiiiiiiS1_IjLj3EES5_S5_.has_indirect_call, 0
	.section	.AMDGPU.csdata,"",@progbits
; Kernel info:
; codeLenInByte = 1080
; TotalNumSgprs: 23
; NumVgprs: 12
; ScratchSize: 0
; MemoryBound: 0
; FloatMode: 240
; IeeeMode: 1
; LDSByteSize: 0 bytes/workgroup (compile time only)
; SGPRBlocks: 0
; VGPRBlocks: 0
; NumSGPRsForWavesPerEU: 23
; NumVGPRsForWavesPerEU: 12
; NamedBarCnt: 0
; Occupancy: 16
; WaveLimiterHint : 0
; COMPUTE_PGM_RSRC2:SCRATCH_EN: 0
; COMPUTE_PGM_RSRC2:USER_SGPR: 2
; COMPUTE_PGM_RSRC2:TRAP_HANDLER: 0
; COMPUTE_PGM_RSRC2:TGID_X_EN: 1
; COMPUTE_PGM_RSRC2:TGID_Y_EN: 1
; COMPUTE_PGM_RSRC2:TGID_Z_EN: 1
; COMPUTE_PGM_RSRC2:TIDIG_COMP_CNT: 0
	.section	.text._ZL33flash_attn_stream_k_fixup_generalILi256ELi2ELi1EEvPfPK15HIP_vector_typeIfLj2EEiiiiS1_IjLj3EES5_S5_S5_,"axG",@progbits,_ZL33flash_attn_stream_k_fixup_generalILi256ELi2ELi1EEvPfPK15HIP_vector_typeIfLj2EEiiiiS1_IjLj3EES5_S5_S5_,comdat
	.globl	_ZL33flash_attn_stream_k_fixup_generalILi256ELi2ELi1EEvPfPK15HIP_vector_typeIfLj2EEiiiiS1_IjLj3EES5_S5_S5_ ; -- Begin function _ZL33flash_attn_stream_k_fixup_generalILi256ELi2ELi1EEvPfPK15HIP_vector_typeIfLj2EEiiiiS1_IjLj3EES5_S5_S5_
	.p2align	8
	.type	_ZL33flash_attn_stream_k_fixup_generalILi256ELi2ELi1EEvPfPK15HIP_vector_typeIfLj2EEiiiiS1_IjLj3EES5_S5_S5_,@function
_ZL33flash_attn_stream_k_fixup_generalILi256ELi2ELi1EEvPfPK15HIP_vector_typeIfLj2EEiiiiS1_IjLj3EES5_S5_S5_: ; @_ZL33flash_attn_stream_k_fixup_generalILi256ELi2ELi1EEvPfPK15HIP_vector_typeIfLj2EEiiiiS1_IjLj3EES5_S5_S5_
; %bb.0:
	s_clause 0x1
	s_load_b128 s[4:7], s[0:1], 0x10
	s_load_b32 s16, s[0:1], 0x50
	s_bfe_u32 s2, ttmp6, 0x4000c
	s_and_b32 s3, ttmp6, 15
	s_add_co_i32 s2, s2, 1
	s_getreg_b32 s15, hwreg(HW_REG_IB_STS2, 6, 4)
	s_mul_i32 s2, ttmp9, s2
	s_mov_b32 s17, 0
	s_add_co_i32 s3, s3, s2
	s_cmp_eq_u32 s15, 0
	s_cselect_b32 s2, ttmp9, s3
	s_delay_alu instid0(SALU_CYCLE_1) | instskip(SKIP_3) | instid1(SALU_CYCLE_1)
	s_ashr_i32 s3, s2, 31
	s_wait_kmcnt 0x0
	s_ashr_i32 s19, s7, 31
	s_mov_b32 s18, s7
	s_mul_u64 s[8:9], s[18:19], s[2:3]
	s_delay_alu instid0(SALU_CYCLE_1) | instskip(NEXT) | instid1(SALU_CYCLE_1)
	s_and_b64 s[10:11], s[8:9], 0xffffffff00000000
	s_cmp_lg_u64 s[10:11], 0
	s_cbranch_scc0 .LBB30_21
; %bb.1:
	s_add_nc_u64 s[10:11], s[16:17], 0
	s_mov_b32 s23, s17
	s_xor_b64 s[10:11], s[10:11], 0
	s_mov_b32 s27, s17
	s_cvt_f32_u32 s3, s10
	s_cvt_f32_u32 s7, s11
	s_sub_nc_u64 s[20:21], 0, s[10:11]
	s_delay_alu instid0(SALU_CYCLE_2) | instskip(NEXT) | instid1(SALU_CYCLE_3)
	s_fmamk_f32 s3, s7, 0x4f800000, s3
	v_s_rcp_f32 s3, s3
	s_delay_alu instid0(TRANS32_DEP_1) | instskip(NEXT) | instid1(SALU_CYCLE_3)
	s_mul_f32 s3, s3, 0x5f7ffffc
	s_mul_f32 s7, s3, 0x2f800000
	s_delay_alu instid0(SALU_CYCLE_3) | instskip(NEXT) | instid1(SALU_CYCLE_3)
	s_trunc_f32 s7, s7
	s_fmamk_f32 s3, s7, 0xcf800000, s3
	s_cvt_u32_f32 s13, s7
	s_delay_alu instid0(SALU_CYCLE_2) | instskip(NEXT) | instid1(SALU_CYCLE_3)
	s_cvt_u32_f32 s12, s3
	s_mul_u64 s[24:25], s[20:21], s[12:13]
	s_delay_alu instid0(SALU_CYCLE_1)
	s_mul_hi_u32 s29, s12, s25
	s_mul_i32 s28, s12, s25
	s_mul_hi_u32 s22, s12, s24
	s_mul_i32 s7, s13, s24
	s_add_nc_u64 s[22:23], s[22:23], s[28:29]
	s_mul_hi_u32 s3, s13, s24
	s_mul_hi_u32 s14, s13, s25
	s_add_co_u32 s7, s22, s7
	s_add_co_ci_u32 s26, s23, s3
	s_mul_i32 s24, s13, s25
	s_add_co_ci_u32 s25, s14, 0
	s_delay_alu instid0(SALU_CYCLE_1) | instskip(SKIP_3) | instid1(SALU_CYCLE_1)
	s_add_nc_u64 s[22:23], s[26:27], s[24:25]
	s_mov_b32 s25, s17
	s_add_co_u32 s12, s12, s22
	s_cselect_b32 s3, -1, 0
	s_cmp_lg_u32 s3, 0
	s_add_co_ci_u32 s13, s13, s23
	s_mov_b32 s23, s17
	s_mul_u64 s[20:21], s[20:21], s[12:13]
	s_delay_alu instid0(SALU_CYCLE_1)
	s_mul_hi_u32 s27, s12, s21
	s_mul_i32 s26, s12, s21
	s_mul_hi_u32 s22, s12, s20
	s_mul_i32 s7, s13, s20
	s_add_nc_u64 s[22:23], s[22:23], s[26:27]
	s_mul_hi_u32 s3, s13, s20
	s_mul_hi_u32 s14, s13, s21
	s_add_co_u32 s7, s22, s7
	s_add_co_ci_u32 s24, s23, s3
	s_mul_i32 s20, s13, s21
	s_add_co_ci_u32 s21, s14, 0
	s_mov_b32 s23, s17
	s_add_nc_u64 s[20:21], s[24:25], s[20:21]
	s_delay_alu instid0(SALU_CYCLE_1) | instskip(SKIP_1) | instid1(SALU_CYCLE_1)
	s_add_co_u32 s3, s12, s20
	s_cselect_b32 s7, -1, 0
	s_cmp_lg_u32 s7, 0
	s_add_co_ci_u32 s7, s13, s21
	s_ashr_i32 s12, s9, 31
	s_delay_alu instid0(SALU_CYCLE_1) | instskip(NEXT) | instid1(SALU_CYCLE_1)
	s_mov_b32 s13, s12
	s_add_nc_u64 s[20:21], s[8:9], s[12:13]
	s_delay_alu instid0(SALU_CYCLE_1) | instskip(NEXT) | instid1(SALU_CYCLE_1)
	s_xor_b64 s[20:21], s[20:21], s[12:13]
	s_mul_hi_u32 s27, s20, s7
	s_mul_i32 s26, s20, s7
	s_mul_hi_u32 s22, s20, s3
	s_mul_hi_u32 s14, s21, s3
	s_mul_i32 s3, s21, s3
	s_add_nc_u64 s[22:23], s[22:23], s[26:27]
	s_mul_hi_u32 s9, s21, s7
	s_add_co_u32 s3, s22, s3
	s_add_co_ci_u32 s24, s23, s14
	s_mul_i32 s26, s21, s7
	s_add_co_ci_u32 s27, s9, 0
	s_delay_alu instid0(SALU_CYCLE_1) | instskip(NEXT) | instid1(SALU_CYCLE_1)
	s_add_nc_u64 s[22:23], s[24:25], s[26:27]
	s_and_b64 s[24:25], s[22:23], 0xffffffff00000000
	s_delay_alu instid0(SALU_CYCLE_1) | instskip(NEXT) | instid1(SALU_CYCLE_1)
	s_or_b32 s24, s24, s22
	s_mul_u64 s[22:23], s[10:11], s[24:25]
	s_add_nc_u64 s[26:27], s[24:25], 1
	s_sub_co_u32 s3, s20, s22
	s_cselect_b32 s7, -1, 0
	s_sub_co_i32 s9, s21, s23
	s_cmp_lg_u32 s7, 0
	s_add_nc_u64 s[28:29], s[24:25], 2
	s_sub_co_ci_u32 s9, s9, s11
	s_sub_co_u32 s14, s3, s10
	s_cselect_b32 s20, -1, 0
	s_delay_alu instid0(SALU_CYCLE_1) | instskip(SKIP_1) | instid1(SALU_CYCLE_1)
	s_cmp_lg_u32 s20, 0
	s_sub_co_ci_u32 s9, s9, 0
	s_cmp_ge_u32 s9, s11
	s_cselect_b32 s20, -1, 0
	s_cmp_ge_u32 s14, s10
	s_cselect_b32 s14, -1, 0
	s_cmp_eq_u32 s9, s11
	s_cselect_b32 s9, s14, s20
	s_delay_alu instid0(SALU_CYCLE_1) | instskip(SKIP_4) | instid1(SALU_CYCLE_1)
	s_cmp_lg_u32 s9, 0
	s_cselect_b32 s9, s28, s26
	s_cselect_b32 s14, s29, s27
	s_cmp_lg_u32 s7, 0
	s_sub_co_ci_u32 s7, s21, s23
	s_cmp_ge_u32 s7, s11
	s_cselect_b32 s20, -1, 0
	s_cmp_ge_u32 s3, s10
	s_cselect_b32 s3, -1, 0
	s_cmp_eq_u32 s7, s11
	s_cselect_b32 s3, s3, s20
	s_delay_alu instid0(SALU_CYCLE_1) | instskip(SKIP_4) | instid1(SALU_CYCLE_1)
	s_cmp_lg_u32 s3, 0
	s_mov_b32 s3, s17
	s_cselect_b32 s11, s14, s25
	s_cselect_b32 s10, s9, s24
	s_xor_b64 s[12:13], s[12:13], 0
	s_xor_b64 s[10:11], s[10:11], s[12:13]
	s_delay_alu instid0(SALU_CYCLE_1)
	s_sub_nc_u64 s[20:21], s[10:11], s[12:13]
	s_and_not1_b32 vcc_lo, exec_lo, s3
	s_cbranch_vccnz .LBB30_3
.LBB30_2:
	v_cvt_f32_u32_e32 v1, s16
	s_sub_co_i32 s7, 0, s16
	s_mov_b32 s21, 0
	s_delay_alu instid0(VALU_DEP_1) | instskip(SKIP_1) | instid1(TRANS32_DEP_1)
	v_rcp_iflag_f32_e32 v1, v1
	v_nop
	v_mul_f32_e32 v1, 0x4f7ffffe, v1
	s_delay_alu instid0(VALU_DEP_1) | instskip(NEXT) | instid1(VALU_DEP_1)
	v_cvt_u32_f32_e32 v1, v1
	v_readfirstlane_b32 s3, v1
	s_mul_i32 s7, s7, s3
	s_delay_alu instid0(SALU_CYCLE_1) | instskip(NEXT) | instid1(SALU_CYCLE_1)
	s_mul_hi_u32 s7, s3, s7
	s_add_co_i32 s3, s3, s7
	s_delay_alu instid0(SALU_CYCLE_1) | instskip(NEXT) | instid1(SALU_CYCLE_1)
	s_mul_hi_u32 s3, s8, s3
	s_mul_i32 s7, s3, s16
	s_delay_alu instid0(SALU_CYCLE_1)
	s_sub_co_i32 s7, s8, s7
	s_add_co_i32 s8, s3, 1
	s_sub_co_i32 s9, s7, s16
	s_cmp_ge_u32 s7, s16
	s_cselect_b32 s3, s8, s3
	s_cselect_b32 s7, s9, s7
	s_add_co_i32 s8, s3, 1
	s_cmp_ge_u32 s7, s16
	s_cselect_b32 s20, s8, s3
.LBB30_3:
	s_add_co_i32 s8, s2, 1
	s_delay_alu instid0(SALU_CYCLE_1) | instskip(NEXT) | instid1(SALU_CYCLE_1)
	s_ashr_i32 s9, s8, 31
	s_mul_u64 s[8:9], s[18:19], s[8:9]
	s_delay_alu instid0(SALU_CYCLE_1) | instskip(NEXT) | instid1(SALU_CYCLE_1)
	s_and_b64 s[10:11], s[8:9], 0xffffffff00000000
	s_cmp_lg_u64 s[10:11], 0
	s_cbranch_scc0 .LBB30_22
; %bb.4:
	s_add_nc_u64 s[10:11], s[16:17], 0
	s_delay_alu instid0(SALU_CYCLE_1) | instskip(SKIP_4) | instid1(SALU_CYCLE_2)
	s_xor_b64 s[12:13], s[10:11], 0
	s_mov_b32 s11, 0
	s_cvt_f32_u32 s3, s12
	s_cvt_f32_u32 s7, s13
	s_sub_nc_u64 s[24:25], 0, s[12:13]
	s_fmamk_f32 s3, s7, 0x4f800000, s3
	s_delay_alu instid0(SALU_CYCLE_3) | instskip(NEXT) | instid1(TRANS32_DEP_1)
	v_s_rcp_f32 s3, s3
	s_mul_f32 s3, s3, 0x5f7ffffc
	s_delay_alu instid0(SALU_CYCLE_3) | instskip(NEXT) | instid1(SALU_CYCLE_3)
	s_mul_f32 s7, s3, 0x2f800000
	s_trunc_f32 s7, s7
	s_delay_alu instid0(SALU_CYCLE_3) | instskip(SKIP_1) | instid1(SALU_CYCLE_2)
	s_fmamk_f32 s3, s7, 0xcf800000, s3
	s_cvt_u32_f32 s23, s7
	s_cvt_u32_f32 s22, s3
	s_delay_alu instid0(SALU_CYCLE_3) | instskip(NEXT) | instid1(SALU_CYCLE_1)
	s_mul_u64 s[26:27], s[24:25], s[22:23]
	s_mul_hi_u32 s29, s22, s27
	s_mul_i32 s28, s22, s27
	s_mul_hi_u32 s10, s22, s26
	s_mul_i32 s7, s23, s26
	s_add_nc_u64 s[28:29], s[10:11], s[28:29]
	s_mul_hi_u32 s3, s23, s26
	s_mul_hi_u32 s14, s23, s27
	s_add_co_u32 s7, s28, s7
	s_add_co_ci_u32 s10, s29, s3
	s_mul_i32 s26, s23, s27
	s_add_co_ci_u32 s27, s14, 0
	s_delay_alu instid0(SALU_CYCLE_1) | instskip(NEXT) | instid1(SALU_CYCLE_1)
	s_add_nc_u64 s[26:27], s[10:11], s[26:27]
	s_add_co_u32 s22, s22, s26
	s_cselect_b32 s3, -1, 0
	s_delay_alu instid0(SALU_CYCLE_1) | instskip(SKIP_1) | instid1(SALU_CYCLE_1)
	s_cmp_lg_u32 s3, 0
	s_add_co_ci_u32 s23, s23, s27
	s_mul_u64 s[24:25], s[24:25], s[22:23]
	s_delay_alu instid0(SALU_CYCLE_1)
	s_mul_hi_u32 s27, s22, s25
	s_mul_i32 s26, s22, s25
	s_mul_hi_u32 s10, s22, s24
	s_mul_i32 s7, s23, s24
	s_add_nc_u64 s[26:27], s[10:11], s[26:27]
	s_mul_hi_u32 s3, s23, s24
	s_mul_hi_u32 s14, s23, s25
	s_add_co_u32 s7, s26, s7
	s_add_co_ci_u32 s10, s27, s3
	s_mul_i32 s24, s23, s25
	s_add_co_ci_u32 s25, s14, 0
	s_delay_alu instid0(SALU_CYCLE_1) | instskip(NEXT) | instid1(SALU_CYCLE_1)
	s_add_nc_u64 s[24:25], s[10:11], s[24:25]
	s_add_co_u32 s3, s22, s24
	s_cselect_b32 s7, -1, 0
	s_delay_alu instid0(SALU_CYCLE_1) | instskip(SKIP_2) | instid1(SALU_CYCLE_1)
	s_cmp_lg_u32 s7, 0
	s_add_co_ci_u32 s7, s23, s25
	s_ashr_i32 s22, s9, 31
	s_mov_b32 s23, s22
	s_delay_alu instid0(SALU_CYCLE_1) | instskip(NEXT) | instid1(SALU_CYCLE_1)
	s_add_nc_u64 s[24:25], s[8:9], s[22:23]
	s_xor_b64 s[24:25], s[24:25], s[22:23]
	s_delay_alu instid0(SALU_CYCLE_1)
	s_mul_hi_u32 s27, s24, s7
	s_mul_i32 s26, s24, s7
	s_mul_hi_u32 s10, s24, s3
	s_mul_hi_u32 s14, s25, s3
	s_mul_i32 s3, s25, s3
	s_add_nc_u64 s[26:27], s[10:11], s[26:27]
	s_mul_hi_u32 s9, s25, s7
	s_add_co_u32 s3, s26, s3
	s_add_co_ci_u32 s10, s27, s14
	s_mul_i32 s28, s25, s7
	s_add_co_ci_u32 s29, s9, 0
	s_delay_alu instid0(SALU_CYCLE_1) | instskip(NEXT) | instid1(SALU_CYCLE_1)
	s_add_nc_u64 s[26:27], s[10:11], s[28:29]
	s_and_b64 s[28:29], s[26:27], 0xffffffff00000000
	s_delay_alu instid0(SALU_CYCLE_1) | instskip(NEXT) | instid1(SALU_CYCLE_1)
	s_or_b32 s28, s28, s26
	s_mul_u64 s[26:27], s[12:13], s[28:29]
	s_add_nc_u64 s[30:31], s[28:29], 1
	s_sub_co_u32 s3, s24, s26
	s_cselect_b32 s7, -1, 0
	s_sub_co_i32 s9, s25, s27
	s_cmp_lg_u32 s7, 0
	s_add_nc_u64 s[34:35], s[28:29], 2
	s_sub_co_ci_u32 s9, s9, s13
	s_sub_co_u32 s10, s3, s12
	s_cselect_b32 s14, -1, 0
	s_delay_alu instid0(SALU_CYCLE_1) | instskip(SKIP_1) | instid1(SALU_CYCLE_1)
	s_cmp_lg_u32 s14, 0
	s_sub_co_ci_u32 s9, s9, 0
	s_cmp_ge_u32 s9, s13
	s_cselect_b32 s14, -1, 0
	s_cmp_ge_u32 s10, s12
	s_cselect_b32 s10, -1, 0
	s_cmp_eq_u32 s9, s13
	s_cselect_b32 s9, s10, s14
	s_delay_alu instid0(SALU_CYCLE_1) | instskip(SKIP_4) | instid1(SALU_CYCLE_1)
	s_cmp_lg_u32 s9, 0
	s_cselect_b32 s9, s34, s30
	s_cselect_b32 s10, s35, s31
	s_cmp_lg_u32 s7, 0
	s_sub_co_ci_u32 s7, s25, s27
	s_cmp_ge_u32 s7, s13
	s_cselect_b32 s14, -1, 0
	s_cmp_ge_u32 s3, s12
	s_cselect_b32 s3, -1, 0
	s_cmp_eq_u32 s7, s13
	s_cselect_b32 s3, s3, s14
	s_delay_alu instid0(SALU_CYCLE_1) | instskip(SKIP_3) | instid1(SALU_CYCLE_1)
	s_cmp_lg_u32 s3, 0
	s_cselect_b32 s13, s10, s29
	s_cselect_b32 s12, s9, s28
	s_xor_b64 s[22:23], s[22:23], 0
	s_xor_b64 s[12:13], s[12:13], s[22:23]
	s_delay_alu instid0(SALU_CYCLE_1)
	s_sub_nc_u64 s[24:25], s[12:13], s[22:23]
	s_load_b96 s[12:14], s[0:1], 0x44
	s_cbranch_execnz .LBB30_6
.LBB30_5:
	v_cvt_f32_u32_e32 v1, s16
	s_sub_co_i32 s7, 0, s16
	s_delay_alu instid0(VALU_DEP_1) | instskip(SKIP_1) | instid1(TRANS32_DEP_1)
	v_rcp_iflag_f32_e32 v1, v1
	v_nop
	v_mul_f32_e32 v1, 0x4f7ffffe, v1
	s_delay_alu instid0(VALU_DEP_1) | instskip(NEXT) | instid1(VALU_DEP_1)
	v_cvt_u32_f32_e32 v1, v1
	v_readfirstlane_b32 s3, v1
	s_mul_i32 s7, s7, s3
	s_delay_alu instid0(SALU_CYCLE_1) | instskip(NEXT) | instid1(SALU_CYCLE_1)
	s_mul_hi_u32 s7, s3, s7
	s_add_co_i32 s3, s3, s7
	s_delay_alu instid0(SALU_CYCLE_1) | instskip(NEXT) | instid1(SALU_CYCLE_1)
	s_mul_hi_u32 s3, s8, s3
	s_mul_i32 s7, s3, s16
	s_delay_alu instid0(SALU_CYCLE_1)
	s_sub_co_i32 s7, s8, s7
	s_add_co_i32 s8, s3, 1
	s_sub_co_i32 s9, s7, s16
	s_cmp_ge_u32 s7, s16
	s_cselect_b32 s3, s8, s3
	s_cselect_b32 s7, s9, s7
	s_add_co_i32 s8, s3, 1
	s_cmp_ge_u32 s7, s16
	s_cselect_b32 s24, s8, s3
.LBB30_6:
	s_delay_alu instid0(SALU_CYCLE_1)
	s_cmp_eq_u32 s20, s24
	s_mov_b64 s[8:9], 0xffffffff
	s_cselect_b32 s3, -1, 0
	s_and_b64 s[8:9], s[20:21], s[8:9]
	s_mov_b32 s23, 0
	s_wait_kmcnt 0x0
	s_mov_b32 s22, s12
	s_mov_b32 s25, s23
	s_mul_u64 s[10:11], s[8:9], s[22:23]
	s_delay_alu instid0(SALU_CYCLE_1) | instskip(SKIP_2) | instid1(SALU_CYCLE_1)
	s_add_co_i32 s7, s11, s20
	s_mul_u64 s[10:11], s[24:25], s[22:23]
	s_lshr_b32 s12, s7, s13
	s_mul_i32 s7, s12, s14
	s_delay_alu instid0(SALU_CYCLE_1) | instskip(SKIP_2) | instid1(SALU_CYCLE_1)
	s_cmp_eq_u32 s7, s20
	s_cselect_b32 s7, -1, 0
	s_add_co_i32 s10, s11, s24
	s_lshr_b32 s10, s10, s13
	s_delay_alu instid0(SALU_CYCLE_1)
	s_cmp_eq_u32 s12, s10
	s_mul_i32 s10, s10, s14
	s_cselect_b32 s11, -1, 0
	s_cmp_lg_u32 s10, s24
	s_cselect_b32 s10, -1, 0
	s_or_b32 s3, s3, s7
	s_and_b32 s10, s11, s10
	s_delay_alu instid0(SALU_CYCLE_1) | instskip(NEXT) | instid1(SALU_CYCLE_1)
	s_or_b32 s3, s3, s10
	s_and_b32 vcc_lo, exec_lo, s3
	s_cbranch_vccnz .LBB30_24
; %bb.7:
	s_load_b256 s[24:31], s[0:1], 0x20
	s_bfe_u32 s7, ttmp6, 0x40014
	s_bfe_u32 s33, ttmp6, 0x40010
	s_lshr_b32 s3, ttmp7, 16
	s_add_co_i32 s7, s7, 1
	s_and_b32 s21, ttmp7, 0xffff
	s_add_co_i32 s33, s33, 1
	s_bfe_u32 s10, ttmp6, 0x40008
	s_mul_i32 s7, s3, s7
	s_bfe_u32 s34, ttmp6, 0x40004
	s_mul_i32 s33, s21, s33
	s_mov_b32 s11, s23
	s_add_co_i32 s7, s10, s7
	s_add_co_i32 s34, s34, s33
	s_cmp_eq_u32 s15, 0
	s_cselect_b32 s15, s21, s34
	s_cselect_b32 s3, s3, s7
	s_wait_kmcnt 0x0
	s_mov_b32 s10, s24
	s_delay_alu instid0(SALU_CYCLE_1) | instskip(SKIP_2) | instid1(SALU_CYCLE_1)
	s_mul_u64 s[8:9], s[8:9], s[10:11]
	s_load_b32 s8, s[0:1], 0x40
	s_add_co_i32 s7, s9, s20
	s_lshr_b32 s7, s7, s25
	s_delay_alu instid0(SALU_CYCLE_1) | instskip(NEXT) | instid1(SALU_CYCLE_1)
	s_mul_i32 s9, s7, s26
	s_sub_co_i32 s9, s20, s9
	s_delay_alu instid0(SALU_CYCLE_1) | instskip(NEXT) | instid1(SALU_CYCLE_1)
	s_mul_hi_u32 s10, s9, s27
	s_add_co_i32 s10, s9, s10
	s_delay_alu instid0(SALU_CYCLE_1) | instskip(NEXT) | instid1(SALU_CYCLE_1)
	s_lshr_b32 s21, s10, s28
	s_mul_i32 s10, s21, s29
	s_delay_alu instid0(SALU_CYCLE_1) | instskip(NEXT) | instid1(SALU_CYCLE_1)
	s_sub_co_i32 s10, s9, s10
	s_mul_hi_u32 s9, s10, s30
	s_delay_alu instid0(SALU_CYCLE_1) | instskip(NEXT) | instid1(SALU_CYCLE_1)
	s_add_co_i32 s9, s10, s9
	s_lshr_b32 s24, s9, s31
	s_mov_b32 s9, s23
	s_wait_kmcnt 0x0
	s_mul_i32 s8, s24, s8
	s_delay_alu instid0(SALU_CYCLE_1) | instskip(NEXT) | instid1(SALU_CYCLE_1)
	s_sub_co_i32 s8, s10, s8
	s_mul_u64 s[10:11], s[8:9], s[22:23]
	s_delay_alu instid0(SALU_CYCLE_1) | instskip(NEXT) | instid1(SALU_CYCLE_1)
	s_add_co_i32 s8, s8, s11
	s_lshr_b32 s25, s8, s13
	s_delay_alu instid0(SALU_CYCLE_1) | instskip(NEXT) | instid1(SALU_CYCLE_1)
	s_lshl_b32 s8, s25, 1
	s_add_co_i32 s8, s8, s15
	s_delay_alu instid0(SALU_CYCLE_1) | instskip(SKIP_2) | instid1(SALU_CYCLE_1)
	s_cmp_lt_i32 s8, s4
	s_cselect_b32 s8, -1, 0
	s_add_co_i32 s9, s24, s3
	s_cmp_lt_i32 s9, s6
	s_cselect_b32 s9, -1, 0
	s_delay_alu instid0(SALU_CYCLE_1) | instskip(NEXT) | instid1(SALU_CYCLE_1)
	s_and_b32 s8, s8, s9
	s_and_not1_b32 vcc_lo, exec_lo, s8
	s_cbranch_vccnz .LBB30_24
; %bb.8:
	s_mul_i32 s4, s7, s4
	s_load_b128 s[8:11], s[0:1], 0x0
	s_wait_xcnt 0x0
	s_add_co_i32 s0, s4, s15
	s_mul_i32 s21, s21, s6
	s_mul_i32 s0, s0, s5
	;; [unrolled: 1-line block ×3, first 2 shown]
	s_add_co_i32 s0, s0, s3
	s_lshl_b32 s1, s1, 9
	s_add_co_i32 s0, s0, s21
	s_add_co_i32 s15, s15, s3
	;; [unrolled: 1-line block ×3, first 2 shown]
	v_lshl_or_b32 v6, s15, 8, v0
	s_lshl_b32 s0, s0, 8
	v_cvt_f32_u32_e32 v4, s16
	s_add_co_i32 s1, s1, s0
	s_lshl_b32 s24, s16, 3
	v_or_b32_e32 v2, s1, v0
	s_add_nc_u64 s[0:1], s[16:17], 0
	v_rcp_iflag_f32_e32 v4, v4
	s_xor_b64 s[6:7], s[0:1], 0
	s_lshl_b32 s0, s2, 1
	s_cvt_f32_u32 s3, s6
	s_add_co_i32 s0, s0, s15
	s_cvt_f32_u32 s4, s7
	s_ashr_i32 s1, s0, 31
	s_mov_b32 s25, 0
	s_lshl_b64 s[0:1], s[0:1], 3
	s_fmamk_f32 s3, s4, 0x4f800000, s3
	s_wait_kmcnt 0x0
	s_add_nc_u64 s[0:1], s[10:11], s[0:1]
	s_add_co_i32 s36, s2, -1
	s_load_b64 s[28:29], s[0:1], 0x0
	v_s_rcp_f32 s3, s3
	s_wait_xcnt 0x0
	s_lshl_b64 s[0:1], s[24:25], 2
	s_sub_nc_u64 s[34:35], 0, s[6:7]
	s_add_nc_u64 s[26:27], s[10:11], s[0:1]
	v_mul_f32_e32 v4, 0x4f7ffffe, v4
	s_delay_alu instid0(TRANS32_DEP_1) | instskip(NEXT) | instid1(VALU_DEP_1)
	s_mul_f32 s3, s3, 0x5f7ffffc
	v_cvt_u32_f32_e32 v7, v4
	s_delay_alu instid0(SALU_CYCLE_2) | instskip(NEXT) | instid1(SALU_CYCLE_3)
	s_mul_f32 s4, s3, 0x2f800000
	s_trunc_f32 s4, s4
	s_wait_kmcnt 0x0
	v_mov_b32_e32 v0, s29
	global_load_b32 v1, v2, s[8:9] scale_offset
	v_ashrrev_i32_e32 v3, 31, v2
	s_fmamk_f32 s0, s4, 0xcf800000, s3
	s_cvt_u32_f32 s31, s4
	s_wait_xcnt 0x0
	s_delay_alu instid0(VALU_DEP_1)
	v_lshl_add_u64 v[2:3], v[2:3], 2, s[8:9]
	s_cvt_u32_f32 s30, s0
	s_mov_b64 s[8:9], 0xffffffff
.LBB30_9:                               ; =>This Inner Loop Header: Depth=1
	s_ashr_i32 s37, s36, 31
                                        ; implicit-def: $sgpr40_sgpr41
	s_delay_alu instid0(SALU_CYCLE_1) | instskip(NEXT) | instid1(SALU_CYCLE_1)
	s_mul_u64 s[0:1], s[36:37], s[18:19]
	s_and_b64 s[2:3], s[0:1], 0xffffffff00000000
	s_delay_alu instid0(SALU_CYCLE_1)
	s_cmp_lg_u64 s[2:3], 0
	s_mov_b32 s2, -1
	s_cbranch_scc0 .LBB30_11
; %bb.10:                               ;   in Loop: Header=BB30_9 Depth=1
	s_mul_u64 s[2:3], s[34:35], s[30:31]
	s_delay_alu instid0(SALU_CYCLE_1)
	s_mul_hi_u32 s5, s30, s3
	s_mul_i32 s4, s30, s3
	s_mul_hi_u32 s24, s30, s2
	s_mul_hi_u32 s17, s31, s2
	s_add_nc_u64 s[4:5], s[24:25], s[4:5]
	s_mul_i32 s2, s31, s2
	s_mul_hi_u32 s21, s31, s3
	s_add_co_u32 s2, s4, s2
	s_add_co_ci_u32 s24, s5, s17
	s_add_co_ci_u32 s5, s21, 0
	s_mul_i32 s4, s31, s3
	s_delay_alu instid0(SALU_CYCLE_1) | instskip(NEXT) | instid1(SALU_CYCLE_1)
	s_add_nc_u64 s[2:3], s[24:25], s[4:5]
	s_add_co_u32 s2, s30, s2
	s_cselect_b32 s4, -1, 0
	s_delay_alu instid0(SALU_CYCLE_1) | instskip(SKIP_1) | instid1(SALU_CYCLE_1)
	s_cmp_lg_u32 s4, 0
	s_add_co_ci_u32 s3, s31, s3
	s_mul_u64 s[4:5], s[34:35], s[2:3]
	s_delay_alu instid0(SALU_CYCLE_1)
	s_mul_hi_u32 s39, s2, s5
	s_mul_i32 s38, s2, s5
	s_mul_hi_u32 s24, s2, s4
	s_mul_hi_u32 s17, s3, s4
	s_mul_i32 s4, s3, s4
	s_add_nc_u64 s[38:39], s[24:25], s[38:39]
	s_mul_hi_u32 s21, s3, s5
	s_add_co_u32 s4, s38, s4
	s_add_co_ci_u32 s24, s39, s17
	s_mul_i32 s4, s3, s5
	s_add_co_ci_u32 s5, s21, 0
	s_delay_alu instid0(SALU_CYCLE_1) | instskip(NEXT) | instid1(SALU_CYCLE_1)
	s_add_nc_u64 s[4:5], s[24:25], s[4:5]
	s_add_co_u32 s17, s2, s4
	s_cselect_b32 s2, -1, 0
	s_delay_alu instid0(SALU_CYCLE_1) | instskip(SKIP_2) | instid1(SALU_CYCLE_1)
	s_cmp_lg_u32 s2, 0
	s_add_co_ci_u32 s21, s3, s5
	s_ashr_i32 s2, s1, 31
	s_mov_b32 s3, s2
	s_delay_alu instid0(SALU_CYCLE_1) | instskip(NEXT) | instid1(SALU_CYCLE_1)
	s_add_nc_u64 s[4:5], s[0:1], s[2:3]
	s_xor_b64 s[4:5], s[4:5], s[2:3]
	s_delay_alu instid0(SALU_CYCLE_1)
	s_mul_hi_u32 s39, s4, s21
	s_mul_i32 s38, s4, s21
	s_mul_hi_u32 s24, s4, s17
	s_mul_hi_u32 s29, s5, s17
	s_mul_i32 s17, s5, s17
	s_add_nc_u64 s[38:39], s[24:25], s[38:39]
	s_mul_hi_u32 s1, s5, s21
	s_add_co_u32 s17, s38, s17
	s_add_co_ci_u32 s24, s39, s29
	s_mul_i32 s40, s5, s21
	s_add_co_ci_u32 s41, s1, 0
	s_delay_alu instid0(SALU_CYCLE_1) | instskip(NEXT) | instid1(SALU_CYCLE_1)
	s_add_nc_u64 s[38:39], s[24:25], s[40:41]
	s_and_b64 s[40:41], s[38:39], 0xffffffff00000000
	s_delay_alu instid0(SALU_CYCLE_1) | instskip(NEXT) | instid1(SALU_CYCLE_1)
	s_or_b32 s40, s40, s38
	s_mul_u64 s[38:39], s[6:7], s[40:41]
	s_add_nc_u64 s[42:43], s[40:41], 1
	s_sub_co_u32 s1, s4, s38
	s_cselect_b32 s4, -1, 0
	s_sub_co_i32 s17, s5, s39
	s_cmp_lg_u32 s4, 0
	s_add_nc_u64 s[44:45], s[40:41], 2
	s_sub_co_ci_u32 s17, s17, s7
	s_sub_co_u32 s21, s1, s6
	s_cselect_b32 s24, -1, 0
	s_delay_alu instid0(SALU_CYCLE_1) | instskip(SKIP_1) | instid1(SALU_CYCLE_1)
	s_cmp_lg_u32 s24, 0
	s_sub_co_ci_u32 s17, s17, 0
	s_cmp_ge_u32 s17, s7
	s_cselect_b32 s24, -1, 0
	s_cmp_ge_u32 s21, s6
	s_cselect_b32 s21, -1, 0
	s_cmp_eq_u32 s17, s7
	s_cselect_b32 s17, s21, s24
	s_delay_alu instid0(SALU_CYCLE_1) | instskip(SKIP_4) | instid1(SALU_CYCLE_1)
	s_cmp_lg_u32 s17, 0
	s_cselect_b32 s17, s44, s42
	s_cselect_b32 s21, s45, s43
	s_cmp_lg_u32 s4, 0
	s_sub_co_ci_u32 s4, s5, s39
	s_cmp_ge_u32 s4, s7
	s_cselect_b32 s5, -1, 0
	s_cmp_ge_u32 s1, s6
	s_cselect_b32 s1, -1, 0
	s_cmp_eq_u32 s4, s7
	s_cselect_b32 s1, s1, s5
	s_delay_alu instid0(SALU_CYCLE_1) | instskip(SKIP_3) | instid1(SALU_CYCLE_1)
	s_cmp_lg_u32 s1, 0
	s_cselect_b32 s5, s21, s41
	s_cselect_b32 s4, s17, s40
	s_xor_b64 s[2:3], s[2:3], 0
	s_xor_b64 s[4:5], s[4:5], s[2:3]
	s_delay_alu instid0(SALU_CYCLE_1)
	s_sub_nc_u64 s[40:41], s[4:5], s[2:3]
	s_mov_b32 s2, 0
.LBB30_11:                              ;   in Loop: Header=BB30_9 Depth=1
	s_delay_alu instid0(SALU_CYCLE_1)
	s_and_not1_b32 vcc_lo, exec_lo, s2
	s_cbranch_vccnz .LBB30_13
; %bb.12:                               ;   in Loop: Header=BB30_9 Depth=1
	v_readfirstlane_b32 s1, v7
	s_sub_co_i32 s2, 0, s16
	s_delay_alu instid0(SALU_CYCLE_1) | instskip(NEXT) | instid1(SALU_CYCLE_1)
	s_mul_i32 s2, s2, s1
	s_mul_hi_u32 s2, s1, s2
	s_delay_alu instid0(SALU_CYCLE_1) | instskip(NEXT) | instid1(SALU_CYCLE_1)
	s_add_co_i32 s1, s1, s2
	s_mul_hi_u32 s1, s0, s1
	s_delay_alu instid0(SALU_CYCLE_1) | instskip(NEXT) | instid1(SALU_CYCLE_1)
	s_mul_i32 s2, s1, s16
	s_sub_co_i32 s0, s0, s2
	s_add_co_i32 s2, s1, 1
	s_sub_co_i32 s3, s0, s16
	s_cmp_ge_u32 s0, s16
	s_cselect_b32 s1, s2, s1
	s_cselect_b32 s0, s3, s0
	s_add_co_i32 s2, s1, 1
	s_cmp_ge_u32 s0, s16
	s_cselect_b32 s24, s2, s1
	s_delay_alu instid0(SALU_CYCLE_1)
	s_mov_b64 s[40:41], s[24:25]
.LBB30_13:                              ;   in Loop: Header=BB30_9 Depth=1
	s_delay_alu instid0(SALU_CYCLE_1)
	s_cmp_lg_u32 s20, s40
	s_mov_b32 s0, -1
                                        ; implicit-def: $vgpr4_vgpr5
                                        ; implicit-def: $sgpr24
                                        ; implicit-def: $sgpr17
                                        ; implicit-def: $sgpr21
                                        ; implicit-def: $sgpr29
	s_cbranch_scc0 .LBB30_18
; %bb.14:                               ;   in Loop: Header=BB30_9 Depth=1
	s_add_co_i32 s0, s36, s16
	v_max_num_f32_e64 v4, s28, s28
	s_lshl_b32 s0, s0, 1
	s_mov_b32 s29, s20
	s_add_co_i32 s0, s0, s15
	s_load_b64 s[38:39], s[10:11], s0 offset:0x0 scale_offset
	s_wait_xcnt 0x0
	v_readfirstlane_b32 s0, v4
	s_wait_kmcnt 0x0
	v_max_num_f32_e64 v5, s38, s38
	s_delay_alu instid0(VALU_DEP_1) | instskip(SKIP_1) | instid1(SALU_CYCLE_3)
	v_readfirstlane_b32 s1, v5
	s_max_num_f32 s17, s0, s1
	s_sub_f32 s33, s28, s17
	s_sub_f32 s37, s38, s17
	s_delay_alu instid0(SALU_CYCLE_2)
	s_cmp_nlt_f32 s33, 0xc2ce8ed0
	s_cselect_b32 s1, -1, 0
	s_cmp_ngt_f32 s33, 0x42b17218
	s_cselect_b32 s2, -1, 0
	s_cmp_ge_f32 s33, 0xc1a00000
	s_cselect_b32 s0, -1, 0
	s_cmp_nlt_f32 s37, 0xc2ce8ed0
	s_cselect_b32 s3, -1, 0
	s_cmp_ngt_f32 s37, 0x42b17218
	s_cselect_b32 s4, -1, 0
	s_cmp_ge_f32 s37, 0xc1a00000
	s_cselect_b32 s5, -1, 0
	s_and_b64 s[42:43], s[40:41], s[8:9]
	s_delay_alu instid0(SALU_CYCLE_1) | instskip(NEXT) | instid1(SALU_CYCLE_1)
	s_mul_u64 s[42:43], s[42:43], s[22:23]
	s_add_co_i32 s21, s43, s40
	s_delay_alu instid0(SALU_CYCLE_1) | instskip(NEXT) | instid1(SALU_CYCLE_1)
	s_lshr_b32 s21, s21, s13
	s_mul_i32 s24, s21, s14
	s_delay_alu instid0(SALU_CYCLE_1) | instskip(SKIP_3) | instid1(SALU_CYCLE_1)
	s_cmp_eq_u32 s24, s40
	s_cselect_b32 s24, -1, 0
	s_cmp_lt_u32 s21, s12
	s_cselect_b32 s21, -1, 0
	s_or_b32 s21, s21, s24
	s_mov_b32 s24, -1
	s_and_b32 vcc_lo, exec_lo, s21
	s_mov_b32 s21, s36
	s_cbranch_vccnz .LBB30_16
; %bb.15:                               ;   in Loop: Header=BB30_9 Depth=1
	s_add_co_i32 s21, s36, -1
	s_mov_b32 s24, 0
	s_mov_b32 s29, s40
.LBB30_16:                              ;   in Loop: Header=BB30_9 Depth=1
	v_lshl_add_u32 v4, s36, 9, v6
	s_mul_f32 s40, s33, 0x3fb8aa3b
	s_mul_f32 s38, s37, 0x3fb8aa3b
	s_delay_alu instid0(SALU_CYCLE_2)
	s_xor_b32 s42, s40, 0x80000000
	global_load_b32 v5, v4, s[26:27] scale_offset
	s_fmamk_f32 s42, s33, 0x3fb8aa3b, s42
	s_rndne_f32 s44, s40
	s_xor_b32 s41, s38, 0x80000000
	s_rndne_f32 s43, s38
	s_fmamk_f32 s33, s33, 0x32a5705f, s42
	s_sub_f32 s40, s40, s44
	s_fmamk_f32 s41, s37, 0x3fb8aa3b, s41
	s_sub_f32 s38, s38, s43
	s_delay_alu instid0(SALU_CYCLE_1) | instskip(NEXT) | instid1(SALU_CYCLE_1)
	s_add_f32 s33, s40, s33
	s_fmamk_f32 s37, s37, 0x32a5705f, s41
	s_cvt_i32_f32 s40, s44
	s_delay_alu instid0(SALU_CYCLE_1) | instskip(NEXT) | instid1(SALU_CYCLE_1)
	v_s_exp_f32 s33, s33
	s_add_f32 s37, s38, s37
	s_cvt_i32_f32 s38, s43
	s_delay_alu instid0(SALU_CYCLE_2) | instskip(NEXT) | instid1(TRANS32_DEP_2)
	v_s_exp_f32 s37, s37
	v_ldexp_f32 v8, s33, s40
	s_wait_xcnt 0x0
	s_delay_alu instid0(TRANS32_DEP_1) | instskip(NEXT) | instid1(VALU_DEP_2)
	v_ldexp_f32 v4, s37, s38
	v_cndmask_b32_e64 v8, 0, v8, s1
	s_delay_alu instid0(VALU_DEP_1) | instskip(NEXT) | instid1(VALU_DEP_1)
	v_cndmask_b32_e64 v9, 0x7f800000, v8, s2
	v_dual_cndmask_b32 v4, 0, v4, s3 :: v_dual_cndmask_b32 v10, 0, v9, s0
	s_delay_alu instid0(VALU_DEP_1) | instskip(NEXT) | instid1(VALU_DEP_1)
	v_cndmask_b32_e64 v4, 0x7f800000, v4, s4
	v_dual_cndmask_b32 v8, 0, v4, s5 :: v_dual_mov_b32 v4, s39
	s_wait_loadcnt 0x0
	s_delay_alu instid0(VALU_DEP_1) | instskip(NEXT) | instid1(VALU_DEP_1)
	v_pk_mul_f32 v[4:5], v[4:5], v[8:9] op_sel_hi:[1,0]
	v_pk_fma_f32 v[4:5], v[0:1], v[10:11], v[4:5] op_sel_hi:[1,0,1]
	s_cbranch_execz .LBB30_19
.LBB30_17:                              ;   in Loop: Header=BB30_9 Depth=1
	s_and_not1_b32 vcc_lo, exec_lo, s24
	s_cbranch_vccnz .LBB30_20
	s_branch .LBB30_23
.LBB30_18:                              ;   in Loop: Header=BB30_9 Depth=1
	s_and_not1_b32 vcc_lo, exec_lo, s0
	s_cbranch_vccnz .LBB30_17
.LBB30_19:                              ;   in Loop: Header=BB30_9 Depth=1
	s_wait_loadcnt 0x0
	v_mov_b64_e32 v[4:5], v[0:1]
	s_add_co_i32 s21, s36, -1
	s_mov_b32 s29, s20
	s_mov_b32 s17, s28
	s_cbranch_execz .LBB30_23
.LBB30_20:                              ;   in Loop: Header=BB30_9 Depth=1
	s_wait_loadcnt 0x0
	s_delay_alu instid0(VALU_DEP_1)
	v_mov_b64_e32 v[0:1], v[4:5]
	s_mov_b32 s20, s29
	s_mov_b32 s36, s21
	;; [unrolled: 1-line block ×3, first 2 shown]
	s_branch .LBB30_9
.LBB30_21:
                                        ; implicit-def: $sgpr20_sgpr21
	s_branch .LBB30_2
.LBB30_22:
                                        ; implicit-def: $sgpr24_sgpr25
	s_load_b96 s[12:14], s[0:1], 0x44
	s_branch .LBB30_5
.LBB30_23:
	s_delay_alu instid0(VALU_DEP_1) | instskip(SKIP_1) | instid1(VALU_DEP_1)
	v_div_scale_f32 v0, null, v4, v4, v5
	s_wait_loadcnt 0x0
	v_rcp_f32_e32 v1, v0
	v_nop
	s_delay_alu instid0(TRANS32_DEP_1) | instskip(NEXT) | instid1(VALU_DEP_1)
	v_fma_f32 v6, -v0, v1, 1.0
	v_fmac_f32_e32 v1, v6, v1
	v_div_scale_f32 v6, vcc_lo, v5, v4, v5
	s_delay_alu instid0(VALU_DEP_1) | instskip(NEXT) | instid1(VALU_DEP_1)
	v_mul_f32_e32 v7, v6, v1
	v_fma_f32 v8, -v0, v7, v6
	s_delay_alu instid0(VALU_DEP_1) | instskip(NEXT) | instid1(VALU_DEP_1)
	v_fmac_f32_e32 v7, v8, v1
	v_fma_f32 v0, -v0, v7, v6
	s_delay_alu instid0(VALU_DEP_1) | instskip(NEXT) | instid1(VALU_DEP_1)
	v_div_fmas_f32 v0, v0, v1, v7
	v_div_fixup_f32 v0, v0, v4, v5
	global_store_b32 v[2:3], v0, off
.LBB30_24:
	s_endpgm
	.section	.rodata,"a",@progbits
	.p2align	6, 0x0
	.amdhsa_kernel _ZL33flash_attn_stream_k_fixup_generalILi256ELi2ELi1EEvPfPK15HIP_vector_typeIfLj2EEiiiiS1_IjLj3EES5_S5_S5_
		.amdhsa_group_segment_fixed_size 0
		.amdhsa_private_segment_fixed_size 0
		.amdhsa_kernarg_size 336
		.amdhsa_user_sgpr_count 2
		.amdhsa_user_sgpr_dispatch_ptr 0
		.amdhsa_user_sgpr_queue_ptr 0
		.amdhsa_user_sgpr_kernarg_segment_ptr 1
		.amdhsa_user_sgpr_dispatch_id 0
		.amdhsa_user_sgpr_kernarg_preload_length 0
		.amdhsa_user_sgpr_kernarg_preload_offset 0
		.amdhsa_user_sgpr_private_segment_size 0
		.amdhsa_wavefront_size32 1
		.amdhsa_uses_dynamic_stack 0
		.amdhsa_enable_private_segment 0
		.amdhsa_system_sgpr_workgroup_id_x 1
		.amdhsa_system_sgpr_workgroup_id_y 1
		.amdhsa_system_sgpr_workgroup_id_z 1
		.amdhsa_system_sgpr_workgroup_info 0
		.amdhsa_system_vgpr_workitem_id 0
		.amdhsa_next_free_vgpr 12
		.amdhsa_next_free_sgpr 46
		.amdhsa_named_barrier_count 0
		.amdhsa_reserve_vcc 1
		.amdhsa_float_round_mode_32 0
		.amdhsa_float_round_mode_16_64 0
		.amdhsa_float_denorm_mode_32 3
		.amdhsa_float_denorm_mode_16_64 3
		.amdhsa_fp16_overflow 0
		.amdhsa_memory_ordered 1
		.amdhsa_forward_progress 1
		.amdhsa_inst_pref_size 27
		.amdhsa_round_robin_scheduling 0
		.amdhsa_exception_fp_ieee_invalid_op 0
		.amdhsa_exception_fp_denorm_src 0
		.amdhsa_exception_fp_ieee_div_zero 0
		.amdhsa_exception_fp_ieee_overflow 0
		.amdhsa_exception_fp_ieee_underflow 0
		.amdhsa_exception_fp_ieee_inexact 0
		.amdhsa_exception_int_div_zero 0
	.end_amdhsa_kernel
	.section	.text._ZL33flash_attn_stream_k_fixup_generalILi256ELi2ELi1EEvPfPK15HIP_vector_typeIfLj2EEiiiiS1_IjLj3EES5_S5_S5_,"axG",@progbits,_ZL33flash_attn_stream_k_fixup_generalILi256ELi2ELi1EEvPfPK15HIP_vector_typeIfLj2EEiiiiS1_IjLj3EES5_S5_S5_,comdat
.Lfunc_end30:
	.size	_ZL33flash_attn_stream_k_fixup_generalILi256ELi2ELi1EEvPfPK15HIP_vector_typeIfLj2EEiiiiS1_IjLj3EES5_S5_S5_, .Lfunc_end30-_ZL33flash_attn_stream_k_fixup_generalILi256ELi2ELi1EEvPfPK15HIP_vector_typeIfLj2EEiiiiS1_IjLj3EES5_S5_S5_
                                        ; -- End function
	.set _ZL33flash_attn_stream_k_fixup_generalILi256ELi2ELi1EEvPfPK15HIP_vector_typeIfLj2EEiiiiS1_IjLj3EES5_S5_S5_.num_vgpr, 12
	.set _ZL33flash_attn_stream_k_fixup_generalILi256ELi2ELi1EEvPfPK15HIP_vector_typeIfLj2EEiiiiS1_IjLj3EES5_S5_S5_.num_agpr, 0
	.set _ZL33flash_attn_stream_k_fixup_generalILi256ELi2ELi1EEvPfPK15HIP_vector_typeIfLj2EEiiiiS1_IjLj3EES5_S5_S5_.numbered_sgpr, 46
	.set _ZL33flash_attn_stream_k_fixup_generalILi256ELi2ELi1EEvPfPK15HIP_vector_typeIfLj2EEiiiiS1_IjLj3EES5_S5_S5_.num_named_barrier, 0
	.set _ZL33flash_attn_stream_k_fixup_generalILi256ELi2ELi1EEvPfPK15HIP_vector_typeIfLj2EEiiiiS1_IjLj3EES5_S5_S5_.private_seg_size, 0
	.set _ZL33flash_attn_stream_k_fixup_generalILi256ELi2ELi1EEvPfPK15HIP_vector_typeIfLj2EEiiiiS1_IjLj3EES5_S5_S5_.uses_vcc, 1
	.set _ZL33flash_attn_stream_k_fixup_generalILi256ELi2ELi1EEvPfPK15HIP_vector_typeIfLj2EEiiiiS1_IjLj3EES5_S5_S5_.uses_flat_scratch, 0
	.set _ZL33flash_attn_stream_k_fixup_generalILi256ELi2ELi1EEvPfPK15HIP_vector_typeIfLj2EEiiiiS1_IjLj3EES5_S5_S5_.has_dyn_sized_stack, 0
	.set _ZL33flash_attn_stream_k_fixup_generalILi256ELi2ELi1EEvPfPK15HIP_vector_typeIfLj2EEiiiiS1_IjLj3EES5_S5_S5_.has_recursion, 0
	.set _ZL33flash_attn_stream_k_fixup_generalILi256ELi2ELi1EEvPfPK15HIP_vector_typeIfLj2EEiiiiS1_IjLj3EES5_S5_S5_.has_indirect_call, 0
	.section	.AMDGPU.csdata,"",@progbits
; Kernel info:
; codeLenInByte = 3352
; TotalNumSgprs: 48
; NumVgprs: 12
; ScratchSize: 0
; MemoryBound: 0
; FloatMode: 240
; IeeeMode: 1
; LDSByteSize: 0 bytes/workgroup (compile time only)
; SGPRBlocks: 0
; VGPRBlocks: 0
; NumSGPRsForWavesPerEU: 48
; NumVGPRsForWavesPerEU: 12
; NamedBarCnt: 0
; Occupancy: 16
; WaveLimiterHint : 0
; COMPUTE_PGM_RSRC2:SCRATCH_EN: 0
; COMPUTE_PGM_RSRC2:USER_SGPR: 2
; COMPUTE_PGM_RSRC2:TRAP_HANDLER: 0
; COMPUTE_PGM_RSRC2:TGID_X_EN: 1
; COMPUTE_PGM_RSRC2:TGID_Y_EN: 1
; COMPUTE_PGM_RSRC2:TGID_Z_EN: 1
; COMPUTE_PGM_RSRC2:TIDIG_COMP_CNT: 0
	.section	.text._ZL18flash_attn_ext_vecILi256ELi2EL9ggml_type6ELS0_6ELb1EEvPKcS2_S2_S2_S2_PKiPfP15HIP_vector_typeIfLj2EEffffjfiS6_IjLj3EEiiiiiiiiiiiliiliiiiil,"axG",@progbits,_ZL18flash_attn_ext_vecILi256ELi2EL9ggml_type6ELS0_6ELb1EEvPKcS2_S2_S2_S2_PKiPfP15HIP_vector_typeIfLj2EEffffjfiS6_IjLj3EEiiiiiiiiiiiliiliiiiil,comdat
	.globl	_ZL18flash_attn_ext_vecILi256ELi2EL9ggml_type6ELS0_6ELb1EEvPKcS2_S2_S2_S2_PKiPfP15HIP_vector_typeIfLj2EEffffjfiS6_IjLj3EEiiiiiiiiiiiliiliiiiil ; -- Begin function _ZL18flash_attn_ext_vecILi256ELi2EL9ggml_type6ELS0_6ELb1EEvPKcS2_S2_S2_S2_PKiPfP15HIP_vector_typeIfLj2EEffffjfiS6_IjLj3EEiiiiiiiiiiiliiliiiiil
	.p2align	8
	.type	_ZL18flash_attn_ext_vecILi256ELi2EL9ggml_type6ELS0_6ELb1EEvPKcS2_S2_S2_S2_PKiPfP15HIP_vector_typeIfLj2EEffffjfiS6_IjLj3EEiiiiiiiiiiiliiliiiiil,@function
_ZL18flash_attn_ext_vecILi256ELi2EL9ggml_type6ELS0_6ELb1EEvPKcS2_S2_S2_S2_PKiPfP15HIP_vector_typeIfLj2EEffffjfiS6_IjLj3EEiiiiiiiiiiiliiliiiiil: ; @_ZL18flash_attn_ext_vecILi256ELi2EL9ggml_type6ELS0_6ELb1EEvPKcS2_S2_S2_S2_PKiPfP15HIP_vector_typeIfLj2EEffffjfiS6_IjLj3EEiiiiiiiiiiiliiliiiiil
; %bb.0:
	s_clause 0x2
	s_load_b64 s[28:29], s[2:3], 0x64
	s_load_b64 s[38:39], s[2:3], 0x80
	;; [unrolled: 1-line block ×3, first 2 shown]
	s_bfe_u32 s6, ttmp6, 0x40014
	s_lshr_b32 s5, ttmp7, 16
	s_add_co_i32 s6, s6, 1
	s_bfe_u32 s8, ttmp6, 0x40008
	s_mul_i32 s6, s5, s6
	s_getreg_b32 s7, hwreg(HW_REG_IB_STS2, 6, 4)
	s_add_co_i32 s8, s8, s6
	s_clause 0x1
	s_load_b128 s[24:27], s[2:3], 0x40
	s_load_b64 s[36:37], s[2:3], 0x50
	v_mov_b32_e32 v237, 1.0
	s_mov_b32 s43, 0
	s_wait_kmcnt 0x0
	s_cvt_f32_u32 s4, s29
	s_sub_co_i32 s9, 0, s29
	s_delay_alu instid0(SALU_CYCLE_2) | instskip(SKIP_1) | instid1(TRANS32_DEP_1)
	v_rcp_iflag_f32_e32 v1, s4
	v_nop
	v_readfirstlane_b32 s4, v1
	s_mul_f32 s4, s4, 0x4f7ffffe
	s_delay_alu instid0(SALU_CYCLE_3) | instskip(NEXT) | instid1(SALU_CYCLE_3)
	s_cvt_u32_f32 s4, s4
	s_mul_i32 s9, s9, s4
	s_delay_alu instid0(SALU_CYCLE_1) | instskip(NEXT) | instid1(SALU_CYCLE_1)
	s_mul_hi_u32 s9, s4, s9
	s_add_co_i32 s4, s4, s9
	s_cmp_eq_u32 s7, 0
	s_cselect_b32 s5, s5, s8
	s_delay_alu instid0(SALU_CYCLE_1) | instskip(NEXT) | instid1(SALU_CYCLE_1)
	s_mul_hi_u32 s4, s5, s4
	s_mul_i32 s6, s4, s29
	s_add_co_i32 s8, s4, 1
	s_sub_co_i32 s6, s5, s6
	s_delay_alu instid0(SALU_CYCLE_1)
	s_sub_co_i32 s9, s6, s29
	s_cmp_ge_u32 s6, s29
	s_cselect_b32 s4, s8, s4
	s_cselect_b32 s6, s9, s6
	s_add_co_i32 s8, s4, 1
	s_cmp_ge_u32 s6, s29
	s_cselect_b32 s30, s8, s4
	s_abs_i32 s4, s39
	s_abs_i32 s10, s29
	s_cvt_f32_u32 s6, s4
	s_sub_co_i32 s8, 0, s4
	s_xor_b32 s9, s29, s39
	s_delay_alu instid0(SALU_CYCLE_1) | instskip(SKIP_2) | instid1(TRANS32_DEP_1)
	v_rcp_iflag_f32_e32 v1, s6
	s_ashr_i32 s9, s9, 31
	v_nop
	v_readfirstlane_b32 s6, v1
	s_mul_f32 s6, s6, 0x4f7ffffe
	s_delay_alu instid0(SALU_CYCLE_3) | instskip(NEXT) | instid1(SALU_CYCLE_3)
	s_cvt_u32_f32 s6, s6
	s_mul_i32 s8, s8, s6
	s_delay_alu instid0(SALU_CYCLE_1) | instskip(NEXT) | instid1(SALU_CYCLE_1)
	s_mul_hi_u32 s8, s6, s8
	s_add_co_i32 s6, s6, s8
	s_mul_i32 s8, s30, s29
	s_mul_hi_u32 s6, s10, s6
	s_sub_co_i32 s34, s5, s8
	s_mul_i32 s11, s6, s4
	s_add_co_i32 s8, s6, 1
	s_sub_co_i32 s5, s10, s11
	s_delay_alu instid0(SALU_CYCLE_1)
	s_sub_co_i32 s10, s5, s4
	s_cmp_ge_u32 s5, s4
	s_cselect_b32 s6, s8, s6
	s_cselect_b32 s5, s10, s5
	s_add_co_i32 s8, s6, 1
	s_cmp_ge_u32 s5, s4
	s_cselect_b32 s4, s8, s6
	s_abs_i32 s39, s40
	s_xor_b32 s4, s4, s9
	s_delay_alu instid0(SALU_CYCLE_1)
	s_sub_co_i32 s31, s4, s9
	s_cvt_f32_u32 s4, s39
	s_abs_i32 s44, s31
	s_cmp_le_f32 s25, 0
	s_cvt_f32_u32 s5, s44
	v_rcp_iflag_f32_e32 v1, s4
	s_mov_b32 s4, s24
	s_delay_alu instid0(SALU_CYCLE_1) | instskip(SKIP_1) | instid1(TRANS32_DEP_2)
	v_rcp_iflag_f32_e32 v2, s5
	s_mov_b32 s5, s25
	v_readfirstlane_b32 s42, v1
	s_delay_alu instid0(TRANS32_DEP_1)
	v_readfirstlane_b32 s45, v2
	s_cbranch_scc1 .LBB31_2
; %bb.1:
	v_sub_co_u32 v1, s6, s34, s36
	s_and_b32 s9, s6, exec_lo
	s_cselect_b32 s9, s26, s27
	s_add_co_i32 s10, s34, 1
	v_readfirstlane_b32 s8, v1
	s_lshl_b32 s8, s8, 1
	s_delay_alu instid0(SALU_CYCLE_1) | instskip(SKIP_4) | instid1(SALU_CYCLE_3)
	s_or_b32 s8, s8, 1
	s_and_b32 s6, s6, exec_lo
	s_cselect_b32 s6, s10, s8
	s_cmp_neq_f32 s9, 1.0
	s_cvt_f32_i32 s6, s6
	s_cselect_b32 s8, s6, 1.0
	s_delay_alu instid0(SALU_CYCLE_1) | instskip(SKIP_1) | instid1(SALU_CYCLE_1)
	s_cmp_neq_f32 s8, 0
	s_cselect_b32 s6, s9, 1.0
	v_cvt_f64_f32_e64 v[2:3], |s6|
	s_delay_alu instid0(VALU_DEP_1) | instskip(SKIP_1) | instid1(VALU_DEP_1)
	v_frexp_exp_i32_f64_e32 v1, v[2:3]
	v_frexp_mant_f32_e64 v2, |s6|
	v_readfirstlane_b32 s9, v2
	s_cmp_lt_f32 s9, 0x3f2aaaab
	s_cselect_b32 vcc_lo, -1, 0
	s_delay_alu instid0(SALU_CYCLE_1) | instskip(SKIP_1) | instid1(SALU_CYCLE_1)
	s_and_b32 s10, vcc_lo, exec_lo
	s_cselect_b32 s10, 2.0, 1.0
	s_mul_f32 s9, s9, s10
	s_delay_alu instid0(SALU_CYCLE_3) | instskip(SKIP_1) | instid1(SALU_CYCLE_2)
	s_add_f32 s10, s9, 1.0
	s_add_f32 s12, s9, -1.0
	v_s_rcp_f32 s11, s10
	s_add_f32 s15, s10, -1.0
	v_subrev_co_ci_u32_e64 v1, null, 0, v1, vcc_lo
	s_delay_alu instid0(SALU_CYCLE_2) | instskip(NEXT) | instid1(TRANS32_DEP_1)
	s_sub_f32 s9, s9, s15
	s_mul_f32 s13, s12, s11
	v_cvt_f32_i32_e32 v1, v1
	s_delay_alu instid0(SALU_CYCLE_2) | instskip(NEXT) | instid1(SALU_CYCLE_3)
	s_mul_f32 s14, s10, s13
	v_dual_mov_b32 v3, s12 :: v_dual_mov_b32 v4, s14
	s_xor_b32 s16, s14, 0x80000000
	s_delay_alu instid0(SALU_CYCLE_1) | instskip(NEXT) | instid1(SALU_CYCLE_3)
	s_fmac_f32 s16, s13, s10
	s_fmac_f32 s16, s13, s9
	s_delay_alu instid0(SALU_CYCLE_3) | instskip(SKIP_2) | instid1(SALU_CYCLE_1)
	s_add_f32 s9, s14, s16
	v_mov_b32_e32 v6, s16
	s_mov_b32 s14, 0x3e76c4e1
	s_sub_f32 s10, s12, s9
	v_dual_mov_b32 v2, s9 :: v_dual_mov_b32 v7, s9
	s_delay_alu instid0(SALU_CYCLE_2) | instskip(NEXT) | instid1(VALU_DEP_1)
	v_mov_b32_e32 v5, s10
	v_pk_add_f32 v[2:3], v[2:3], v[4:5] neg_lo:[0,1] neg_hi:[0,1]
	s_delay_alu instid0(VALU_DEP_1) | instskip(NEXT) | instid1(VALU_DEP_1)
	v_pk_add_f32 v[2:3], v[2:3], v[6:7] neg_lo:[0,1] neg_hi:[0,1]
	v_readfirstlane_b32 s9, v3
	s_delay_alu instid0(VALU_DEP_2) | instskip(SKIP_1) | instid1(SALU_CYCLE_3)
	v_readfirstlane_b32 s12, v2
	s_add_f32 s9, s12, s9
	s_add_f32 s9, s10, s9
	s_delay_alu instid0(SALU_CYCLE_3) | instskip(NEXT) | instid1(SALU_CYCLE_3)
	s_mul_f32 s9, s11, s9
	s_add_f32 s10, s13, s9
	s_delay_alu instid0(SALU_CYCLE_3) | instskip(SKIP_1) | instid1(SALU_CYCLE_2)
	s_sub_f32 s11, s10, s13
	s_mul_f32 s13, s10, s10
	s_sub_f32 s9, s9, s11
	s_delay_alu instid0(SALU_CYCLE_2) | instskip(NEXT) | instid1(SALU_CYCLE_1)
	s_xor_b32 s11, s13, 0x80000000
	s_fmac_f32 s11, s10, s10
	s_delay_alu instid0(SALU_CYCLE_1) | instskip(NEXT) | instid1(SALU_CYCLE_3)
	s_add_f32 s12, s9, s9
	s_fmac_f32 s11, s10, s12
	s_delay_alu instid0(SALU_CYCLE_3) | instskip(NEXT) | instid1(SALU_CYCLE_3)
	s_add_f32 s12, s13, s11
	s_fmaak_f32 s14, s12, s14, 0x3e91f4c4
	s_sub_f32 s13, s12, s13
	s_delay_alu instid0(SALU_CYCLE_2) | instskip(NEXT) | instid1(SALU_CYCLE_2)
	s_fmaak_f32 s14, s12, s14, 0x3ecccdef
	s_sub_f32 s17, s11, s13
	s_delay_alu instid0(SALU_CYCLE_2) | instskip(NEXT) | instid1(SALU_CYCLE_3)
	s_mul_f32 s15, s12, s14
	s_xor_b32 s16, s15, 0x80000000
	s_delay_alu instid0(SALU_CYCLE_1) | instskip(NEXT) | instid1(SALU_CYCLE_3)
	s_fmac_f32 s16, s12, s14
	s_fmac_f32 s16, s17, s14
	s_delay_alu instid0(SALU_CYCLE_3) | instskip(NEXT) | instid1(SALU_CYCLE_3)
	s_add_f32 s13, s15, s16
	s_sub_f32 s11, s13, s15
	s_add_f32 s14, s13, 0x3f2aaaaa
	s_delay_alu instid0(SALU_CYCLE_2) | instskip(NEXT) | instid1(SALU_CYCLE_2)
	s_sub_f32 s11, s16, s11
	s_add_f32 s15, s14, 0xbf2aaaaa
	s_delay_alu instid0(SALU_CYCLE_2) | instskip(NEXT) | instid1(SALU_CYCLE_2)
	s_add_f32 s11, s11, 0x31739010
	s_sub_f32 s13, s13, s15
	s_delay_alu instid0(SALU_CYCLE_2) | instskip(NEXT) | instid1(SALU_CYCLE_2)
	v_mov_b64_e32 v[2:3], s[10:11]
	v_mov_b64_e32 v[4:5], s[12:13]
	s_delay_alu instid0(VALU_DEP_1) | instskip(SKIP_2) | instid1(VALU_DEP_3)
	v_pk_mul_f32 v[6:7], v[2:3], v[4:5]
	v_pk_add_f32 v[2:3], v[2:3], v[4:5]
	v_mov_b32_e32 v9, s14
	v_xor_b32_e32 v8, 0x80000000, v6
	s_delay_alu instid0(VALU_DEP_3) | instskip(NEXT) | instid1(VALU_DEP_2)
	v_mov_b32_e32 v7, v3
	v_fmac_f32_e64 v8, s12, s10
	s_delay_alu instid0(VALU_DEP_1) | instskip(NEXT) | instid1(VALU_DEP_1)
	v_fmac_f32_e64 v8, s12, s9
	v_fmac_f32_e64 v8, s17, s10
	s_delay_alu instid0(VALU_DEP_1) | instskip(NEXT) | instid1(VALU_DEP_1)
	v_pk_add_f32 v[4:5], v[6:7], v[8:9]
	v_dual_mov_b32 v2, v5 :: v_dual_sub_f32 v7, s14, v5
	v_mul_f32_e32 v12, 0x3f317218, v1
	s_delay_alu instid0(VALU_DEP_2) | instskip(NEXT) | instid1(VALU_DEP_3)
	v_pk_mul_f32 v[10:11], v[4:5], v[2:3]
	v_add_f32_e32 v3, v3, v7
	s_delay_alu instid0(VALU_DEP_3) | instskip(NEXT) | instid1(VALU_DEP_3)
	v_xor_b32_e32 v7, 0x80000000, v12
	v_xor_b32_e32 v2, 0x80000000, v10
	s_delay_alu instid0(VALU_DEP_2) | instskip(NEXT) | instid1(VALU_DEP_2)
	v_dual_sub_f32 v6, v4, v6 :: v_dual_fmac_f32 v7, 0x3f317218, v1
	v_fmac_f32_e32 v2, v4, v5
	s_delay_alu instid0(VALU_DEP_2) | instskip(NEXT) | instid1(VALU_DEP_2)
	v_sub_f32_e32 v6, v8, v6
	v_fmac_f32_e32 v2, v4, v3
	s_delay_alu instid0(VALU_DEP_1) | instskip(SKIP_3) | instid1(VALU_DEP_2)
	v_fmac_f32_e32 v2, v6, v5
	v_fmamk_f32 v4, v1, 0xb102e308, v7
	v_ldexp_f32 v5, s10, 1
	v_ldexp_f32 v1, s9, 1
	v_dual_add_f32 v13, v10, v2 :: v_dual_mov_b32 v11, v5
	s_delay_alu instid0(VALU_DEP_1) | instskip(SKIP_1) | instid1(VALU_DEP_2)
	v_pk_add_f32 v[6:7], v[12:13], v[4:5]
	v_dual_mov_b32 v8, v13 :: v_dual_mov_b32 v3, v13
	v_dual_mov_b32 v9, v7 :: v_dual_mov_b32 v5, v6
	v_mov_b32_e32 v14, v7
	s_delay_alu instid0(VALU_DEP_2) | instskip(NEXT) | instid1(VALU_DEP_1)
	v_pk_add_f32 v[8:9], v[8:9], v[10:11] neg_lo:[0,1] neg_hi:[0,1]
	v_pk_add_f32 v[2:3], v[2:3], v[8:9] neg_lo:[0,1] neg_hi:[0,1]
	s_delay_alu instid0(VALU_DEP_1) | instskip(NEXT) | instid1(VALU_DEP_1)
	v_add_f32_e32 v1, v1, v2
	v_add_f32_e32 v13, v1, v3
	s_delay_alu instid0(VALU_DEP_1) | instskip(SKIP_1) | instid1(VALU_DEP_2)
	v_pk_add_f32 v[2:3], v[6:7], v[12:13]
	v_pk_add_f32 v[8:9], v[6:7], v[12:13] neg_lo:[0,1] neg_hi:[0,1]
	v_mov_b32_e32 v9, v3
	s_delay_alu instid0(VALU_DEP_1) | instskip(SKIP_2) | instid1(VALU_DEP_3)
	v_pk_add_f32 v[10:11], v[4:5], v[8:9]
	v_pk_add_f32 v[4:5], v[4:5], v[8:9] neg_lo:[0,1] neg_hi:[0,1]
	v_dual_mov_b32 v16, v3 :: v_dual_mov_b32 v5, v6
	v_dual_mov_b32 v12, v11 :: v_dual_mov_b32 v17, v11
	s_delay_alu instid0(VALU_DEP_3) | instskip(NEXT) | instid1(VALU_DEP_2)
	v_readfirstlane_b32 s9, v4
	v_pk_add_f32 v[8:9], v[12:13], v[6:7] neg_lo:[0,1] neg_hi:[0,1]
	s_delay_alu instid0(VALU_DEP_2) | instskip(NEXT) | instid1(VALU_DEP_2)
	v_dual_mov_b32 v4, v13 :: v_dual_mov_b32 v10, s9
	v_dual_mov_b32 v15, v8 :: v_dual_mov_b32 v1, v8
	s_delay_alu instid0(VALU_DEP_1) | instskip(NEXT) | instid1(VALU_DEP_2)
	v_pk_add_f32 v[6:7], v[16:17], v[14:15] neg_lo:[0,1] neg_hi:[0,1]
	v_pk_add_f32 v[2:3], v[2:3], v[0:1] neg_lo:[0,1] neg_hi:[0,1]
	v_mov_b32_e32 v2, s9
	s_delay_alu instid0(VALU_DEP_3) | instskip(NEXT) | instid1(VALU_DEP_1)
	v_pk_add_f32 v[4:5], v[4:5], v[6:7] neg_lo:[0,1] neg_hi:[0,1]
	v_pk_add_f32 v[2:3], v[2:3], v[4:5]
	s_delay_alu instid0(VALU_DEP_1) | instskip(NEXT) | instid1(VALU_DEP_2)
	v_readfirstlane_b32 s10, v2
	v_mov_b32_e32 v6, v3
	s_delay_alu instid0(VALU_DEP_1) | instskip(NEXT) | instid1(VALU_DEP_3)
	v_pk_add_f32 v[6:7], v[2:3], v[6:7]
	v_mov_b32_e32 v2, s10
	s_delay_alu instid0(VALU_DEP_2) | instskip(SKIP_1) | instid1(VALU_DEP_2)
	v_pk_add_f32 v[8:9], v[12:13], v[6:7]
	v_mov_b32_e32 v5, v6
	v_readfirstlane_b32 s11, v8
	s_delay_alu instid0(VALU_DEP_1) | instskip(NEXT) | instid1(VALU_DEP_1)
	v_mov_b32_e32 v3, s11
	v_pk_add_f32 v[2:3], v[2:3], v[10:11] neg_lo:[0,1] neg_hi:[0,1]
	s_delay_alu instid0(VALU_DEP_1) | instskip(NEXT) | instid1(VALU_DEP_2)
	v_readfirstlane_b32 s12, v2
	v_pk_add_f32 v[2:3], v[4:5], v[2:3] neg_lo:[0,1] neg_hi:[0,1]
	s_sub_f32 s10, s10, s12
	s_delay_alu instid0(VALU_DEP_1) | instskip(NEXT) | instid1(SALU_CYCLE_2)
	v_readfirstlane_b32 s12, v2
	s_sub_f32 s9, s9, s10
	v_readfirstlane_b32 s10, v3
	s_delay_alu instid0(SALU_CYCLE_2) | instskip(NEXT) | instid1(SALU_CYCLE_3)
	s_add_f32 s9, s12, s9
	s_add_f32 s9, s9, s10
	s_delay_alu instid0(SALU_CYCLE_3) | instskip(NEXT) | instid1(SALU_CYCLE_3)
	s_add_f32 s10, s11, s9
	s_mul_f32 s12, s8, s10
	s_sub_f32 s11, s10, s11
	s_delay_alu instid0(SALU_CYCLE_2) | instskip(NEXT) | instid1(SALU_CYCLE_2)
	s_xor_b32 s13, s12, 0x80000000
	s_sub_f32 s9, s9, s11
	s_fmac_f32 s13, s8, s10
	s_delay_alu instid0(SALU_CYCLE_3) | instskip(SKIP_1) | instid1(SALU_CYCLE_2)
	s_fmac_f32 s13, s8, s9
	v_cmp_class_f32_e64 s9, s12, 0x204
	s_add_f32 s10, s12, s13
	s_and_b32 s9, s9, exec_lo
	s_delay_alu instid0(SALU_CYCLE_2) | instskip(SKIP_1) | instid1(SALU_CYCLE_1)
	s_sub_f32 s9, s10, s12
	s_cselect_b32 s10, s12, s10
	s_and_b32 s11, s10, 0x7fffffff
	s_delay_alu instid0(SALU_CYCLE_1) | instskip(SKIP_1) | instid1(SALU_CYCLE_2)
	s_sub_f32 s9, s13, s9
	s_cmp_neq_f32 s11, 0x7f800000
	s_cselect_b32 s9, s9, 0
	s_cmp_eq_f32 s10, 0x42b17218
	s_cselect_b32 s11, 0x37000000, 0
	s_delay_alu instid0(SALU_CYCLE_1) | instskip(SKIP_1) | instid1(SALU_CYCLE_2)
	s_sub_f32 s10, s10, s11
	s_add_f32 s9, s11, s9
	s_mul_f32 s12, s10, 0x3fb8aa3b
	s_delay_alu instid0(SALU_CYCLE_3) | instskip(SKIP_3) | instid1(SALU_CYCLE_1)
	s_xor_b32 s13, s12, 0x80000000
	s_rndne_f32 s14, s12
	s_fmamk_f32 s13, s10, 0x3fb8aa3b, s13
	s_cmp_nlt_f32 s10, 0xc2ce8ed0
	s_sub_f32 s12, s12, s14
	s_delay_alu instid0(SALU_CYCLE_1)
	s_fmamk_f32 s13, s10, 0x32a5705f, s13
	s_cselect_b32 vcc_lo, -1, 0
	s_cmp_ngt_f32 s10, 0x42b17218
	s_trunc_f32 s10, s8
	s_add_f32 s12, s12, s13
	s_cvt_i32_f32 s13, s14
	s_delay_alu instid0(SALU_CYCLE_2)
	v_s_exp_f32 s12, s12
	v_nop
	s_delay_alu instid0(TRANS32_DEP_1) | instid1(SALU_CYCLE_1)
	v_ldexp_f32 v1, s12, s13
	s_mul_f32 s12, s8, 0.5
	s_delay_alu instid0(VALU_DEP_1) | instskip(SKIP_3) | instid1(VALU_DEP_1)
	v_cndmask_b32_e32 v1, 0, v1, vcc_lo
	s_cselect_b32 vcc_lo, -1, 0
	s_cmp_eq_f32 s10, s8
	s_trunc_f32 s13, s12
	v_cndmask_b32_e32 v1, 0x7f800000, v1, vcc_lo
	s_cselect_b32 s14, -1, 0
	s_delay_alu instid0(SALU_CYCLE_1) | instskip(NEXT) | instid1(VALU_DEP_1)
	s_cmp_neq_f32 s13, s12
	v_fma_f32 v2, s9, v1, v1
	v_cmp_class_f32_e64 vcc_lo, v1, 0x204
	s_cselect_b32 s11, -1, 0
	s_delay_alu instid0(SALU_CYCLE_1)
	s_and_b32 s9, s14, s11
	v_cndmask_b32_e32 v1, v2, v1, vcc_lo
	s_and_b32 s11, s9, exec_lo
	s_cselect_b32 s11, s6, 1.0
	s_cmp_eq_f32 s10, s8
	v_cmp_class_f32_e64 s10, s6, 0x204
	v_bfi_b32 v1, 0x7fffffff, v1, s11
	s_cselect_b32 vcc_lo, -1, 0
	s_cmp_lt_f32 s6, 0
	s_delay_alu instid0(VALU_DEP_1) | instskip(SKIP_2) | instid1(VALU_DEP_1)
	v_cndmask_b32_e32 v2, 0x7fc00000, v1, vcc_lo
	s_cselect_b32 vcc_lo, -1, 0
	s_cmp_eq_f32 s6, 0
	v_cndmask_b32_e32 v1, v1, v2, vcc_lo
	s_cselect_b32 s11, -1, 0
	s_delay_alu instid0(SALU_CYCLE_1) | instskip(SKIP_2) | instid1(SALU_CYCLE_1)
	s_or_b32 vcc_lo, s11, s10
	s_cmp_lt_f32 s8, 0
	s_cselect_b32 s8, -1, 0
	s_xor_b32 s8, s8, s11
	s_delay_alu instid0(SALU_CYCLE_1)
	s_and_b32 s8, s8, exec_lo
	s_cselect_b32 s8, 0, 0x7f800000
	s_and_b32 s9, s9, exec_lo
	s_cselect_b32 s9, s6, 0
	s_cmp_o_f32 s6, s6
	v_mov_b32_e32 v2, s9
	s_delay_alu instid0(VALU_DEP_1) | instskip(NEXT) | instid1(VALU_DEP_1)
	v_bfi_b32 v2, 0x7fffffff, s8, v2
	v_cndmask_b32_e32 v1, v1, v2, vcc_lo
	s_cselect_b32 vcc_lo, -1, 0
	s_delay_alu instid0(VALU_DEP_1)
	v_cndmask_b32_e32 v237, 0x7fc00000, v1, vcc_lo
.LBB31_2:
	s_load_b64 s[26:27], s[0:1], 0x4
	s_load_b512 s[8:23], s[2:3], 0x0
	v_bfe_u32 v225, v0, 10, 10
	v_and_b32_e32 v221, 0x3ff, v0
	v_bfe_u32 v0, v0, 20, 10
	s_wait_xcnt 0x0
	s_bfe_u32 s0, ttmp6, 0x4000c
	s_and_b32 s1, ttmp6, 15
	s_add_co_i32 s0, s0, 1
	v_dual_mov_b32 v28, 0 :: v_dual_lshlrev_b32 v234, 9, v225
	v_lshlrev_b32_e32 v235, 2, v221
	s_wait_kmcnt 0x0
	v_mul_u32_u24_e32 v1, s27, v225
	s_lshr_b32 s6, s26, 16
	s_delay_alu instid0(SALU_CYCLE_1) | instskip(SKIP_1) | instid1(VALU_DEP_1)
	s_mul_i32 s6, s6, s27
	s_mov_b32 s27, exec_lo
	v_mad_u32_u24 v1, s6, v221, v1
	s_mul_i32 s6, ttmp9, s0
	v_cmp_lt_u32_e64 s0, 1, v225
	s_add_co_i32 s1, s1, s6
	s_cmp_eq_u32 s7, 0
	v_add_lshl_u32 v32, v1, v0, 5
	s_cselect_b32 s26, ttmp9, s1
	s_delay_alu instid0(SALU_CYCLE_1) | instskip(NEXT) | instid1(VALU_DEP_1)
	s_lshl_b32 s33, s26, 1
	v_add_nc_u32_e32 v0, 0xa04, v32
	v_add_nc_u32_e32 v1, 0xa0c, v32
	;; [unrolled: 1-line block ×4, first 2 shown]
	ds_store_2addr_b32 v0, v28, v28 offset1:1
	ds_store_2addr_b32 v1, v28, v28 offset1:1
	;; [unrolled: 1-line block ×3, first 2 shown]
	ds_store_2addr_b32 v3, v28, v28 offset0:128 offset1:135
	v_cmpx_gt_u32_e32 2, v225
	s_cbranch_execz .LBB31_17
; %bb.3:
	v_dual_sub_nc_u32 v2, 0, v235 :: v_dual_bitop2_b32 v1, s33, v225 bitop3:0x54
	v_lshl_add_u32 v0, v221, 3, v234
	v_add_nc_u32_e32 v6, v234, v221
	s_mov_b32 s1, exec_lo
	s_delay_alu instid0(VALU_DEP_2)
	v_add_nc_u32_e32 v7, v0, v2
	v_cmpx_le_i32_e64 s28, v1
	s_xor_b32 s1, exec_lo, s1
	s_cbranch_execz .LBB31_7
; %bb.4:
	v_mov_b32_e32 v1, 0
	v_mad_u32_u24 v2, v221, 3, v6
	s_mov_b32 s6, exec_lo
	ds_store_b32 v7, v1
	ds_store_b32 v2, v1 offset:128
	v_cmpx_gt_u32_e32 8, v221
; %bb.5:
	v_mov_b64_e32 v[2:3], 0
	ds_store_b64 v0, v[2:3] offset:256
; %bb.6:
	s_or_b32 exec_lo, exec_lo, s6
                                        ; implicit-def: $vgpr7
                                        ; implicit-def: $vgpr6
.LBB31_7:
	s_and_not1_saveexec_b32 s1, s1
	s_cbranch_execz .LBB31_17
; %bb.8:
	s_load_b96 s[48:50], s[2:3], 0x70
	v_dual_mov_b32 v3, 0 :: v_dual_lshlrev_b32 v2, 2, v235
	s_wait_kmcnt 0x0
	v_mul_lo_u32 v0, s48, v225
	s_mul_i32 s1, s30, s50
	s_mul_i32 s6, s48, s33
	;; [unrolled: 1-line block ×3, first 2 shown]
	s_add_co_i32 s1, s1, s6
	s_mov_b32 s6, exec_lo
	s_add_co_i32 s46, s1, s25
	s_mov_b32 s25, s24
	s_ashr_i32 s47, s46, 31
	s_delay_alu instid0(SALU_CYCLE_1) | instskip(NEXT) | instid1(VALU_DEP_1)
	s_add_nc_u64 s[8:9], s[8:9], s[46:47]
	v_ashrrev_i32_e32 v1, 31, v0
	s_delay_alu instid0(VALU_DEP_1) | instskip(NEXT) | instid1(VALU_DEP_1)
	v_add_nc_u64_e32 v[0:1], s[8:9], v[0:1]
	v_add_nc_u64_e32 v[0:1], v[0:1], v[2:3]
	v_mbcnt_lo_u32_b32 v2, -1, 0
	s_delay_alu instid0(VALU_DEP_1) | instskip(SKIP_4) | instid1(VALU_DEP_3)
	v_xor_b32_e32 v8, 4, v2
	global_load_b128 v[16:19], v[0:1], off
	v_xor_b32_e32 v11, 2, v2
	v_cmp_gt_i32_e32 vcc_lo, 32, v8
	v_cndmask_b32_e32 v8, v2, v8, vcc_lo
	v_cmp_gt_i32_e32 vcc_lo, 32, v11
	s_delay_alu instid0(VALU_DEP_2) | instskip(SKIP_3) | instid1(VALU_DEP_2)
	v_dual_cndmask_b32 v11, v2, v11 :: v_dual_lshlrev_b32 v8, 2, v8
	s_wait_loadcnt 0x0
	v_dual_mov_b32 v4, v19 :: v_dual_mov_b32 v5, v17
	v_dual_mul_f32 v12, s24, v16 :: v_dual_mul_f32 v14, s24, v18
	v_pk_mul_f32 v[4:5], s[4:5], v[4:5] op_sel_hi:[0,1]
	s_delay_alu instid0(VALU_DEP_1) | instskip(NEXT) | instid1(VALU_DEP_1)
	v_max_num_f32_e64 v9, |v12|, |v5|
	v_max3_num_f32 v9, v9, |v14|, |v4|
	ds_bpermute_b32 v10, v8, v9
	s_wait_dscnt 0x0
	v_dual_max_num_f32 v13, v10, v10 :: v_dual_lshlrev_b32 v10, 2, v11
	s_delay_alu instid0(VALU_DEP_1) | instskip(SKIP_4) | instid1(VALU_DEP_1)
	v_dual_max_num_f32 v11, v9, v13 :: v_dual_bitop2_b32 v13, 1, v2 bitop3:0x14
	ds_bpermute_b32 v9, v10, v11
	v_cmp_gt_i32_e32 vcc_lo, 32, v13
	v_cndmask_b32_e32 v2, v2, v13, vcc_lo
	s_wait_dscnt 0x0
	v_dual_max_num_f32 v13, v9, v9 :: v_dual_lshlrev_b32 v9, 2, v2
	s_delay_alu instid0(VALU_DEP_1) | instskip(NEXT) | instid1(VALU_DEP_1)
	v_dual_max_num_f32 v2, v11, v13 :: v_dual_fma_f32 v13, s24, v16, v5
	v_fmac_f32_e32 v13, s24, v18
	ds_bpermute_b32 v11, v9, v2
	s_wait_dscnt 0x0
	v_dual_add_f32 v13, v13, v4 :: v_dual_max_num_f32 v11, v11, v11
	ds_bpermute_b32 v15, v8, v13
	v_max_num_f32_e32 v2, v2, v11
	s_delay_alu instid0(VALU_DEP_1) | instskip(NEXT) | instid1(VALU_DEP_1)
	v_div_scale_f32 v16, null, 0x42fe0000, 0x42fe0000, v2
	v_rcp_f32_e32 v17, v16
	s_wait_dscnt 0x0
	v_add_f32_e32 v11, v13, v15
	s_delay_alu instid0(TRANS32_DEP_1) | instskip(NEXT) | instid1(VALU_DEP_1)
	v_fma_f32 v13, -v16, v17, 1.0
	v_fmac_f32_e32 v17, v13, v17
	v_div_scale_f32 v18, vcc_lo, v2, 0x42fe0000, v2
	s_delay_alu instid0(VALU_DEP_1) | instskip(SKIP_3) | instid1(VALU_DEP_1)
	v_mul_f32_e32 v19, v18, v17
	ds_bpermute_b32 v15, v10, v11
	v_fma_f32 v13, -v16, v19, v18
	s_wait_dscnt 0x0
	v_dual_fmac_f32 v19, v13, v17 :: v_dual_add_f32 v11, v11, v15
	s_delay_alu instid0(VALU_DEP_1) | instskip(SKIP_2) | instid1(VALU_DEP_1)
	v_fma_f32 v15, -v16, v19, v18
	ds_bpermute_b32 v13, v9, v11
	v_div_fmas_f32 v15, v15, v17, v19
	v_div_fixup_f32 v2, v15, 0x42fe0000, v2
	s_delay_alu instid0(VALU_DEP_1)
	v_cmpx_neq_f32_e32 0, v2
	s_cbranch_execz .LBB31_10
; %bb.9:
	v_div_scale_f32 v3, null, v2, v2, v12
	v_div_scale_f32 v15, null, v2, v2, v4
	;; [unrolled: 1-line block ×3, first 2 shown]
	s_delay_alu instid0(VALU_DEP_3) | instskip(NEXT) | instid1(VALU_DEP_2)
	v_rcp_f32_e32 v16, v3
	v_rcp_f32_e32 v18, v15
	v_div_scale_f32 v19, null, v2, v2, v14
	s_delay_alu instid0(VALU_DEP_2) | instskip(SKIP_1) | instid1(TRANS32_DEP_3)
	v_rcp_f32_e32 v22, v17
	v_div_scale_f32 v21, vcc_lo, v12, v2, v12
	v_fma_f32 v20, -v3, v16, 1.0
	s_delay_alu instid0(TRANS32_DEP_2) | instskip(SKIP_2) | instid1(VALU_DEP_2)
	v_fma_f32 v23, -v15, v18, 1.0
	v_rcp_f32_e32 v24, v19
	v_div_scale_f32 v29, s4, v5, v2, v5
	v_dual_fmac_f32 v16, v20, v16 :: v_dual_fmac_f32 v18, v23, v18
	v_div_scale_f32 v20, s1, v4, v2, v4
	v_fma_f32 v23, -v17, v22, 1.0
	s_delay_alu instid0(VALU_DEP_3) | instskip(NEXT) | instid1(TRANS32_DEP_1)
	v_mul_f32_e32 v26, v21, v16
	v_fma_f32 v25, -v19, v24, 1.0
	s_delay_alu instid0(VALU_DEP_4) | instskip(NEXT) | instid1(VALU_DEP_4)
	v_mul_f32_e32 v27, v20, v18
	v_fmac_f32_e32 v22, v23, v22
	s_delay_alu instid0(VALU_DEP_3) | instskip(NEXT) | instid1(VALU_DEP_3)
	v_dual_fma_f32 v23, -v3, v26, v21 :: v_dual_fmac_f32 v24, v25, v24
	v_fma_f32 v30, -v15, v27, v20
	v_div_scale_f32 v25, s5, v14, v2, v14
	s_delay_alu instid0(VALU_DEP_3) | instskip(NEXT) | instid1(VALU_DEP_2)
	v_dual_mul_f32 v31, v29, v22 :: v_dual_fmac_f32 v26, v23, v16
	v_dual_fmac_f32 v27, v30, v18 :: v_dual_mul_f32 v23, v25, v24
	s_delay_alu instid0(VALU_DEP_2) | instskip(NEXT) | instid1(VALU_DEP_2)
	v_fma_f32 v3, -v3, v26, v21
	v_fma_f32 v15, -v15, v27, v20
	s_delay_alu instid0(VALU_DEP_3) | instskip(SKIP_1) | instid1(VALU_DEP_4)
	v_fma_f32 v20, -v19, v23, v25
	v_fma_f32 v30, -v17, v31, v29
	v_div_fmas_f32 v3, v3, v16, v26
	s_mov_b32 vcc_lo, s1
	s_delay_alu instid0(VALU_DEP_3) | instskip(SKIP_4) | instid1(VALU_DEP_3)
	v_fmac_f32_e32 v23, v20, v24
	v_div_fmas_f32 v15, v15, v18, v27
	v_fmac_f32_e32 v31, v30, v22
	v_div_fixup_f32 v3, v3, v2, v12
	s_mov_b32 vcc_lo, s4
	v_div_fixup_f32 v4, v15, v2, v4
	s_delay_alu instid0(VALU_DEP_1) | instskip(SKIP_3) | instid1(VALU_DEP_4)
	v_trunc_f32_e32 v12, v4
	v_fma_f32 v16, -v17, v31, v29
	v_fma_f32 v17, -v19, v23, v25
	v_trunc_f32_e32 v19, v3
	v_sub_f32_e32 v20, v4, v12
	s_delay_alu instid0(VALU_DEP_4) | instskip(SKIP_2) | instid1(VALU_DEP_2)
	v_div_fmas_f32 v16, v16, v22, v31
	s_mov_b32 vcc_lo, s5
	v_div_fmas_f32 v17, v17, v24, v23
	v_div_fixup_f32 v5, v16, v2, v5
	s_delay_alu instid0(VALU_DEP_2) | instskip(NEXT) | instid1(VALU_DEP_2)
	v_div_fixup_f32 v14, v17, v2, v14
	v_trunc_f32_e32 v15, v5
	s_delay_alu instid0(VALU_DEP_2) | instskip(NEXT) | instid1(VALU_DEP_1)
	v_trunc_f32_e32 v16, v14
	v_dual_sub_f32 v18, v5, v15 :: v_dual_sub_f32 v17, v14, v16
	s_delay_alu instid0(VALU_DEP_1) | instskip(NEXT) | instid1(VALU_DEP_1)
	v_cmp_ge_f32_e64 s1, |v17|, 0.5
	v_cndmask_b32_e64 v17, 0, 1.0, s1
	s_delay_alu instid0(VALU_DEP_3) | instskip(NEXT) | instid1(VALU_DEP_2)
	v_cmp_ge_f32_e64 s1, |v18|, 0.5
	v_bfi_b32 v14, 0x7fffffff, v17, v14
	s_delay_alu instid0(VALU_DEP_2) | instskip(SKIP_1) | instid1(VALU_DEP_3)
	v_cndmask_b32_e64 v18, 0, 1.0, s1
	v_cmp_ge_f32_e64 s1, |v20|, 0.5
	v_add_f32_e32 v14, v16, v14
	s_delay_alu instid0(VALU_DEP_3) | instskip(NEXT) | instid1(VALU_DEP_3)
	v_bfi_b32 v5, 0x7fffffff, v18, v5
	v_cndmask_b32_e64 v20, 0, 1.0, s1
	s_delay_alu instid0(VALU_DEP_3) | instskip(NEXT) | instid1(VALU_DEP_2)
	v_cvt_i32_f32_e32 v14, v14
	v_bfi_b32 v4, 0x7fffffff, v20, v4
	s_delay_alu instid0(VALU_DEP_1) | instskip(NEXT) | instid1(VALU_DEP_1)
	v_dual_sub_f32 v17, v3, v19 :: v_dual_add_f32 v4, v12, v4
	v_cmp_ge_f32_e64 s1, |v17|, 0.5
	s_delay_alu instid0(VALU_DEP_4) | instskip(SKIP_1) | instid1(VALU_DEP_4)
	v_and_b32_e32 v12, 0xff, v14
	v_add_f32_e32 v5, v15, v5
	v_cvt_i32_f32_e32 v4, v4
	s_delay_alu instid0(VALU_DEP_4) | instskip(NEXT) | instid1(VALU_DEP_4)
	v_cndmask_b32_e64 v16, 0, 1.0, s1
	v_lshlrev_b32_e32 v12, 16, v12
	s_delay_alu instid0(VALU_DEP_4) | instskip(NEXT) | instid1(VALU_DEP_3)
	v_cvt_i32_f32_e32 v5, v5
	v_bfi_b32 v3, 0x7fffffff, v16, v3
	s_delay_alu instid0(VALU_DEP_3) | instskip(NEXT) | instid1(VALU_DEP_3)
	v_lshl_or_b32 v4, v4, 24, v12
	v_and_b32_e32 v5, 0xff, v5
	s_delay_alu instid0(VALU_DEP_1) | instskip(NEXT) | instid1(VALU_DEP_1)
	v_dual_add_f32 v3, v19, v3 :: v_dual_lshlrev_b32 v5, 8, v5
	v_cvt_i32_f32_e32 v3, v3
	s_delay_alu instid0(VALU_DEP_1) | instskip(NEXT) | instid1(VALU_DEP_1)
	v_and_b32_e32 v3, 0xff, v3
	v_or3_b32 v3, v4, v5, v3
.LBB31_10:
	s_or_b32 exec_lo, exec_lo, s6
	v_and_b32_e32 v4, 7, v221
	ds_store_b32 v7, v3
	v_cmp_eq_u32_e64 s1, 0, v4
	s_and_saveexec_b32 s4, s1
	s_cbranch_execz .LBB31_12
; %bb.11:
	s_wait_dscnt 0x1
	v_add_f32_e32 v3, v11, v13
	ds_store_b64 v6, v[2:3] offset:256
.LBB31_12:
	s_or_b32 exec_lo, exec_lo, s4
	s_wait_dscnt 0x1
	global_load_b128 v[12:15], v[0:1], off offset:512
	s_wait_xcnt 0x0
	v_mov_b64_e32 v[0:1], s[24:25]
	s_mov_b32 s8, exec_lo
	s_wait_loadcnt 0x0
	v_dual_mov_b32 v2, v15 :: v_dual_mov_b32 v3, v13
	v_dual_mul_f32 v5, s24, v12 :: v_dual_mul_f32 v11, s24, v14
	s_delay_alu instid0(VALU_DEP_2) | instskip(NEXT) | instid1(VALU_DEP_1)
	v_pk_mul_f32 v[2:3], v[0:1], v[2:3]
	v_max_num_f32_e64 v0, |v5|, |v3|
	v_fma_f32 v4, s24, v12, v3
	s_delay_alu instid0(VALU_DEP_2) | instskip(NEXT) | instid1(VALU_DEP_2)
	v_max3_num_f32 v0, v0, |v11|, |v2|
	v_fmac_f32_e32 v4, s24, v14
	ds_bpermute_b32 v1, v8, v0
	s_wait_dscnt 0x0
	v_max_num_f32_e32 v1, v1, v1
	s_delay_alu instid0(VALU_DEP_1) | instskip(SKIP_3) | instid1(VALU_DEP_1)
	v_max_num_f32_e32 v0, v0, v1
	ds_bpermute_b32 v1, v10, v0
	s_wait_dscnt 0x0
	v_max_num_f32_e32 v1, v1, v1
	v_max_num_f32_e32 v0, v0, v1
	ds_bpermute_b32 v1, v9, v0
	s_wait_dscnt 0x0
	v_dual_add_f32 v4, v4, v2 :: v_dual_max_num_f32 v1, v1, v1
	ds_bpermute_b32 v8, v8, v4
	v_max_num_f32_e32 v0, v0, v1
	s_wait_dscnt 0x0
	v_add_f32_e32 v1, v4, v8
	ds_bpermute_b32 v8, v10, v1
	s_wait_dscnt 0x0
	v_add_f32_e32 v1, v1, v8
	v_div_scale_f32 v12, null, 0x42fe0000, 0x42fe0000, v0
	v_div_scale_f32 v10, vcc_lo, v0, 0x42fe0000, v0
	s_delay_alu instid0(VALU_DEP_2) | instskip(SKIP_1) | instid1(TRANS32_DEP_1)
	v_rcp_f32_e32 v13, v12
	v_nop
	v_fma_f32 v4, -v12, v13, 1.0
	s_delay_alu instid0(VALU_DEP_1) | instskip(NEXT) | instid1(VALU_DEP_1)
	v_fmac_f32_e32 v13, v4, v13
	v_mul_f32_e32 v14, v10, v13
	s_delay_alu instid0(VALU_DEP_1) | instskip(NEXT) | instid1(VALU_DEP_1)
	v_fma_f32 v4, -v12, v14, v10
	v_fmac_f32_e32 v14, v4, v13
	ds_bpermute_b32 v4, v9, v1
	v_fma_f32 v8, -v12, v14, v10
	s_delay_alu instid0(VALU_DEP_1) | instskip(NEXT) | instid1(VALU_DEP_1)
	v_div_fmas_f32 v8, v8, v13, v14
	v_div_fixup_f32 v0, v8, 0x42fe0000, v0
	v_mov_b32_e32 v8, 0
	s_delay_alu instid0(VALU_DEP_2)
	v_cmpx_neq_f32_e32 0, v0
	s_cbranch_execz .LBB31_14
; %bb.13:
	v_div_scale_f32 v8, null, v0, v0, v5
	v_div_scale_f32 v9, null, v0, v0, v2
	;; [unrolled: 1-line block ×3, first 2 shown]
	s_delay_alu instid0(VALU_DEP_3) | instskip(NEXT) | instid1(VALU_DEP_2)
	v_rcp_f32_e32 v10, v8
	v_rcp_f32_e32 v13, v9
	v_div_scale_f32 v14, null, v0, v0, v11
	s_delay_alu instid0(VALU_DEP_2) | instskip(SKIP_1) | instid1(TRANS32_DEP_3)
	v_rcp_f32_e32 v17, v12
	v_div_scale_f32 v16, vcc_lo, v5, v0, v5
	v_fma_f32 v15, -v8, v10, 1.0
	s_delay_alu instid0(TRANS32_DEP_2) | instskip(SKIP_2) | instid1(VALU_DEP_2)
	v_fma_f32 v18, -v9, v13, 1.0
	v_rcp_f32_e32 v19, v14
	v_div_scale_f32 v23, s5, v3, v0, v3
	v_dual_fmac_f32 v10, v15, v10 :: v_dual_fmac_f32 v13, v18, v13
	v_div_scale_f32 v15, s4, v2, v0, v2
	v_fma_f32 v18, -v12, v17, 1.0
	s_delay_alu instid0(TRANS32_DEP_1) | instskip(NEXT) | instid1(VALU_DEP_3)
	v_fma_f32 v20, -v14, v19, 1.0
	v_dual_mul_f32 v21, v16, v10 :: v_dual_mul_f32 v22, v15, v13
	s_delay_alu instid0(VALU_DEP_3) | instskip(NEXT) | instid1(VALU_DEP_2)
	v_fmac_f32_e32 v17, v18, v17
	v_dual_fma_f32 v18, -v8, v21, v16 :: v_dual_fma_f32 v24, -v9, v22, v15
	s_delay_alu instid0(VALU_DEP_2) | instskip(SKIP_1) | instid1(VALU_DEP_3)
	v_dual_fmac_f32 v19, v20, v19 :: v_dual_mul_f32 v25, v23, v17
	v_div_scale_f32 v20, s6, v11, v0, v11
	v_dual_fmac_f32 v21, v18, v10 :: v_dual_fmac_f32 v22, v24, v13
	s_delay_alu instid0(VALU_DEP_2) | instskip(NEXT) | instid1(VALU_DEP_4)
	v_mul_f32_e32 v18, v20, v19
	v_fma_f32 v24, -v12, v25, v23
	s_delay_alu instid0(VALU_DEP_3) | instskip(NEXT) | instid1(VALU_DEP_2)
	v_dual_fma_f32 v8, -v8, v21, v16 :: v_dual_fma_f32 v9, -v9, v22, v15
	v_dual_fma_f32 v15, -v14, v18, v20 :: v_dual_fmac_f32 v25, v24, v17
	s_delay_alu instid0(VALU_DEP_2) | instskip(SKIP_1) | instid1(VALU_DEP_2)
	v_div_fmas_f32 v8, v8, v10, v21
	s_mov_b32 vcc_lo, s4
	v_dual_fmac_f32 v18, v15, v19 :: v_dual_fma_f32 v10, -v12, v25, v23
	v_div_fmas_f32 v9, v9, v13, v22
	s_mov_b32 vcc_lo, s5
	v_div_fixup_f32 v5, v8, v0, v5
	s_delay_alu instid0(VALU_DEP_3)
	v_fma_f32 v12, -v14, v18, v20
	v_div_fmas_f32 v10, v10, v17, v25
	s_mov_b32 vcc_lo, s6
	v_div_fixup_f32 v2, v9, v0, v2
	v_trunc_f32_e32 v14, v5
	v_div_fmas_f32 v12, v12, v19, v18
	v_div_fixup_f32 v3, v10, v0, v3
	s_delay_alu instid0(VALU_DEP_4) | instskip(NEXT) | instid1(VALU_DEP_3)
	v_trunc_f32_e32 v8, v2
	v_div_fixup_f32 v11, v12, v0, v11
	s_delay_alu instid0(VALU_DEP_3) | instskip(NEXT) | instid1(VALU_DEP_3)
	v_trunc_f32_e32 v9, v3
	v_sub_f32_e32 v15, v2, v8
	s_delay_alu instid0(VALU_DEP_3) | instskip(NEXT) | instid1(VALU_DEP_3)
	v_trunc_f32_e32 v10, v11
	v_sub_f32_e32 v13, v3, v9
	s_delay_alu instid0(VALU_DEP_2) | instskip(NEXT) | instid1(VALU_DEP_1)
	v_sub_f32_e32 v12, v11, v10
	v_cmp_ge_f32_e64 s4, |v12|, 0.5
	s_delay_alu instid0(VALU_DEP_1) | instskip(NEXT) | instid1(VALU_DEP_1)
	v_cndmask_b32_e64 v12, 0, 1.0, s4
	v_bfi_b32 v11, 0x7fffffff, v12, v11
	v_sub_f32_e32 v12, v5, v14
	v_cmp_ge_f32_e64 s4, |v13|, 0.5
	s_delay_alu instid0(VALU_DEP_1) | instskip(SKIP_1) | instid1(VALU_DEP_2)
	v_cndmask_b32_e64 v13, 0, 1.0, s4
	v_cmp_ge_f32_e64 s4, |v15|, 0.5
	v_bfi_b32 v3, 0x7fffffff, v13, v3
	s_delay_alu instid0(VALU_DEP_2) | instskip(SKIP_1) | instid1(VALU_DEP_2)
	v_cndmask_b32_e64 v15, 0, 1.0, s4
	v_cmp_ge_f32_e64 s4, |v12|, 0.5
	v_bfi_b32 v2, 0x7fffffff, v15, v2
	v_add_f32_e32 v10, v10, v11
	s_delay_alu instid0(VALU_DEP_3) | instskip(NEXT) | instid1(VALU_DEP_3)
	v_cndmask_b32_e64 v11, 0, 1.0, s4
	v_add_f32_e32 v2, v8, v2
	s_delay_alu instid0(VALU_DEP_2) | instskip(SKIP_2) | instid1(VALU_DEP_4)
	v_bfi_b32 v5, 0x7fffffff, v11, v5
	v_add_f32_e32 v3, v9, v3
	v_cvt_i32_f32_e32 v9, v10
	v_cvt_i32_f32_e32 v2, v2
	s_delay_alu instid0(VALU_DEP_4) | instskip(NEXT) | instid1(VALU_DEP_4)
	v_add_f32_e32 v5, v14, v5
	v_cvt_i32_f32_e32 v3, v3
	s_delay_alu instid0(VALU_DEP_4) | instskip(NEXT) | instid1(VALU_DEP_3)
	v_and_b32_e32 v8, 0xff, v9
	v_cvt_i32_f32_e32 v5, v5
	s_delay_alu instid0(VALU_DEP_3) | instskip(NEXT) | instid1(VALU_DEP_3)
	v_and_b32_e32 v3, 0xff, v3
	v_lshlrev_b32_e32 v8, 16, v8
	s_delay_alu instid0(VALU_DEP_3) | instskip(NEXT) | instid1(VALU_DEP_3)
	v_and_b32_e32 v5, 0xff, v5
	v_lshlrev_b32_e32 v3, 8, v3
	s_delay_alu instid0(VALU_DEP_3) | instskip(NEXT) | instid1(VALU_DEP_1)
	v_lshl_or_b32 v2, v2, 24, v8
	v_or3_b32 v8, v2, v3, v5
.LBB31_14:
	s_or_b32 exec_lo, exec_lo, s8
	ds_store_b32 v7, v8 offset:128
	s_and_saveexec_b32 s4, s1
	s_cbranch_execz .LBB31_16
; %bb.15:
	s_wait_dscnt 0x1
	v_add_f32_e32 v1, v1, v4
	ds_store_b64 v6, v[0:1] offset:288
.LBB31_16:
	s_or_b32 exec_lo, exec_lo, s4
.LBB31_17:
	s_delay_alu instid0(SALU_CYCLE_1) | instskip(SKIP_4) | instid1(VALU_DEP_1)
	s_or_b32 exec_lo, exec_lo, s27
	v_and_b32_e32 v33, 1, v221
	s_wait_dscnt 0x0
	s_barrier_signal -1
	s_barrier_wait -1
	v_lshlrev_b32_e32 v48, 2, v33
	s_cmp_eq_u64 s[18:19], 0
	s_mov_b32 s35, s38
	ds_load_2addr_b32 v[52:53], v48 offset1:2
	ds_load_2addr_b32 v[54:55], v48 offset0:4 offset1:6
	ds_load_2addr_b32 v[56:57], v48 offset0:8 offset1:10
	ds_load_2addr_b32 v[58:59], v48 offset0:12 offset1:14
	ds_load_2addr_b32 v[60:61], v48 offset0:16 offset1:18
	ds_load_2addr_b32 v[62:63], v48 offset0:20 offset1:22
	ds_load_2addr_b32 v[64:65], v48 offset0:24 offset1:26
	ds_load_2addr_b32 v[66:67], v48 offset0:28 offset1:30
	ds_load_2addr_b32 v[68:69], v48 offset0:32 offset1:34
	ds_load_2addr_b32 v[70:71], v48 offset0:36 offset1:38
	ds_load_2addr_b32 v[72:73], v48 offset0:40 offset1:42
	ds_load_2addr_b32 v[74:75], v48 offset0:44 offset1:46
	ds_load_2addr_b32 v[76:77], v48 offset0:48 offset1:50
	ds_load_2addr_b32 v[78:79], v48 offset0:52 offset1:54
	ds_load_2addr_b32 v[80:81], v48 offset0:56 offset1:58
	ds_load_2addr_b32 v[82:83], v48 offset0:60 offset1:62
	ds_load_2addr_b32 v[84:85], v48 offset0:128 offset1:130
	ds_load_2addr_b32 v[86:87], v48 offset0:132 offset1:134
	ds_load_2addr_b32 v[88:89], v48 offset0:136 offset1:138
	ds_load_2addr_b32 v[90:91], v48 offset0:140 offset1:142
	ds_load_2addr_b32 v[92:93], v48 offset0:144 offset1:146
	ds_load_2addr_b32 v[94:95], v48 offset0:148 offset1:150
	ds_load_2addr_b32 v[96:97], v48 offset0:152 offset1:154
	ds_load_2addr_b32 v[98:99], v48 offset0:156 offset1:158
	ds_load_2addr_b32 v[100:101], v48 offset0:160 offset1:162
	ds_load_2addr_b32 v[102:103], v48 offset0:164 offset1:166
	ds_load_2addr_b32 v[104:105], v48 offset0:168 offset1:170
	ds_load_2addr_b32 v[106:107], v48 offset0:172 offset1:174
	ds_load_2addr_b32 v[108:109], v48 offset0:176 offset1:178
	ds_load_2addr_b32 v[110:111], v48 offset0:180 offset1:182
	ds_load_2addr_b32 v[112:113], v48 offset0:184 offset1:186
	ds_load_2addr_b32 v[114:115], v48 offset0:188 offset1:190
	ds_load_b128 v[0:3], v28 offset:256
	ds_load_b128 v[4:7], v28 offset:272
	;; [unrolled: 1-line block ×8, first 2 shown]
	s_wait_dscnt 0x0
	s_barrier_signal -1
	s_barrier_wait -1
	s_cbranch_scc1 .LBB31_19
; %bb.18:
	s_load_b32 s1, s[2:3], 0xd0
	s_wait_kmcnt 0x0
	s_mul_i32 s1, s1, s30
	s_delay_alu instid0(SALU_CYCLE_1)
	s_add_co_i32 s1, s1, s26
	s_load_b32 s35, s[18:19], s1 offset:0x0 scale_offset
.LBB31_19:
	v_lshlrev_b32_e32 v34, 5, v225
	s_wait_xcnt 0x0
	s_bfe_u32 s1, ttmp6, 0x40010
	s_and_b32 s4, ttmp7, 0xffff
	s_add_co_i32 s1, s1, 1
	s_bfe_u32 s5, ttmp6, 0x40004
	s_mul_i32 s1, s4, s1
	v_add_nc_u32_e32 v236, v34, v221
	s_add_co_i32 s5, s5, s1
	s_cmp_eq_u32 s7, 0
	v_add_nc_u32_e32 v239, 0xa00, v32
	s_cselect_b32 s36, s4, s5
	v_mbcnt_lo_u32_b32 v240, -1, 0
	v_lshlrev_b32_e32 v238, 1, v236
	s_lshl_b32 s40, s36, 7
	s_mov_b32 s9, 0
	s_wait_kmcnt 0x0
	s_cmp_ge_i32 s40, s35
	s_cbranch_scc1 .LBB31_47
; %bb.20:
	s_mul_f32 s1, s45, 0x4f7ffffe
	s_mul_f32 s4, s42, 0x4f7ffffe
	s_sub_co_i32 s5, 0, s44
	s_sub_co_i32 s6, 0, s39
	s_cvt_u32_f32 s1, s1
	s_cvt_u32_f32 s7, s4
	s_abs_i32 s42, s34
	v_and_b32_e32 v32, 0x7e, v221
	s_mul_i32 s5, s5, s1
	s_mul_i32 s6, s6, s7
	s_mul_hi_u32 s4, s1, s5
	s_mul_hi_u32 s5, s7, s6
	s_add_co_i32 s4, s1, s4
	s_add_co_i32 s18, s7, s5
	s_mov_b32 s5, s43
	s_ashr_i32 s1, s34, 31
	s_mul_u64 s[46:47], s[42:43], s[4:5]
	s_clause 0x1
	s_load_b64 s[24:25], s[2:3], 0x8c
	s_load_b128 s[4:7], s[2:3], 0x98
	s_ashr_i32 s8, s31, 31
	s_mul_i32 s19, s47, s44
	s_xor_b32 s1, s1, s8
	s_sub_co_i32 s8, s42, s19
	s_abs_i32 s26, s30
	s_ashr_i32 s31, s30, 31
	s_add_co_i32 s19, s47, 1
	s_sub_co_i32 s27, s8, s44
	s_cmp_ge_u32 s8, s44
	v_add_f32_e32 v212, v27, v27
	s_cselect_b32 s19, s19, s47
	s_cselect_b32 s8, s27, s8
	s_add_co_i32 s27, s19, 1
	s_cmp_ge_u32 s8, s44
	v_add_f32_e32 v216, v13, v13
	s_cselect_b32 s8, s27, s19
	s_mov_b32 s27, s43
	s_mov_b32 s19, s43
	s_xor_b32 s8, s8, s1
	s_wait_kmcnt 0x0
	v_mul_lo_u32 v116, v34, s6
	s_mul_u64 s[46:47], s[26:27], s[18:19]
	s_sub_co_i32 s1, s8, s1
	s_mul_i32 s8, s47, s39
	s_mul_i32 s18, s1, s25
	;; [unrolled: 1-line block ×3, first 2 shown]
	s_sub_co_i32 s1, s26, s8
	s_ashr_i32 s19, s18, 31
	s_ashr_i32 s47, s46, 31
	s_sub_co_i32 s7, s1, s39
	s_cmp_ge_u32 s1, s39
	v_add_nc_u32_e32 v118, s6, v116
	s_cselect_b32 s1, s7, s1
	s_clause 0x1
	s_load_b64 s[42:43], s[2:3], 0xa8
	s_load_b64 s[44:45], s[2:3], 0xc8
	s_sub_co_i32 s7, s1, s39
	s_cmp_ge_u32 s1, s39
	v_add_nc_u32_e32 v120, s6, v118
	s_cselect_b32 s1, s7, s1
	s_mul_u64 s[4:5], s[4:5], s[30:31]
	s_xor_b32 s1, s1, s31
	s_add_nc_u64 s[10:11], s[10:11], s[4:5]
	v_add_nc_u32_e32 v122, s6, v120
	s_sub_co_i32 s26, s1, s31
	s_load_b32 s1, s[2:3], 0xd4
	s_ashr_i32 s27, s26, 31
	s_lshl_b32 s8, s40, 1
	v_dual_add_nc_u32 v124, s6, v122 :: v_dual_bitop2_b32 v254, 28, v235 bitop3:0x40
	v_add_f32_e32 v9, v9, v9
	v_bitop3_b32 v134, v48, 12, 24 bitop3:0xc8
	v_bitop3_b32 v138, v48, 12, 56 bitop3:0xc8
	s_delay_alu instid0(VALU_DEP_4)
	v_add_nc_u32_e32 v126, s6, v124
	s_wait_kmcnt 0x0
	s_mul_u64 s[4:5], s[42:43], s[30:31]
	s_mul_i32 s42, s41, s33
	s_mul_u64 s[26:27], s[44:45], s[26:27]
	s_ashr_i32 s43, s42, 31
	v_add_nc_u32_e32 v128, s6, v126
	s_cmp_lg_u64 s[14:15], 0
	v_dual_mov_b32 v49, 0 :: v_dual_bitop2_b32 v35, 1, v240 bitop3:0x14
	s_add_nc_u64 s[26:27], s[14:15], s[26:27]
	s_delay_alu instid0(VALU_DEP_2) | instskip(NEXT) | instid1(VALU_DEP_2)
	v_add_nc_u32_e32 v130, s6, v128
	v_dual_mov_b32 v147, v49 :: v_dual_add_nc_u32 v132, v34, v32
	v_dual_mov_b32 v155, v49 :: v_dual_bitop2_b32 v32, 30, v240 bitop3:0x40
	s_delay_alu instid0(VALU_DEP_3) | instskip(NEXT) | instid1(VALU_DEP_3)
	v_add_nc_u32_e32 v136, s6, v130
	v_mul_lo_u32 v162, v132, s24
	s_delay_alu instid0(VALU_DEP_3) | instskip(NEXT) | instid1(VALU_DEP_3)
	v_dual_mov_b32 v141, v49 :: v_dual_add_nc_u32 v32, 2, v32
	v_dual_mov_b32 v159, v49 :: v_dual_add_nc_u32 v142, s6, v136
	v_mov_b32_e32 v145, v49
	s_cselect_b32 s7, -1, 0
	s_delay_alu instid0(VALU_DEP_3)
	v_cmp_lt_i32_e32 vcc_lo, v35, v32
	s_lshl_b32 s14, s1, 7
	v_dual_mov_b32 v151, v49 :: v_dual_add_nc_u32 v148, s6, v142
	v_cmp_eq_u32_e64 s1, 0, v33
	s_add_nc_u64 s[4:5], s[12:13], s[4:5]
	s_add_nc_u64 s[12:13], s[26:27], s[42:43]
	v_add_nc_u32_e32 v152, s6, v148
	s_cmp_lt_i32 s33, s28
	v_dual_cndmask_b32 v32, v240, v35, vcc_lo :: v_dual_bitop2_b32 v35, 8, v240 bitop3:0x14
	s_delay_alu instid0(VALU_DEP_2) | instskip(SKIP_1) | instid1(VALU_DEP_3)
	v_dual_lshlrev_b32 v246, 1, v34 :: v_dual_add_nc_u32 v156, s6, v152
	v_dual_ashrrev_i32 v163, 31, v162 :: v_dual_bitop2_b32 v33, 4, v240 bitop3:0x14
	v_dual_lshlrev_b32 v241, 2, v32 :: v_dual_mov_b32 v133, v49
	s_delay_alu instid0(VALU_DEP_3)
	v_add_nc_u32_e32 v160, s6, v156
	s_add_nc_u64 s[26:27], s[4:5], s[46:47]
	s_add_nc_u64 s[4:5], s[12:13], s[8:9]
	s_mul_i32 s8, s6, s40
	s_cselect_b32 s25, -1, 0
	v_add_nc_u32_e32 v164, s6, v160
	s_add_nc_u64 s[12:13], s[10:11], s[18:19]
	v_add_nc_u32_e32 v174, s24, v162
	s_add_nc_u64 s[10:11], s[26:27], s[8:9]
	s_or_b32 s26, s33, 1
	v_add_nc_u32_e32 v166, s6, v164
	s_and_b32 s25, s7, s25
	s_mul_i32 s8, s24, s40
	s_cmp_lt_i32 s26, s28
	s_add_nc_u64 s[12:13], s[12:13], s[8:9]
	v_add_nc_u32_e32 v168, s6, v166
	s_mul_i32 s8, s14, s24
	v_ashrrev_i32_e32 v175, 31, v174
	s_cselect_b32 s24, -1, 0
	s_ashr_i32 s39, s38, 31
	v_add_nc_u32_e32 v170, s6, v168
	v_add_nc_u32_e32 v172, s38, v132
	v_add_nc_u64_e32 v[222:223], s[38:39], v[132:133]
	v_dual_mov_b32 v135, v49 :: v_dual_mov_b32 v139, v49
	s_delay_alu instid0(VALU_DEP_4)
	v_add_nc_u32_e32 v176, s6, v170
	v_bitop3_b32 v140, v48, 12, 0x58 bitop3:0xc8
	v_bitop3_b32 v144, v48, 12, 0x78 bitop3:0xc8
	;; [unrolled: 1-line block ×4, first 2 shown]
	v_add_nc_u32_e32 v178, s6, v176
	v_xor_b32_e32 v32, 2, v240
	v_bitop3_b32 v154, v48, 12, 0xd8 bitop3:0xc8
	v_bitop3_b32 v158, v48, 12, 0xf8 bitop3:0xc8
	v_dual_ashrrev_i32 v117, 31, v116 :: v_dual_ashrrev_i32 v123, 31, v122
	v_add_nc_u32_e32 v180, s6, v178
	v_cmp_gt_i32_e32 vcc_lo, 32, v32
	v_dual_ashrrev_i32 v121, 31, v120 :: v_dual_bitop2_b32 v188, 12, v235 bitop3:0x40
	s_delay_alu instid0(VALU_DEP_3) | instskip(SKIP_3) | instid1(VALU_DEP_4)
	v_dual_ashrrev_i32 v127, 31, v126 :: v_dual_add_nc_u32 v182, s6, v180
	v_cndmask_b32_e32 v32, v240, v32, vcc_lo
	v_cmp_gt_i32_e32 vcc_lo, 32, v33
	v_dual_ashrrev_i32 v173, 31, v172 :: v_dual_mov_b32 v191, v49
	v_add_nc_u32_e32 v184, s6, v182
	v_dual_ashrrev_i32 v119, 31, v118 :: v_dual_cndmask_b32 v33, v240, v33, vcc_lo
	v_cmp_gt_i32_e32 vcc_lo, 32, v35
	v_lshlrev_b32_e32 v242, 2, v32
	s_delay_alu instid0(VALU_DEP_4) | instskip(SKIP_4) | instid1(VALU_DEP_3)
	v_add_nc_u32_e32 v186, s6, v184
	v_add_nc_u32_e32 v32, 0x80, v235
	v_dual_lshlrev_b32 v243, 2, v33 :: v_dual_cndmask_b32 v35, v240, v35, vcc_lo
	v_xor_b32_e32 v36, 16, v240
	v_dual_add_f32 v208, v31, v31 :: v_dual_ashrrev_i32 v185, 31, v184
	v_dual_mov_b32 v189, v49 :: v_dual_lshlrev_b32 v244, 2, v35
	s_delay_alu instid0(VALU_DEP_3) | instskip(SKIP_4) | instid1(VALU_DEP_4)
	v_cmp_gt_i32_e32 vcc_lo, 32, v36
	v_dual_add_nc_u32 v192, s6, v186 :: v_dual_bitop2_b32 v190, 12, v32 bitop3:0x40
	v_dual_ashrrev_i32 v129, 31, v128 :: v_dual_ashrrev_i32 v143, 31, v142
	v_cndmask_b32_e32 v36, v240, v36, vcc_lo
	v_dual_ashrrev_i32 v137, 31, v136 :: v_dual_ashrrev_i32 v167, 31, v166
	v_dual_add_nc_u32 v194, s6, v192 :: v_dual_ashrrev_i32 v131, 31, v130
	s_delay_alu instid0(VALU_DEP_3) | instskip(SKIP_2) | instid1(VALU_DEP_4)
	v_lshlrev_b32_e32 v245, 2, v36
	v_ashrrev_i32_e32 v125, 31, v124
	v_dual_ashrrev_i32 v153, 31, v152 :: v_dual_ashrrev_i32 v171, 31, v170
	v_dual_add_nc_u32 v196, s6, v194 :: v_dual_ashrrev_i32 v157, 31, v156
	v_ashrrev_i32_e32 v183, 31, v182
	v_dual_add_f32 v210, v29, v29 :: v_dual_ashrrev_i32 v179, 31, v178
	s_delay_alu instid0(VALU_DEP_3) | instskip(SKIP_2) | instid1(VALU_DEP_3)
	v_dual_ashrrev_i32 v197, 31, v196 :: v_dual_add_nc_u32 v198, s6, v196
	v_dual_ashrrev_i32 v149, 31, v148 :: v_dual_mov_b32 v29, v28
	v_dual_add_f32 v214, v15, v15 :: v_dual_mov_b32 v213, v212
	v_dual_add_nc_u32 v200, s6, v198 :: v_dual_add_f32 v218, v11, v11
	v_dual_ashrrev_i32 v161, 31, v160 :: v_dual_ashrrev_i32 v187, 31, v186
	v_dual_ashrrev_i32 v169, 31, v168 :: v_dual_ashrrev_i32 v195, 31, v194
	s_delay_alu instid0(VALU_DEP_3) | instskip(SKIP_2) | instid1(VALU_DEP_3)
	v_dual_add_nc_u32 v202, s6, v200 :: v_dual_ashrrev_i32 v201, 31, v200
	v_ashrrev_i32_e32 v165, 31, v164
	v_dual_ashrrev_i32 v177, 31, v176 :: v_dual_ashrrev_i32 v199, 31, v198
	v_dual_add_nc_u32 v204, s6, v202 :: v_dual_ashrrev_i32 v181, 31, v180
	v_dual_ashrrev_i32 v203, 31, v202 :: v_dual_mov_b32 v31, v30
	s_delay_alu instid0(VALU_DEP_2) | instskip(SKIP_2) | instid1(VALU_DEP_3)
	v_dual_mov_b32 v209, v208 :: v_dual_add_nc_u32 v206, s6, v204
	v_ashrrev_i32_e32 v205, 31, v204
	v_dual_ashrrev_i32 v193, 31, v192 :: v_dual_mov_b32 v211, v210
	v_dual_mov_b32 v27, v26 :: v_dual_ashrrev_i32 v207, 31, v206
	v_dual_mov_b32 v15, v14 :: v_dual_mov_b32 v215, v214
	v_dual_mov_b32 v13, v12 :: v_dual_mov_b32 v217, v216
	;; [unrolled: 1-line block ×4, first 2 shown]
	v_dual_add_f32 v1, v1, v1 :: v_dual_bitop2_b32 v247, 8, v48 bitop3:0x54
	v_dual_add_f32 v3, v3, v3 :: v_dual_bitop2_b32 v248, 16, v48 bitop3:0x54
	;; [unrolled: 1-line block ×3, first 2 shown]
	v_bitop3_b32 v250, v48, 28, 56 bitop3:0xc8
	v_bitop3_b32 v251, v48, 28, 0x58 bitop3:0xc8
	;; [unrolled: 1-line block ×5, first 2 shown]
	s_set_vgpr_msb 64                       ;  msbs: dst=1 src0=0 src1=0 src2=0
	v_bitop3_b32 v0 /*v256*/, v48, 28, 0xd8 bitop3:0xc8
	v_bitop3_b32 v1 /*v257*/, v48, 28, 0xf8 bitop3:0xc8
	v_and_b32_e32 v2 /*v258*/, 4, v221
	v_or_b32_e32 v3 /*v259*/, 1, v254
	v_or_b32_e32 v4 /*v260*/, 2, v254
	;; [unrolled: 1-line block ×3, first 2 shown]
	s_set_vgpr_msb 0                        ;  msbs: dst=0 src0=0 src1=0 src2=0
	v_dual_add_f32 v7, v7, v7 :: v_dual_add_f32 v17, v17, v17
	v_dual_add_f32 v19, v19, v19 :: v_dual_add_f32 v21, v21, v21
	;; [unrolled: 1-line block ×3, first 2 shown]
	v_dual_mov_b32 v39, 0xfeffffff :: v_dual_lshrrev_b32 v220, 5, v32
	v_mov_b32_e32 v38, 0xfeffffff
	v_bfe_u32 v224, v221, 3, 27
	v_mov_b32_e32 v226, v49
	s_mov_b32 s15, s9
	s_mul_i32 s18, s14, s6
	s_mov_b32 s19, s9
	s_and_b32 s24, s7, s24
	s_mov_b32 s26, 0xbbbac73d
	s_lshl_b64 s[6:7], s[14:15], 1
.LBB31_21:                              ; =>This Inner Loop Header: Depth=1
	s_set_vgpr_msb 0x41                     ;  msbs: dst=1 src0=1 src1=0 src2=0
	v_add_nc_u64_e32 v[24:25] /*v[280:281]*/, s[12:13], v[162:163]
	s_delay_alu instid0(VALU_DEP_1)
	v_add_nc_u64_e32 v[22:23] /*v[278:279]*/, v[24:25] /*v[280:281]*/, v[48:49]
	s_set_vgpr_msb 1                        ;  msbs: dst=0 src0=1 src1=0 src2=0
	s_clause 0x1
	global_load_b32 v32, v[22:23] /*v[278:279]*/, off offset:6
	global_load_b32 v36, v[24:25] /*v[280:281]*/, off offset:2
	s_wait_loadcnt 0x1
	v_and_b32_e32 v35, 0xf0f0f0f, v32
	s_wait_loadcnt 0x0
	s_set_vgpr_msb 0                        ;  msbs: dst=0 src0=0 src1=0 src2=0
	v_ashrrev_i32_e32 v33, v48, v36
	s_delay_alu instid0(VALU_DEP_1) | instskip(NEXT) | instid1(VALU_DEP_1)
	v_lshlrev_b32_e32 v34, 4, v33
	v_dual_lshlrev_b32 v37, 11, v33 :: v_dual_bitop2_b32 v34, 16, v34 bitop3:0x40
	v_dual_lshlrev_b32 v40, 18, v33 :: v_dual_lshlrev_b32 v33, 25, v33
	s_delay_alu instid0(VALU_DEP_2) | instskip(NEXT) | instid1(VALU_DEP_2)
	v_and_b32_e32 v37, 0x1000, v37
	v_and_b32_e32 v40, 0x100000, v40
	s_delay_alu instid0(VALU_DEP_3) | instskip(NEXT) | instid1(VALU_DEP_1)
	v_and_b32_e32 v33, 0x10000000, v33
	v_or3_b32 v33, v33, v35, v40
	v_ashrrev_i32_e32 v35, v247, v36
	s_delay_alu instid0(VALU_DEP_2)
	v_or3_b32 v41, v33, v34, v37
	s_set_vgpr_msb 1                        ;  msbs: dst=0 src0=1 src1=0 src2=0
	s_clause 0x1
	global_load_u16 v33, v[24:25] /*v[280:281]*/, off
	global_load_b32 v34, v[22:23] /*v[278:279]*/, off offset:14
	v_lshlrev_b32_e32 v37, 4, v35
	s_delay_alu instid0(VALU_DEP_1) | instskip(SKIP_1) | instid1(VALU_DEP_2)
	v_dual_lshlrev_b32 v40, 11, v35 :: v_dual_bitop2_b32 v37, 16, v37 bitop3:0x40
	v_dual_lshlrev_b32 v42, 18, v35 :: v_dual_lshlrev_b32 v35, 25, v35
	v_and_b32_e32 v40, 0x1000, v40
	s_delay_alu instid0(VALU_DEP_2) | instskip(NEXT) | instid1(VALU_DEP_3)
	v_and_b32_e32 v42, 0x100000, v42
	v_and_b32_e32 v35, 0x10000000, v35
	s_set_vgpr_msb 0                        ;  msbs: dst=0 src0=0 src1=0 src2=0
	s_delay_alu instid0(VALU_DEP_1) | instskip(SKIP_2) | instid1(VALU_DEP_1)
	v_or3_b32 v35, v42, v35, v37
	s_wait_loadcnt 0x0
	v_and_b32_e32 v34, 0xf0f0f0f, v34
	v_or3_b32 v42, v35, v40, v34
	v_ashrrev_i32_e32 v34, v248, v36
	s_delay_alu instid0(VALU_DEP_1) | instskip(NEXT) | instid1(VALU_DEP_1)
	v_dual_lshrrev_b32 v32, 4, v32 :: v_dual_lshlrev_b32 v35, 4, v34
	v_and_b32_e32 v32, 0xf0f0f0f, v32
	s_delay_alu instid0(VALU_DEP_2) | instskip(SKIP_1) | instid1(VALU_DEP_2)
	v_dual_lshlrev_b32 v37, 11, v34 :: v_dual_bitop2_b32 v35, 16, v35 bitop3:0x40
	v_dual_lshlrev_b32 v40, 18, v34 :: v_dual_lshlrev_b32 v34, 25, v34
	v_and_b32_e32 v37, 0x1000, v37
	s_delay_alu instid0(VALU_DEP_2) | instskip(NEXT) | instid1(VALU_DEP_3)
	v_and_b32_e32 v40, 0x100000, v40
	v_and_b32_e32 v34, 0x10000000, v34
	s_delay_alu instid0(VALU_DEP_1) | instskip(NEXT) | instid1(VALU_DEP_1)
	v_or3_b32 v32, v34, v32, v40
	v_or3_b32 v43, v32, v35, v37
	s_set_vgpr_msb 1                        ;  msbs: dst=0 src0=1 src1=0 src2=0
	v_add_nc_u64_e32 v[34:35], v[24:25] /*v[280:281]*/, v[134:135]
	s_set_vgpr_msb 0                        ;  msbs: dst=0 src0=0 src1=0 src2=0
	global_load_b32 v32, v[34:35], off offset:6
	s_wait_xcnt 0x0
	v_ashrrev_i32_e32 v34, v249, v36
	s_delay_alu instid0(VALU_DEP_1) | instskip(NEXT) | instid1(VALU_DEP_1)
	v_lshlrev_b32_e32 v35, 4, v34
	v_dual_lshlrev_b32 v36, 11, v34 :: v_dual_bitop2_b32 v35, 16, v35 bitop3:0x40
	v_dual_lshlrev_b32 v37, 18, v34 :: v_dual_lshlrev_b32 v34, 25, v34
	s_delay_alu instid0(VALU_DEP_2) | instskip(NEXT) | instid1(VALU_DEP_2)
	v_and_b32_e32 v36, 0x1000, v36
	v_and_b32_e32 v37, 0x100000, v37
	s_delay_alu instid0(VALU_DEP_3) | instskip(NEXT) | instid1(VALU_DEP_1)
	v_and_b32_e32 v34, 0x10000000, v34
	v_or3_b32 v34, v37, v34, v35
	s_wait_loadcnt 0x0
	v_lshrrev_b32_e32 v32, 4, v32
	s_delay_alu instid0(VALU_DEP_1) | instskip(NEXT) | instid1(VALU_DEP_1)
	v_and_b32_e32 v32, 0xf0f0f0f, v32
	v_or3_b32 v44, v34, v36, v32
	s_set_vgpr_msb 1                        ;  msbs: dst=0 src0=1 src1=0 src2=0
	s_clause 0x1
	global_load_b32 v32, v[22:23] /*v[278:279]*/, off offset:28
	global_load_b32 v34, v[24:25] /*v[280:281]*/, off offset:24
	s_wait_loadcnt 0x1
	v_and_b32_e32 v37, 0xf0f0f0f, v32
	s_wait_loadcnt 0x0
	s_set_vgpr_msb 0                        ;  msbs: dst=0 src0=0 src1=0 src2=0
	v_dual_ashrrev_i32 v35, v48, v34 :: v_dual_lshrrev_b32 v32, 4, v32
	s_delay_alu instid0(VALU_DEP_1) | instskip(NEXT) | instid1(VALU_DEP_1)
	v_lshlrev_b32_e32 v36, 4, v35
	v_dual_lshlrev_b32 v40, 11, v35 :: v_dual_bitop2_b32 v36, 16, v36 bitop3:0x40
	v_dual_lshlrev_b32 v45, 18, v35 :: v_dual_lshlrev_b32 v35, 25, v35
	s_delay_alu instid0(VALU_DEP_2) | instskip(NEXT) | instid1(VALU_DEP_2)
	v_and_b32_e32 v40, 0x1000, v40
	v_and_b32_e32 v45, 0x100000, v45
	s_delay_alu instid0(VALU_DEP_3) | instskip(NEXT) | instid1(VALU_DEP_1)
	v_and_b32_e32 v35, 0x10000000, v35
	v_or3_b32 v35, v35, v37, v45
	v_ashrrev_i32_e32 v37, v247, v34
	s_delay_alu instid0(VALU_DEP_2)
	v_or3_b32 v45, v35, v36, v40
	s_set_vgpr_msb 1                        ;  msbs: dst=0 src0=1 src1=0 src2=0
	s_clause 0x1
	global_load_u16 v35, v[24:25] /*v[280:281]*/, off offset:22
	global_load_b32 v36, v[22:23] /*v[278:279]*/, off offset:36
	v_lshlrev_b32_e32 v40, 4, v37
	s_delay_alu instid0(VALU_DEP_1) | instskip(SKIP_1) | instid1(VALU_DEP_2)
	v_dual_lshlrev_b32 v46, 11, v37 :: v_dual_bitop2_b32 v40, 16, v40 bitop3:0x40
	v_dual_lshlrev_b32 v47, 18, v37 :: v_dual_lshlrev_b32 v37, 25, v37
	v_and_b32_e32 v46, 0x1000, v46
	s_delay_alu instid0(VALU_DEP_2) | instskip(NEXT) | instid1(VALU_DEP_3)
	v_and_b32_e32 v47, 0x100000, v47
	v_and_b32_e32 v37, 0x10000000, v37
	s_set_vgpr_msb 0                        ;  msbs: dst=0 src0=0 src1=0 src2=0
	s_delay_alu instid0(VALU_DEP_1) | instskip(SKIP_2) | instid1(VALU_DEP_1)
	v_or3_b32 v37, v47, v37, v40
	s_wait_loadcnt 0x0
	v_and_b32_e32 v36, 0xf0f0f0f, v36
	v_or3_b32 v46, v37, v46, v36
	v_ashrrev_i32_e32 v36, v248, v34
	v_and_b32_e32 v32, 0xf0f0f0f, v32
	s_delay_alu instid0(VALU_DEP_2) | instskip(SKIP_1) | instid1(VALU_DEP_2)
	v_dual_ashrrev_i32 v34, v250, v34 :: v_dual_lshlrev_b32 v37, 4, v36
	v_dual_lshlrev_b32 v40, 11, v36 :: v_dual_lshlrev_b32 v47, 18, v36
	v_dual_lshlrev_b32 v36, 25, v36 :: v_dual_bitop2_b32 v37, 16, v37 bitop3:0x40
	s_delay_alu instid0(VALU_DEP_2) | instskip(NEXT) | instid1(VALU_DEP_3)
	v_and_b32_e32 v40, 0x1000, v40
	v_and_b32_e32 v47, 0x100000, v47
	s_delay_alu instid0(VALU_DEP_3) | instskip(NEXT) | instid1(VALU_DEP_1)
	v_and_b32_e32 v36, 0x10000000, v36
	v_or3_b32 v32, v36, v32, v47
	s_delay_alu instid0(VALU_DEP_1)
	v_or3_b32 v47, v32, v37, v40
	s_set_vgpr_msb 1                        ;  msbs: dst=0 src0=1 src1=0 src2=0
	v_add_nc_u64_e32 v[36:37], v[24:25] /*v[280:281]*/, v[138:139]
	v_lshlrev_b32_e32 v40, 18, v34
	s_set_vgpr_msb 0                        ;  msbs: dst=0 src0=0 src1=0 src2=0
	global_load_b32 v32, v[36:37], off offset:28
	s_wait_xcnt 0x0
	v_dual_lshlrev_b32 v36, 4, v34 :: v_dual_lshlrev_b32 v37, 11, v34
	v_lshlrev_b32_e32 v34, 25, v34
	v_and_b32_e32 v40, 0x100000, v40
	s_delay_alu instid0(VALU_DEP_3) | instskip(NEXT) | instid1(VALU_DEP_4)
	v_and_b32_e32 v36, 16, v36
	v_and_b32_e32 v37, 0x1000, v37
	s_delay_alu instid0(VALU_DEP_4) | instskip(NEXT) | instid1(VALU_DEP_1)
	v_and_b32_e32 v34, 0x10000000, v34
	v_or3_b32 v34, v40, v34, v36
	s_wait_loadcnt 0x0
	v_lshrrev_b32_e32 v32, 4, v32
	s_delay_alu instid0(VALU_DEP_1) | instskip(NEXT) | instid1(VALU_DEP_1)
	v_and_b32_e32 v32, 0xf0f0f0f, v32
	v_or3_b32 v133, v34, v37, v32
	s_set_vgpr_msb 1                        ;  msbs: dst=0 src0=1 src1=0 src2=0
	s_clause 0x1
	global_load_b32 v32, v[22:23] /*v[278:279]*/, off offset:50
	global_load_b32 v34, v[24:25] /*v[280:281]*/, off offset:46
	s_wait_loadcnt 0x1
	v_and_b32_e32 v40, 0xf0f0f0f, v32
	s_wait_loadcnt 0x0
	s_set_vgpr_msb 0                        ;  msbs: dst=0 src0=0 src1=0 src2=0
	v_dual_ashrrev_i32 v36, v48, v34 :: v_dual_lshrrev_b32 v32, 4, v32
	s_delay_alu instid0(VALU_DEP_1) | instskip(NEXT) | instid1(VALU_DEP_1)
	v_lshlrev_b32_e32 v37, 4, v36
	v_dual_lshlrev_b32 v227, 11, v36 :: v_dual_bitop2_b32 v37, 16, v37 bitop3:0x40
	v_dual_lshlrev_b32 v228, 18, v36 :: v_dual_lshlrev_b32 v36, 25, v36
	s_delay_alu instid0(VALU_DEP_2) | instskip(NEXT) | instid1(VALU_DEP_2)
	v_and_b32_e32 v227, 0x1000, v227
	v_and_b32_e32 v228, 0x100000, v228
	s_delay_alu instid0(VALU_DEP_3) | instskip(NEXT) | instid1(VALU_DEP_1)
	v_and_b32_e32 v36, 0x10000000, v36
	v_or3_b32 v36, v36, v40, v228
	v_ashrrev_i32_e32 v40, v247, v34
	s_delay_alu instid0(VALU_DEP_2)
	v_or3_b32 v227, v36, v37, v227
	s_set_vgpr_msb 1                        ;  msbs: dst=0 src0=1 src1=0 src2=0
	s_clause 0x1
	global_load_u16 v37, v[24:25] /*v[280:281]*/, off offset:44
	global_load_b32 v36, v[22:23] /*v[278:279]*/, off offset:58
	v_lshlrev_b32_e32 v228, 4, v40
	s_delay_alu instid0(VALU_DEP_1) | instskip(SKIP_2) | instid1(VALU_DEP_2)
	v_and_b32_e32 v228, 16, v228
	v_dual_lshlrev_b32 v229, 11, v40 :: v_dual_lshlrev_b32 v230, 18, v40
	v_lshlrev_b32_e32 v40, 25, v40
	v_and_b32_e32 v229, 0x1000, v229
	s_delay_alu instid0(VALU_DEP_3) | instskip(NEXT) | instid1(VALU_DEP_3)
	v_and_b32_e32 v230, 0x100000, v230
	v_and_b32_e32 v40, 0x10000000, v40
	s_set_vgpr_msb 0                        ;  msbs: dst=0 src0=0 src1=0 src2=0
	s_delay_alu instid0(VALU_DEP_1) | instskip(SKIP_2) | instid1(VALU_DEP_1)
	v_or3_b32 v40, v230, v40, v228
	s_wait_loadcnt 0x0
	v_and_b32_e32 v36, 0xf0f0f0f, v36
	v_or3_b32 v228, v40, v229, v36
	v_ashrrev_i32_e32 v36, v248, v34
	v_and_b32_e32 v32, 0xf0f0f0f, v32
	s_delay_alu instid0(VALU_DEP_2) | instskip(SKIP_2) | instid1(VALU_DEP_3)
	v_dual_ashrrev_i32 v34, v251, v34 :: v_dual_lshlrev_b32 v40, 4, v36
	v_dual_lshlrev_b32 v229, 11, v36 :: v_dual_lshlrev_b32 v230, 18, v36
	v_lshlrev_b32_e32 v36, 25, v36
	v_and_b32_e32 v40, 16, v40
	s_delay_alu instid0(VALU_DEP_3) | instskip(NEXT) | instid1(VALU_DEP_4)
	v_and_b32_e32 v229, 0x1000, v229
	v_and_b32_e32 v230, 0x100000, v230
	s_delay_alu instid0(VALU_DEP_4) | instskip(NEXT) | instid1(VALU_DEP_1)
	v_and_b32_e32 v36, 0x10000000, v36
	v_or3_b32 v32, v36, v32, v230
	s_set_vgpr_msb 1                        ;  msbs: dst=0 src0=1 src1=0 src2=0
	v_add_nc_u64_e32 v[230:231], v[24:25] /*v[280:281]*/, v[140:141]
	v_lshlrev_b32_e32 v36, 4, v34
	s_set_vgpr_msb 0                        ;  msbs: dst=0 src0=0 src1=0 src2=0
	v_or3_b32 v229, v32, v40, v229
	s_delay_alu instid0(VALU_DEP_2) | instskip(SKIP_4) | instid1(VALU_DEP_2)
	v_dual_lshlrev_b32 v40, 11, v34 :: v_dual_bitop2_b32 v36, 16, v36 bitop3:0x40
	global_load_b32 v32, v[230:231], off offset:50
	s_wait_xcnt 0x0
	v_dual_lshlrev_b32 v230, 18, v34 :: v_dual_lshlrev_b32 v34, 25, v34
	v_and_b32_e32 v40, 0x1000, v40
	v_and_b32_e32 v230, 0x100000, v230
	s_delay_alu instid0(VALU_DEP_3) | instskip(NEXT) | instid1(VALU_DEP_1)
	v_and_b32_e32 v34, 0x10000000, v34
	v_or3_b32 v34, v230, v34, v36
	s_wait_loadcnt 0x0
	v_lshrrev_b32_e32 v32, 4, v32
	s_delay_alu instid0(VALU_DEP_1) | instskip(NEXT) | instid1(VALU_DEP_1)
	v_and_b32_e32 v32, 0xf0f0f0f, v32
	v_or3_b32 v230, v34, v40, v32
	s_set_vgpr_msb 1                        ;  msbs: dst=0 src0=1 src1=0 src2=0
	s_clause 0x1
	global_load_b32 v32, v[22:23] /*v[278:279]*/, off offset:72
	global_load_b32 v34, v[24:25] /*v[280:281]*/, off offset:68
	s_wait_loadcnt 0x1
	v_and_b32_e32 v231, 0xf0f0f0f, v32
	s_wait_loadcnt 0x0
	s_set_vgpr_msb 0                        ;  msbs: dst=0 src0=0 src1=0 src2=0
	v_dual_ashrrev_i32 v36, v48, v34 :: v_dual_lshrrev_b32 v32, 4, v32
	s_delay_alu instid0(VALU_DEP_1) | instskip(NEXT) | instid1(VALU_DEP_1)
	v_lshlrev_b32_e32 v40, 4, v36
	v_and_b32_e32 v40, 16, v40
	v_dual_lshlrev_b32 v232, 11, v36 :: v_dual_lshlrev_b32 v233, 18, v36
	v_lshlrev_b32_e32 v36, 25, v36
	s_delay_alu instid0(VALU_DEP_2) | instskip(NEXT) | instid1(VALU_DEP_3)
	v_and_b32_e32 v232, 0x1000, v232
	v_and_b32_e32 v233, 0x100000, v233
	s_delay_alu instid0(VALU_DEP_3) | instskip(NEXT) | instid1(VALU_DEP_1)
	v_and_b32_e32 v36, 0x10000000, v36
	v_or3_b32 v36, v36, v231, v233
	s_delay_alu instid0(VALU_DEP_1)
	v_or3_b32 v231, v36, v40, v232
	s_set_vgpr_msb 1                        ;  msbs: dst=0 src0=1 src1=0 src2=0
	s_clause 0x1
	global_load_u16 v40, v[24:25] /*v[280:281]*/, off offset:66
	global_load_b32 v36, v[22:23] /*v[278:279]*/, off offset:80
	s_set_vgpr_msb 0                        ;  msbs: dst=0 src0=0 src1=0 src2=0
	v_ashrrev_i32_e32 v232, v247, v34
	s_delay_alu instid0(VALU_DEP_1) | instskip(NEXT) | instid1(VALU_DEP_1)
	v_lshlrev_b32_e32 v233, 4, v232
	v_and_b32_e32 v233, 16, v233
	s_set_vgpr_msb 64                       ;  msbs: dst=1 src0=0 src1=0 src2=0
	v_dual_lshlrev_b32 v6 /*v262*/, 11, v232 :: v_dual_lshlrev_b32 v7 /*v263*/, 18, v232
	s_set_vgpr_msb 0                        ;  msbs: dst=0 src0=0 src1=0 src2=0
	v_lshlrev_b32_e32 v232, 25, v232
	s_set_vgpr_msb 0x44                     ;  msbs: dst=1 src0=0 src1=1 src2=0
	s_delay_alu instid0(VALU_DEP_2) | instskip(SKIP_3) | instid1(VALU_DEP_1)
	v_and_b32_e32 v6 /*v262*/, 0x1000, v6 /*v262*/
	v_and_b32_e32 v7 /*v263*/, 0x100000, v7 /*v263*/
	s_set_vgpr_msb 1                        ;  msbs: dst=0 src0=1 src1=0 src2=0
	v_and_b32_e32 v232, 0x10000000, v232
	v_or3_b32 v232, v7 /*v263*/, v232, v233
	s_wait_loadcnt 0x0
	v_and_b32_e32 v36, 0xf0f0f0f, v36
	s_set_vgpr_msb 4                        ;  msbs: dst=0 src0=0 src1=1 src2=0
	s_delay_alu instid0(VALU_DEP_1) | instskip(SKIP_3) | instid1(VALU_DEP_2)
	v_or3_b32 v232, v232, v6 /*v262*/, v36
	s_set_vgpr_msb 0                        ;  msbs: dst=0 src0=0 src1=0 src2=0
	v_ashrrev_i32_e32 v36, v248, v34
	v_and_b32_e32 v32, 0xf0f0f0f, v32
	v_dual_ashrrev_i32 v34, v252, v34 :: v_dual_lshlrev_b32 v233, 4, v36
	s_set_vgpr_msb 64                       ;  msbs: dst=1 src0=0 src1=0 src2=0
	v_dual_lshlrev_b32 v6 /*v262*/, 11, v36 :: v_dual_lshlrev_b32 v7 /*v263*/, 18, v36
	s_set_vgpr_msb 0                        ;  msbs: dst=0 src0=0 src1=0 src2=0
	s_delay_alu instid0(VALU_DEP_2) | instskip(SKIP_1) | instid1(VALU_DEP_2)
	v_dual_lshlrev_b32 v36, 25, v36 :: v_dual_bitop2_b32 v233, 16, v233 bitop3:0x40
	s_set_vgpr_msb 0x44                     ;  msbs: dst=1 src0=0 src1=1 src2=0
	v_and_b32_e32 v6 /*v262*/, 0x1000, v6 /*v262*/
	v_and_b32_e32 v7 /*v263*/, 0x100000, v7 /*v263*/
	s_set_vgpr_msb 16                       ;  msbs: dst=0 src0=0 src1=0 src2=1
	v_and_b32_e32 v36, 0x10000000, v36
	s_delay_alu instid0(VALU_DEP_1) | instskip(SKIP_1) | instid1(VALU_DEP_2)
	v_or3_b32 v32, v36, v32, v7 /*v263*/
	v_lshlrev_b32_e32 v36, 4, v34
	v_or3_b32 v233, v32, v233, v6 /*v262*/
	s_set_vgpr_msb 0x41                     ;  msbs: dst=1 src0=1 src1=0 src2=0
	v_add_nc_u64_e32 v[6:7] /*v[262:263]*/, v[24:25] /*v[280:281]*/, v[144:145]
	s_set_vgpr_msb 1                        ;  msbs: dst=0 src0=1 src1=0 src2=0
	v_and_b32_e32 v36, 16, v36
	global_load_b32 v32, v[6:7] /*v[262:263]*/, off offset:72
	s_wait_xcnt 0x0
	s_set_vgpr_msb 64                       ;  msbs: dst=1 src0=0 src1=0 src2=0
	v_dual_lshlrev_b32 v6 /*v262*/, 11, v34 :: v_dual_lshlrev_b32 v7 /*v263*/, 18, v34
	s_set_vgpr_msb 0                        ;  msbs: dst=0 src0=0 src1=0 src2=0
	v_lshlrev_b32_e32 v34, 25, v34
	s_set_vgpr_msb 0x44                     ;  msbs: dst=1 src0=0 src1=1 src2=0
	s_delay_alu instid0(VALU_DEP_2) | instskip(SKIP_3) | instid1(VALU_DEP_1)
	v_and_b32_e32 v6 /*v262*/, 0x1000, v6 /*v262*/
	v_and_b32_e32 v7 /*v263*/, 0x100000, v7 /*v263*/
	s_set_vgpr_msb 1                        ;  msbs: dst=0 src0=1 src1=0 src2=0
	v_and_b32_e32 v34, 0x10000000, v34
	v_or3_b32 v34, v7 /*v263*/, v34, v36
	s_wait_loadcnt 0x0
	v_lshrrev_b32_e32 v32, 4, v32
	s_delay_alu instid0(VALU_DEP_1) | instskip(SKIP_1) | instid1(VALU_DEP_1)
	v_and_b32_e32 v32, 0xf0f0f0f, v32
	s_set_vgpr_msb 0x44                     ;  msbs: dst=1 src0=0 src1=1 src2=0
	v_or3_b32 v6 /*v262*/, v34, v6 /*v262*/, v32
	s_set_vgpr_msb 1                        ;  msbs: dst=0 src0=1 src1=0 src2=0
	s_clause 0x1
	global_load_b32 v32, v[22:23] /*v[278:279]*/, off offset:94
	global_load_b32 v34, v[24:25] /*v[280:281]*/, off offset:90
	s_wait_loadcnt 0x1
	s_set_vgpr_msb 64                       ;  msbs: dst=1 src0=0 src1=0 src2=0
	v_and_b32_e32 v8 /*v264*/, 0xf0f0f0f, v32
	s_wait_loadcnt 0x0
	s_set_vgpr_msb 0                        ;  msbs: dst=0 src0=0 src1=0 src2=0
	v_dual_ashrrev_i32 v36, v48, v34 :: v_dual_lshrrev_b32 v32, 4, v32
	s_set_vgpr_msb 64                       ;  msbs: dst=1 src0=0 src1=0 src2=0
	s_delay_alu instid0(VALU_DEP_1)
	v_dual_lshlrev_b32 v7 /*v263*/, 4, v36 :: v_dual_lshlrev_b32 v9 /*v265*/, 11, v36
	v_lshlrev_b32_e32 v10 /*v266*/, 18, v36
	s_set_vgpr_msb 0                        ;  msbs: dst=0 src0=0 src1=0 src2=0
	v_lshlrev_b32_e32 v36, 25, v36
	v_and_b32_e32 v32, 0xf0f0f0f, v32
	s_set_vgpr_msb 0x44                     ;  msbs: dst=1 src0=0 src1=1 src2=0
	v_and_b32_e32 v9 /*v265*/, 0x1000, v9 /*v265*/
	v_and_b32_e32 v10 /*v266*/, 0x100000, v10 /*v266*/
	s_set_vgpr_msb 0                        ;  msbs: dst=0 src0=0 src1=0 src2=0
	v_and_b32_e32 v36, 0x10000000, v36
	s_set_vgpr_msb 20                       ;  msbs: dst=0 src0=0 src1=1 src2=1
	s_delay_alu instid0(VALU_DEP_1) | instskip(SKIP_3) | instid1(VALU_DEP_1)
	v_or3_b32 v36, v36, v8 /*v264*/, v10 /*v266*/
	s_set_vgpr_msb 64                       ;  msbs: dst=1 src0=0 src1=0 src2=0
	v_ashrrev_i32_e32 v8 /*v264*/, v247, v34
	s_set_vgpr_msb 0x54                     ;  msbs: dst=1 src0=0 src1=1 src2=1
	v_dual_lshlrev_b32 v10 /*v266*/, 11, v8 /*v264*/ :: v_dual_bitop2_b32 v7 /*v263*/, 16, v7 /*v263*/ bitop3:0x40
	s_delay_alu instid0(VALU_DEP_1)
	v_or3_b32 v7 /*v263*/, v36, v7 /*v263*/, v9 /*v265*/
	s_set_vgpr_msb 0x41                     ;  msbs: dst=1 src0=1 src1=0 src2=0
	s_clause 0x2
	global_load_u16 v20 /*v276*/, v[24:25] /*v[280:281]*/, off offset:88
	s_set_vgpr_msb 1                        ;  msbs: dst=0 src0=1 src1=0 src2=0
	global_load_b32 v36, v[22:23] /*v[278:279]*/, off offset:102
	s_set_vgpr_msb 0x55                     ;  msbs: dst=1 src0=1 src1=1 src2=1
	v_dual_lshlrev_b32 v9 /*v265*/, 4, v8 /*v264*/ :: v_dual_lshlrev_b32 v11 /*v267*/, 18, v8 /*v264*/
	v_lshlrev_b32_e32 v8 /*v264*/, 25, v8 /*v264*/
	v_and_b32_e32 v10 /*v266*/, 0x1000, v10 /*v266*/
	s_delay_alu instid0(VALU_DEP_3) | instskip(NEXT) | instid1(VALU_DEP_4)
	v_and_b32_e32 v9 /*v265*/, 16, v9 /*v265*/
	v_and_b32_e32 v11 /*v267*/, 0x100000, v11 /*v267*/
	s_delay_alu instid0(VALU_DEP_4) | instskip(NEXT) | instid1(VALU_DEP_1)
	v_and_b32_e32 v8 /*v264*/, 0x10000000, v8 /*v264*/
	v_or3_b32 v8 /*v264*/, v11 /*v267*/, v8 /*v264*/, v9 /*v265*/
	s_wait_loadcnt 0x0
	s_set_vgpr_msb 0                        ;  msbs: dst=0 src0=0 src1=0 src2=0
	v_and_b32_e32 v36, 0xf0f0f0f, v36
	s_set_vgpr_msb 0x45                     ;  msbs: dst=1 src0=1 src1=1 src2=0
	s_delay_alu instid0(VALU_DEP_1) | instskip(SKIP_3) | instid1(VALU_DEP_1)
	v_or3_b32 v8 /*v264*/, v8 /*v264*/, v10 /*v266*/, v36
	s_set_vgpr_msb 0                        ;  msbs: dst=0 src0=0 src1=0 src2=0
	v_dual_ashrrev_i32 v36, v248, v34 :: v_dual_ashrrev_i32 v34, v253, v34
	s_set_vgpr_msb 64                       ;  msbs: dst=1 src0=0 src1=0 src2=0
	v_dual_lshlrev_b32 v9 /*v265*/, 4, v36 :: v_dual_lshlrev_b32 v10 /*v266*/, 11, v36
	v_lshlrev_b32_e32 v11 /*v267*/, 18, v36
	s_set_vgpr_msb 0                        ;  msbs: dst=0 src0=0 src1=0 src2=0
	v_lshlrev_b32_e32 v36, 25, v36
	s_set_vgpr_msb 0x44                     ;  msbs: dst=1 src0=0 src1=1 src2=0
	v_and_b32_e32 v9 /*v265*/, 16, v9 /*v265*/
	v_and_b32_e32 v10 /*v266*/, 0x1000, v10 /*v266*/
	;; [unrolled: 1-line block ×3, first 2 shown]
	s_set_vgpr_msb 16                       ;  msbs: dst=0 src0=0 src1=0 src2=1
	v_and_b32_e32 v36, 0x10000000, v36
	s_delay_alu instid0(VALU_DEP_1) | instskip(SKIP_2) | instid1(VALU_DEP_2)
	v_or3_b32 v32, v36, v32, v11 /*v267*/
	v_lshlrev_b32_e32 v36, 4, v34
	s_set_vgpr_msb 0x54                     ;  msbs: dst=1 src0=0 src1=1 src2=1
	v_or3_b32 v9 /*v265*/, v32, v9 /*v265*/, v10 /*v266*/
	s_set_vgpr_msb 0x41                     ;  msbs: dst=1 src0=1 src1=0 src2=0
	v_add_nc_u64_e32 v[10:11] /*v[266:267]*/, v[24:25] /*v[280:281]*/, v[146:147]
	s_set_vgpr_msb 1                        ;  msbs: dst=0 src0=1 src1=0 src2=0
	v_and_b32_e32 v36, 16, v36
	global_load_b32 v32, v[10:11] /*v[266:267]*/, off offset:94
	s_wait_xcnt 0x0
	s_set_vgpr_msb 64                       ;  msbs: dst=1 src0=0 src1=0 src2=0
	v_dual_lshlrev_b32 v10 /*v266*/, 11, v34 :: v_dual_lshlrev_b32 v11 /*v267*/, 18, v34
	s_set_vgpr_msb 0                        ;  msbs: dst=0 src0=0 src1=0 src2=0
	v_lshlrev_b32_e32 v34, 25, v34
	s_set_vgpr_msb 0x44                     ;  msbs: dst=1 src0=0 src1=1 src2=0
	s_delay_alu instid0(VALU_DEP_2) | instskip(SKIP_3) | instid1(VALU_DEP_1)
	v_and_b32_e32 v10 /*v266*/, 0x1000, v10 /*v266*/
	v_and_b32_e32 v11 /*v267*/, 0x100000, v11 /*v267*/
	s_set_vgpr_msb 1                        ;  msbs: dst=0 src0=1 src1=0 src2=0
	v_and_b32_e32 v34, 0x10000000, v34
	v_or3_b32 v34, v11 /*v267*/, v34, v36
	s_wait_loadcnt 0x0
	v_lshrrev_b32_e32 v32, 4, v32
	s_delay_alu instid0(VALU_DEP_1) | instskip(SKIP_1) | instid1(VALU_DEP_1)
	v_and_b32_e32 v32, 0xf0f0f0f, v32
	s_set_vgpr_msb 0x44                     ;  msbs: dst=1 src0=0 src1=1 src2=0
	v_or3_b32 v10 /*v266*/, v34, v10 /*v266*/, v32
	s_set_vgpr_msb 1                        ;  msbs: dst=0 src0=1 src1=0 src2=0
	s_clause 0x3
	global_load_b32 v34, v[22:23] /*v[278:279]*/, off offset:116
	global_load_b32 v36, v[24:25] /*v[280:281]*/, off offset:112
	s_set_vgpr_msb 0x41                     ;  msbs: dst=1 src0=1 src1=0 src2=0
	global_load_u16 v26 /*v282*/, v[24:25] /*v[280:281]*/, off offset:110
	s_wait_loadcnt 0x2
	v_and_b32_e32 v12 /*v268*/, 0xf0f0f0f, v34
	s_wait_loadcnt 0x1
	s_set_vgpr_msb 0                        ;  msbs: dst=0 src0=0 src1=0 src2=0
	v_dual_ashrrev_i32 v32, v48, v36 :: v_dual_lshrrev_b32 v34, 4, v34
	s_set_vgpr_msb 64                       ;  msbs: dst=1 src0=0 src1=0 src2=0
	s_delay_alu instid0(VALU_DEP_1)
	v_dual_lshlrev_b32 v11 /*v267*/, 4, v32 :: v_dual_lshlrev_b32 v14 /*v270*/, 18, v32
	v_lshlrev_b32_e32 v13 /*v269*/, 11, v32
	s_set_vgpr_msb 0                        ;  msbs: dst=0 src0=0 src1=0 src2=0
	v_lshlrev_b32_e32 v32, 25, v32
	v_and_b32_e32 v34, 0xf0f0f0f, v34
	s_set_vgpr_msb 0x44                     ;  msbs: dst=1 src0=0 src1=1 src2=0
	v_and_b32_e32 v11 /*v267*/, 16, v11 /*v267*/
	v_and_b32_e32 v14 /*v270*/, 0x100000, v14 /*v270*/
	;; [unrolled: 1-line block ×3, first 2 shown]
	s_set_vgpr_msb 0                        ;  msbs: dst=0 src0=0 src1=0 src2=0
	v_and_b32_e32 v32, 0x10000000, v32
	s_set_vgpr_msb 20                       ;  msbs: dst=0 src0=0 src1=1 src2=1
	s_delay_alu instid0(VALU_DEP_1)
	v_or3_b32 v32, v32, v12 /*v268*/, v14 /*v270*/
	s_set_vgpr_msb 0x41                     ;  msbs: dst=1 src0=1 src1=0 src2=0
	global_load_b32 v12 /*v268*/, v[22:23] /*v[278:279]*/, off offset:124
	s_set_vgpr_msb 0x54                     ;  msbs: dst=1 src0=0 src1=1 src2=1
	v_or3_b32 v11 /*v267*/, v32, v11 /*v267*/, v13 /*v269*/
	s_set_vgpr_msb 64                       ;  msbs: dst=1 src0=0 src1=0 src2=0
	v_ashrrev_i32_e32 v13 /*v269*/, v247, v36
	s_set_vgpr_msb 0x55                     ;  msbs: dst=1 src0=1 src1=1 src2=1
	s_delay_alu instid0(VALU_DEP_1) | instskip(SKIP_1) | instid1(VALU_DEP_2)
	v_dual_lshlrev_b32 v14 /*v270*/, 4, v13 /*v269*/ :: v_dual_lshlrev_b32 v15 /*v271*/, 11, v13 /*v269*/
	v_dual_lshlrev_b32 v16 /*v272*/, 18, v13 /*v269*/ :: v_dual_lshlrev_b32 v13 /*v269*/, 25, v13 /*v269*/
	v_and_b32_e32 v14 /*v270*/, 16, v14 /*v270*/
	s_delay_alu instid0(VALU_DEP_3) | instskip(NEXT) | instid1(VALU_DEP_3)
	v_and_b32_e32 v15 /*v271*/, 0x1000, v15 /*v271*/
	v_and_b32_e32 v16 /*v272*/, 0x100000, v16 /*v272*/
	s_delay_alu instid0(VALU_DEP_4) | instskip(NEXT) | instid1(VALU_DEP_1)
	v_and_b32_e32 v13 /*v269*/, 0x10000000, v13 /*v269*/
	v_or3_b32 v13 /*v269*/, v16 /*v272*/, v13 /*v269*/, v14 /*v270*/
	s_wait_loadcnt 0x0
	v_and_b32_e32 v12 /*v268*/, 0xf0f0f0f, v12 /*v268*/
	s_delay_alu instid0(VALU_DEP_1)
	v_or3_b32 v12 /*v268*/, v13 /*v269*/, v15 /*v271*/, v12 /*v268*/
	s_set_vgpr_msb 64                       ;  msbs: dst=1 src0=0 src1=0 src2=0
	v_ashrrev_i32_e32 v13 /*v269*/, v248, v36
	s_set_vgpr_msb 0                        ;  msbs: dst=0 src0=0 src1=0 src2=0
	v_ashrrev_i32_e32 v36, v255, v36
	s_set_vgpr_msb 0x44                     ;  msbs: dst=1 src0=0 src1=1 src2=0
	s_delay_alu instid0(VALU_DEP_2) | instskip(SKIP_1) | instid1(VALU_DEP_2)
	v_dual_lshlrev_b32 v14 /*v270*/, 4, v13 /*v269*/ :: v_dual_lshlrev_b32 v15 /*v271*/, 11, v13 /*v269*/
	v_dual_lshlrev_b32 v16 /*v272*/, 18, v13 /*v269*/ :: v_dual_lshlrev_b32 v13 /*v269*/, 25, v13 /*v269*/
	v_and_b32_e32 v14 /*v270*/, 16, v14 /*v270*/
	s_delay_alu instid0(VALU_DEP_3) | instskip(NEXT) | instid1(VALU_DEP_3)
	v_and_b32_e32 v15 /*v271*/, 0x1000, v15 /*v271*/
	v_and_b32_e32 v16 /*v272*/, 0x100000, v16 /*v272*/
	s_delay_alu instid0(VALU_DEP_4) | instskip(SKIP_1) | instid1(VALU_DEP_1)
	v_and_b32_e32 v13 /*v269*/, 0x10000000, v13 /*v269*/
	s_set_vgpr_msb 17                       ;  msbs: dst=0 src0=1 src1=0 src2=1
	v_or3_b32 v34, v13 /*v269*/, v34, v16 /*v272*/
	s_set_vgpr_msb 64                       ;  msbs: dst=1 src0=0 src1=0 src2=0
	v_lshlrev_b32_e32 v16 /*v272*/, 18, v36
	s_set_vgpr_msb 0x54                     ;  msbs: dst=1 src0=0 src1=1 src2=1
	s_delay_alu instid0(VALU_DEP_2)
	v_or3_b32 v13 /*v269*/, v34, v14 /*v270*/, v15 /*v271*/
	s_set_vgpr_msb 0x41                     ;  msbs: dst=1 src0=1 src1=0 src2=0
	v_add_nc_u64_e32 v[14:15] /*v[270:271]*/, v[24:25] /*v[280:281]*/, v[150:151]
	s_set_vgpr_msb 0x44                     ;  msbs: dst=1 src0=0 src1=1 src2=0
	v_and_b32_e32 v16 /*v272*/, 0x100000, v16 /*v272*/
	s_set_vgpr_msb 1                        ;  msbs: dst=0 src0=1 src1=0 src2=0
	global_load_b32 v34, v[14:15] /*v[270:271]*/, off offset:116
	s_wait_xcnt 0x0
	s_set_vgpr_msb 64                       ;  msbs: dst=1 src0=0 src1=0 src2=0
	v_dual_lshlrev_b32 v14 /*v270*/, 4, v36 :: v_dual_lshlrev_b32 v15 /*v271*/, 11, v36
	s_set_vgpr_msb 1                        ;  msbs: dst=0 src0=1 src1=0 src2=0
	v_lshlrev_b32_e32 v36, 25, v36
	v_cvt_f32_f16_e64 v32, v26 /*v282*/
	s_set_vgpr_msb 0x44                     ;  msbs: dst=1 src0=0 src1=1 src2=0
	v_and_b32_e32 v14 /*v270*/, 16, v14 /*v270*/
	v_and_b32_e32 v15 /*v271*/, 0x1000, v15 /*v271*/
	s_set_vgpr_msb 17                       ;  msbs: dst=0 src0=1 src1=0 src2=1
	v_and_b32_e32 v36, 0x10000000, v36
	s_delay_alu instid0(VALU_DEP_1) | instskip(SKIP_2) | instid1(VALU_DEP_1)
	v_or3_b32 v36, v16 /*v272*/, v36, v14 /*v270*/
	s_wait_loadcnt 0x0
	v_lshrrev_b32_e32 v34, 4, v34
	v_and_b32_e32 v34, 0xf0f0f0f, v34
	s_set_vgpr_msb 0x44                     ;  msbs: dst=1 src0=0 src1=1 src2=0
	s_delay_alu instid0(VALU_DEP_1)
	v_or3_b32 v15 /*v271*/, v36, v15 /*v271*/, v34
	s_set_vgpr_msb 1                        ;  msbs: dst=0 src0=1 src1=0 src2=0
	s_clause 0x2
	global_load_b32 v36, v[22:23] /*v[278:279]*/, off offset:138
	s_set_vgpr_msb 0x41                     ;  msbs: dst=1 src0=1 src1=0 src2=0
	global_load_b32 v21 /*v277*/, v[24:25] /*v[280:281]*/, off offset:134
	s_wait_loadcnt 0x1
	v_and_b32_e32 v16 /*v272*/, 0xf0f0f0f, v36
	s_wait_loadcnt 0x0
	s_set_vgpr_msb 4                        ;  msbs: dst=0 src0=0 src1=1 src2=0
	v_ashrrev_i32_e32 v34, v48, v21 /*v277*/
	s_set_vgpr_msb 0                        ;  msbs: dst=0 src0=0 src1=0 src2=0
	v_lshrrev_b32_e32 v36, 4, v36
	s_set_vgpr_msb 64                       ;  msbs: dst=1 src0=0 src1=0 src2=0
	s_delay_alu instid0(VALU_DEP_2)
	v_dual_lshlrev_b32 v14 /*v270*/, 4, v34 :: v_dual_lshlrev_b32 v17 /*v273*/, 11, v34
	v_lshlrev_b32_e32 v18 /*v274*/, 18, v34
	s_set_vgpr_msb 0                        ;  msbs: dst=0 src0=0 src1=0 src2=0
	v_lshlrev_b32_e32 v34, 25, v34
	v_and_b32_e32 v36, 0xf0f0f0f, v36
	s_set_vgpr_msb 0x44                     ;  msbs: dst=1 src0=0 src1=1 src2=0
	v_and_b32_e32 v14 /*v270*/, 16, v14 /*v270*/
	v_and_b32_e32 v17 /*v273*/, 0x1000, v17 /*v273*/
	;; [unrolled: 1-line block ×3, first 2 shown]
	s_set_vgpr_msb 0                        ;  msbs: dst=0 src0=0 src1=0 src2=0
	v_and_b32_e32 v34, 0x10000000, v34
	s_set_vgpr_msb 20                       ;  msbs: dst=0 src0=0 src1=1 src2=1
	s_delay_alu instid0(VALU_DEP_1)
	v_or3_b32 v34, v34, v16 /*v272*/, v18 /*v274*/
	s_set_vgpr_msb 0x41                     ;  msbs: dst=1 src0=1 src1=0 src2=0
	global_load_b32 v16 /*v272*/, v[22:23] /*v[278:279]*/, off offset:146
	s_set_vgpr_msb 0x54                     ;  msbs: dst=1 src0=0 src1=1 src2=1
	v_or3_b32 v14 /*v270*/, v34, v14 /*v270*/, v17 /*v273*/
	v_ashrrev_i32_e32 v17 /*v273*/, v247, v21 /*v277*/
	s_set_vgpr_msb 1                        ;  msbs: dst=0 src0=1 src1=0 src2=0
	global_load_u16 v34, v[24:25] /*v[280:281]*/, off offset:132
	s_set_vgpr_msb 0x55                     ;  msbs: dst=1 src0=1 src1=1 src2=1
	v_dual_lshlrev_b32 v18 /*v274*/, 4, v17 /*v273*/ :: v_dual_lshlrev_b32 v19 /*v275*/, 11, v17 /*v273*/
	v_dual_lshlrev_b32 v27 /*v283*/, 18, v17 /*v273*/ :: v_dual_lshlrev_b32 v17 /*v273*/, 25, v17 /*v273*/
	s_delay_alu instid0(VALU_DEP_2) | instskip(NEXT) | instid1(VALU_DEP_3)
	v_and_b32_e32 v18 /*v274*/, 16, v18 /*v274*/
	v_and_b32_e32 v19 /*v275*/, 0x1000, v19 /*v275*/
	s_delay_alu instid0(VALU_DEP_3) | instskip(NEXT) | instid1(VALU_DEP_4)
	v_and_b32_e32 v27 /*v283*/, 0x100000, v27 /*v283*/
	v_and_b32_e32 v17 /*v273*/, 0x10000000, v17 /*v273*/
	s_delay_alu instid0(VALU_DEP_1) | instskip(SKIP_2) | instid1(VALU_DEP_1)
	v_or3_b32 v17 /*v273*/, v27 /*v283*/, v17 /*v273*/, v18 /*v274*/
	s_wait_loadcnt 0x1
	v_and_b32_e32 v16 /*v272*/, 0xf0f0f0f, v16 /*v272*/
	v_or3_b32 v17 /*v273*/, v17 /*v273*/, v19 /*v275*/, v16 /*v272*/
	s_set_vgpr_msb 0x44                     ;  msbs: dst=1 src0=0 src1=1 src2=0
	v_ashrrev_i32_e32 v16 /*v272*/, v248, v21 /*v277*/
	s_delay_alu instid0(VALU_DEP_1) | instskip(SKIP_1) | instid1(VALU_DEP_2)
	v_dual_lshlrev_b32 v18 /*v274*/, 4, v16 /*v272*/ :: v_dual_lshlrev_b32 v19 /*v275*/, 11, v16 /*v272*/
	v_dual_lshlrev_b32 v27 /*v283*/, 18, v16 /*v272*/ :: v_dual_lshlrev_b32 v16 /*v272*/, 25, v16 /*v272*/
	v_and_b32_e32 v18 /*v274*/, 16, v18 /*v274*/
	s_delay_alu instid0(VALU_DEP_3) | instskip(NEXT) | instid1(VALU_DEP_3)
	v_and_b32_e32 v19 /*v275*/, 0x1000, v19 /*v275*/
	v_and_b32_e32 v27 /*v283*/, 0x100000, v27 /*v283*/
	s_delay_alu instid0(VALU_DEP_4) | instskip(SKIP_1) | instid1(VALU_DEP_1)
	v_and_b32_e32 v16 /*v272*/, 0x10000000, v16 /*v272*/
	s_set_vgpr_msb 17                       ;  msbs: dst=0 src0=1 src1=0 src2=1
	v_or3_b32 v36, v16 /*v272*/, v36, v27 /*v283*/
	s_set_vgpr_msb 0x54                     ;  msbs: dst=1 src0=0 src1=1 src2=1
	s_delay_alu instid0(VALU_DEP_1)
	v_or3_b32 v16 /*v272*/, v36, v18 /*v274*/, v19 /*v275*/
	s_set_vgpr_msb 0x41                     ;  msbs: dst=1 src0=1 src1=0 src2=0
	v_add_nc_u64_e32 v[18:19] /*v[274:275]*/, v[24:25] /*v[280:281]*/, v[154:155]
	s_set_vgpr_msb 1                        ;  msbs: dst=0 src0=1 src1=0 src2=0
	global_load_b32 v36, v[18:19] /*v[274:275]*/, off offset:138
	s_wait_xcnt 0x0
	s_set_vgpr_msb 0x45                     ;  msbs: dst=1 src0=1 src1=1 src2=0
	v_ashrrev_i32_e32 v18 /*v274*/, v0 /*v256*/, v21 /*v277*/
	s_wait_loadcnt 0x1
	s_set_vgpr_msb 0                        ;  msbs: dst=0 src0=0 src1=0 src2=0
	v_cvt_f32_f16_e32 v34, v34
	s_set_vgpr_msb 0x55                     ;  msbs: dst=1 src0=1 src1=1 src2=1
	v_dual_lshlrev_b32 v19 /*v275*/, 4, v18 /*v274*/ :: v_dual_lshlrev_b32 v21 /*v277*/, 11, v18 /*v274*/
	v_dual_lshlrev_b32 v27 /*v283*/, 18, v18 /*v274*/ :: v_dual_lshlrev_b32 v18 /*v274*/, 25, v18 /*v274*/
	s_delay_alu instid0(VALU_DEP_2) | instskip(NEXT) | instid1(VALU_DEP_3)
	v_and_b32_e32 v19 /*v275*/, 16, v19 /*v275*/
	v_and_b32_e32 v21 /*v277*/, 0x1000, v21 /*v277*/
	s_delay_alu instid0(VALU_DEP_3) | instskip(NEXT) | instid1(VALU_DEP_4)
	v_and_b32_e32 v27 /*v283*/, 0x100000, v27 /*v283*/
	v_and_b32_e32 v18 /*v274*/, 0x10000000, v18 /*v274*/
	s_delay_alu instid0(VALU_DEP_1) | instskip(SKIP_3) | instid1(VALU_DEP_1)
	v_or3_b32 v18 /*v274*/, v27 /*v283*/, v18 /*v274*/, v19 /*v275*/
	s_wait_loadcnt 0x0
	s_set_vgpr_msb 0                        ;  msbs: dst=0 src0=0 src1=0 src2=0
	v_lshrrev_b32_e32 v36, 4, v36
	v_and_b32_e32 v36, 0xf0f0f0f, v36
	s_set_vgpr_msb 0x45                     ;  msbs: dst=1 src0=1 src1=1 src2=0
	s_delay_alu instid0(VALU_DEP_1)
	v_or3_b32 v19 /*v275*/, v18 /*v274*/, v21 /*v277*/, v36
	s_clause 0x2
	global_load_b32 v21 /*v277*/, v[22:23] /*v[278:279]*/, off offset:160
	global_load_b32 v27 /*v283*/, v[24:25] /*v[280:281]*/, off offset:156
	;; [unrolled: 1-line block ×3, first 2 shown]
	s_wait_loadcnt 0x2
	v_and_b32_e32 v28 /*v284*/, 0xf0f0f0f, v21 /*v277*/
	s_wait_loadcnt 0x1
	s_set_vgpr_msb 4                        ;  msbs: dst=0 src0=0 src1=1 src2=0
	v_ashrrev_i32_e32 v36, v48, v27 /*v283*/
	s_wait_xcnt 0x0
	s_set_vgpr_msb 0x44                     ;  msbs: dst=1 src0=0 src1=1 src2=0
	v_dual_ashrrev_i32 v23 /*v279*/, v247, v27 /*v283*/ :: v_dual_lshrrev_b32 v21 /*v277*/, 4, v21 /*v277*/
	s_wait_loadcnt 0x0
	v_and_b32_e32 v22 /*v278*/, 0xf0f0f0f, v22 /*v278*/
	s_set_vgpr_msb 64                       ;  msbs: dst=1 src0=0 src1=0 src2=0
	v_dual_lshlrev_b32 v18 /*v274*/, 4, v36 :: v_dual_lshlrev_b32 v29 /*v285*/, 11, v36
	v_lshlrev_b32_e32 v30 /*v286*/, 18, v36
	s_set_vgpr_msb 0                        ;  msbs: dst=0 src0=0 src1=0 src2=0
	v_lshlrev_b32_e32 v36, 25, v36
	s_set_vgpr_msb 0x44                     ;  msbs: dst=1 src0=0 src1=1 src2=0
	v_and_b32_e32 v21 /*v277*/, 0xf0f0f0f, v21 /*v277*/
	v_and_b32_e32 v18 /*v274*/, 16, v18 /*v274*/
	;; [unrolled: 1-line block ×4, first 2 shown]
	s_set_vgpr_msb 0                        ;  msbs: dst=0 src0=0 src1=0 src2=0
	v_and_b32_e32 v36, 0x10000000, v36
	s_set_vgpr_msb 20                       ;  msbs: dst=0 src0=0 src1=1 src2=1
	s_delay_alu instid0(VALU_DEP_1) | instskip(SKIP_2) | instid1(VALU_DEP_2)
	v_or3_b32 v36, v36, v28 /*v284*/, v30 /*v286*/
	s_set_vgpr_msb 0x54                     ;  msbs: dst=1 src0=0 src1=1 src2=1
	v_dual_lshlrev_b32 v28 /*v284*/, 4, v23 /*v279*/ :: v_dual_lshlrev_b32 v30 /*v286*/, 18, v23 /*v279*/
	v_or3_b32 v18 /*v274*/, v36, v18 /*v274*/, v29 /*v285*/
	s_set_vgpr_msb 1                        ;  msbs: dst=0 src0=1 src1=0 src2=0
	global_load_u16 v36, v[24:25] /*v[280:281]*/, off offset:154
	s_set_vgpr_msb 0x44                     ;  msbs: dst=1 src0=0 src1=1 src2=0
	v_dual_lshlrev_b32 v29 /*v285*/, 11, v23 /*v279*/ :: v_dual_bitop2_b32 v28 /*v284*/, 16, v28 /*v284*/ bitop3:0x40
	v_lshlrev_b32_e32 v23 /*v279*/, 25, v23 /*v279*/
	v_and_b32_e32 v30 /*v286*/, 0x100000, v30 /*v286*/
	s_wait_xcnt 0x0
	s_set_vgpr_msb 0x41                     ;  msbs: dst=1 src0=1 src1=0 src2=0
	v_add_nc_u64_e32 v[24:25] /*v[280:281]*/, v[24:25] /*v[280:281]*/, v[158:159]
	s_set_vgpr_msb 0x55                     ;  msbs: dst=1 src0=1 src1=1 src2=1
	v_and_b32_e32 v29 /*v285*/, 0x1000, v29 /*v285*/
	v_and_b32_e32 v23 /*v279*/, 0x10000000, v23 /*v279*/
	s_delay_alu instid0(VALU_DEP_1) | instskip(NEXT) | instid1(VALU_DEP_1)
	v_or3_b32 v23 /*v279*/, v30 /*v286*/, v23 /*v279*/, v28 /*v284*/
	v_or3_b32 v22 /*v278*/, v23 /*v279*/, v29 /*v285*/, v22 /*v278*/
	s_set_vgpr_msb 0x44                     ;  msbs: dst=1 src0=0 src1=1 src2=0
	v_ashrrev_i32_e32 v23 /*v279*/, v248, v27 /*v283*/
	s_delay_alu instid0(VALU_DEP_1) | instskip(NEXT) | instid1(VALU_DEP_1)
	v_lshlrev_b32_e32 v28 /*v284*/, 4, v23 /*v279*/
	v_dual_lshlrev_b32 v29 /*v285*/, 11, v23 /*v279*/ :: v_dual_bitop2_b32 v28 /*v284*/, 16, v28 /*v284*/ bitop3:0x40
	v_dual_lshlrev_b32 v30 /*v286*/, 18, v23 /*v279*/ :: v_dual_lshlrev_b32 v23 /*v279*/, 25, v23 /*v279*/
	s_delay_alu instid0(VALU_DEP_2) | instskip(NEXT) | instid1(VALU_DEP_2)
	v_and_b32_e32 v29 /*v285*/, 0x1000, v29 /*v285*/
	v_and_b32_e32 v30 /*v286*/, 0x100000, v30 /*v286*/
	s_delay_alu instid0(VALU_DEP_3) | instskip(SKIP_1) | instid1(VALU_DEP_1)
	v_and_b32_e32 v23 /*v279*/, 0x10000000, v23 /*v279*/
	s_set_vgpr_msb 0x55                     ;  msbs: dst=1 src0=1 src1=1 src2=1
	v_or3_b32 v21 /*v277*/, v23 /*v279*/, v21 /*v277*/, v30 /*v286*/
	global_load_b32 v23 /*v279*/, v[24:25] /*v[280:281]*/, off offset:160
	s_wait_xcnt 0x0
	v_ashrrev_i32_e32 v24 /*v280*/, v1 /*v257*/, v27 /*v283*/
	v_or3_b32 v21 /*v277*/, v21 /*v277*/, v28 /*v284*/, v29 /*v285*/
                                        ; implicit-def: $vgpr285
	s_delay_alu instid0(VALU_DEP_2) | instskip(NEXT) | instid1(VALU_DEP_1)
	v_lshlrev_b32_e32 v25 /*v281*/, 4, v24 /*v280*/
	v_dual_lshlrev_b32 v27 /*v283*/, 11, v24 /*v280*/ :: v_dual_bitop2_b32 v25 /*v281*/, 16, v25 /*v281*/ bitop3:0x40
	v_dual_lshlrev_b32 v28 /*v284*/, 18, v24 /*v280*/ :: v_dual_lshlrev_b32 v24 /*v280*/, 25, v24 /*v280*/
	s_delay_alu instid0(VALU_DEP_2) | instskip(NEXT) | instid1(VALU_DEP_2)
	v_and_b32_e32 v27 /*v283*/, 0x1000, v27 /*v283*/
	v_and_b32_e32 v28 /*v284*/, 0x100000, v28 /*v284*/
	s_delay_alu instid0(VALU_DEP_3) | instskip(NEXT) | instid1(VALU_DEP_1)
	v_and_b32_e32 v24 /*v280*/, 0x10000000, v24 /*v280*/
	v_or3_b32 v24 /*v280*/, v28 /*v284*/, v24 /*v280*/, v25 /*v281*/
	s_set_vgpr_msb 64                       ;  msbs: dst=1 src0=0 src1=0 src2=0
	v_dot4_i32_iu8 v25 /*v281*/, v42, v53, 0 neg_lo:[1,1,0]
	s_set_vgpr_msb 0x41                     ;  msbs: dst=1 src0=1 src1=0 src2=0
	s_delay_alu instid0(VALU_DEP_1) | instskip(SKIP_1) | instid1(VALU_DEP_1)
	v_cvt_f32_i32_e32 v25 /*v281*/, v25 /*v281*/
	s_set_vgpr_msb 0x44                     ;  msbs: dst=1 src0=0 src1=1 src2=0
	v_fma_f32 v25 /*v281*/, v0, v25 /*v281*/, -v1
	s_wait_loadcnt 0x1
	s_set_vgpr_msb 0                        ;  msbs: dst=0 src0=0 src1=0 src2=0
	v_cvt_f32_f16_e32 v36, v36
	s_wait_loadcnt 0x0
	s_set_vgpr_msb 0x55                     ;  msbs: dst=1 src0=1 src1=1 src2=1
	v_lshrrev_b32_e32 v23 /*v279*/, 4, v23 /*v279*/
	s_delay_alu instid0(VALU_DEP_1) | instskip(NEXT) | instid1(VALU_DEP_1)
	v_and_b32_e32 v23 /*v279*/, 0xf0f0f0f, v23 /*v279*/
	v_or3_b32 v23 /*v279*/, v24 /*v280*/, v27 /*v283*/, v23 /*v279*/
	s_set_vgpr_msb 64                       ;  msbs: dst=1 src0=0 src1=0 src2=0
	v_dot4_i32_iu8 v24 /*v280*/, v41, v52, 0 neg_lo:[1,1,0]
	s_set_vgpr_msb 0x41                     ;  msbs: dst=1 src0=1 src1=0 src2=0
	s_delay_alu instid0(VALU_DEP_1) | instskip(SKIP_1) | instid1(VALU_DEP_1)
	v_cvt_f32_i32_e32 v24 /*v280*/, v24 /*v280*/
	s_set_vgpr_msb 0x44                     ;  msbs: dst=1 src0=0 src1=1 src2=0
	v_fma_f32 v24 /*v280*/, v0, v24 /*v280*/, -v1
	s_set_vgpr_msb 0x51                     ;  msbs: dst=1 src0=1 src1=0 src2=1
	s_delay_alu instid0(VALU_DEP_1) | instskip(NEXT) | instid1(VALU_DEP_1)
	v_fma_mix_f32 v24 /*v280*/, v24 /*v280*/, v33, 0 op_sel_hi:[0,1,0]
	v_fma_mix_f32 v24 /*v280*/, v25 /*v281*/, v33, v24 /*v280*/ op_sel_hi:[0,1,0]
	s_set_vgpr_msb 64                       ;  msbs: dst=1 src0=0 src1=0 src2=0
	v_dot4_i32_iu8 v25 /*v281*/, v43, v54, 0 neg_lo:[1,1,0]
	s_set_vgpr_msb 0x41                     ;  msbs: dst=1 src0=1 src1=0 src2=0
	s_delay_alu instid0(VALU_DEP_1) | instskip(SKIP_1) | instid1(VALU_DEP_1)
	v_cvt_f32_i32_e32 v25 /*v281*/, v25 /*v281*/
	s_set_vgpr_msb 0x44                     ;  msbs: dst=1 src0=0 src1=1 src2=0
	v_fma_f32 v25 /*v281*/, v0, v25 /*v281*/, -v1
	s_set_vgpr_msb 0x51                     ;  msbs: dst=1 src0=1 src1=0 src2=1
	s_delay_alu instid0(VALU_DEP_1) | instskip(SKIP_3) | instid1(VALU_DEP_1)
	v_fma_mix_f32 v24 /*v280*/, v25 /*v281*/, v33, v24 /*v280*/ op_sel_hi:[0,1,0]
	s_set_vgpr_msb 64                       ;  msbs: dst=1 src0=0 src1=0 src2=0
	v_dot4_i32_iu8 v25 /*v281*/, v44, v55, 0 neg_lo:[1,1,0]
	s_set_vgpr_msb 0x41                     ;  msbs: dst=1 src0=1 src1=0 src2=0
	v_cvt_f32_i32_e32 v25 /*v281*/, v25 /*v281*/
	s_set_vgpr_msb 0x44                     ;  msbs: dst=1 src0=0 src1=1 src2=0
	s_delay_alu instid0(VALU_DEP_1) | instskip(SKIP_1) | instid1(VALU_DEP_1)
	v_fma_f32 v25 /*v281*/, v0, v25 /*v281*/, -v1
	s_set_vgpr_msb 0x51                     ;  msbs: dst=1 src0=1 src1=0 src2=1
	v_fma_mix_f32 v24 /*v280*/, v25 /*v281*/, v33, v24 /*v280*/ op_sel_hi:[0,1,0]
	s_set_vgpr_msb 64                       ;  msbs: dst=1 src0=0 src1=0 src2=0
	v_dot4_i32_iu8 v25 /*v281*/, v45, v56, 0 neg_lo:[1,1,0]
	s_set_vgpr_msb 0x41                     ;  msbs: dst=1 src0=1 src1=0 src2=0
	s_delay_alu instid0(VALU_DEP_1) | instskip(SKIP_1) | instid1(VALU_DEP_1)
	v_cvt_f32_i32_e32 v25 /*v281*/, v25 /*v281*/
	s_set_vgpr_msb 0x44                     ;  msbs: dst=1 src0=0 src1=1 src2=0
	v_fma_f32 v25 /*v281*/, v2, v25 /*v281*/, -v3
	s_set_vgpr_msb 0x51                     ;  msbs: dst=1 src0=1 src1=0 src2=1
	s_delay_alu instid0(VALU_DEP_1) | instskip(SKIP_3) | instid1(VALU_DEP_1)
	v_fma_mix_f32 v24 /*v280*/, v25 /*v281*/, v35, v24 /*v280*/ op_sel_hi:[0,1,0]
	s_set_vgpr_msb 64                       ;  msbs: dst=1 src0=0 src1=0 src2=0
	v_dot4_i32_iu8 v25 /*v281*/, v46, v57, 0 neg_lo:[1,1,0]
	s_set_vgpr_msb 0x41                     ;  msbs: dst=1 src0=1 src1=0 src2=0
	v_cvt_f32_i32_e32 v25 /*v281*/, v25 /*v281*/
	s_set_vgpr_msb 0x44                     ;  msbs: dst=1 src0=0 src1=1 src2=0
	s_delay_alu instid0(VALU_DEP_1) | instskip(SKIP_1) | instid1(VALU_DEP_1)
	v_fma_f32 v25 /*v281*/, v2, v25 /*v281*/, -v3
	s_set_vgpr_msb 0x51                     ;  msbs: dst=1 src0=1 src1=0 src2=1
	;; [unrolled: 19-line block ×6, first 2 shown]
	v_fma_mix_f32 v24 /*v280*/, v25 /*v281*/, v40, v24 /*v280*/ op_sel_hi:[0,1,0]
	s_set_vgpr_msb 64                       ;  msbs: dst=1 src0=0 src1=0 src2=0
	v_dot4_i32_iu8 v25 /*v281*/, v233, v66, 0 neg_lo:[1,1,0]
	s_set_vgpr_msb 0x41                     ;  msbs: dst=1 src0=1 src1=0 src2=0
	s_delay_alu instid0(VALU_DEP_1) | instskip(SKIP_1) | instid1(VALU_DEP_1)
	v_cvt_f32_i32_e32 v25 /*v281*/, v25 /*v281*/
	s_set_vgpr_msb 0x44                     ;  msbs: dst=1 src0=0 src1=1 src2=0
	v_fma_f32 v25 /*v281*/, v6, v25 /*v281*/, -v7
	s_set_vgpr_msb 0x51                     ;  msbs: dst=1 src0=1 src1=0 src2=1
	s_delay_alu instid0(VALU_DEP_1) | instskip(SKIP_1) | instid1(VALU_DEP_1)
	v_fma_mix_f32 v24 /*v280*/, v25 /*v281*/, v40, v24 /*v280*/ op_sel_hi:[0,1,0]
	v_dot4_i32_iu8 v25 /*v281*/, v6 /*v262*/, v67, 0 neg_lo:[1,1,0]
	v_cvt_f32_i32_e32 v25 /*v281*/, v25 /*v281*/
	s_set_vgpr_msb 0x44                     ;  msbs: dst=1 src0=0 src1=1 src2=0
	s_delay_alu instid0(VALU_DEP_1) | instskip(SKIP_1) | instid1(VALU_DEP_1)
	v_fma_f32 v25 /*v281*/, v6, v25 /*v281*/, -v7
	s_set_vgpr_msb 0x51                     ;  msbs: dst=1 src0=1 src1=0 src2=1
	v_fma_mix_f32 v24 /*v280*/, v25 /*v281*/, v40, v24 /*v280*/ op_sel_hi:[0,1,0]
	v_dot4_i32_iu8 v25 /*v281*/, v7 /*v263*/, v68, 0 neg_lo:[1,1,0]
	s_delay_alu instid0(VALU_DEP_1) | instskip(SKIP_1) | instid1(VALU_DEP_1)
	v_cvt_f32_i32_e32 v25 /*v281*/, v25 /*v281*/
	s_set_vgpr_msb 0x44                     ;  msbs: dst=1 src0=0 src1=1 src2=0
	v_fma_f32 v25 /*v281*/, v8, v25 /*v281*/, -v9
	s_set_vgpr_msb 0x55                     ;  msbs: dst=1 src0=1 src1=1 src2=1
	s_delay_alu instid0(VALU_DEP_1) | instskip(SKIP_2) | instid1(VALU_DEP_1)
	v_fma_mix_f32 v24 /*v280*/, v25 /*v281*/, v20 /*v276*/, v24 /*v280*/ op_sel_hi:[0,1,0]
	s_set_vgpr_msb 0x41                     ;  msbs: dst=1 src0=1 src1=0 src2=0
	v_dot4_i32_iu8 v25 /*v281*/, v8 /*v264*/, v69, 0 neg_lo:[1,1,0]
	v_cvt_f32_i32_e32 v25 /*v281*/, v25 /*v281*/
	s_set_vgpr_msb 0x44                     ;  msbs: dst=1 src0=0 src1=1 src2=0
	s_delay_alu instid0(VALU_DEP_1) | instskip(SKIP_1) | instid1(VALU_DEP_1)
	v_fma_f32 v25 /*v281*/, v8, v25 /*v281*/, -v9
	s_set_vgpr_msb 0x55                     ;  msbs: dst=1 src0=1 src1=1 src2=1
	v_fma_mix_f32 v24 /*v280*/, v25 /*v281*/, v20 /*v276*/, v24 /*v280*/ op_sel_hi:[0,1,0]
	s_set_vgpr_msb 0x41                     ;  msbs: dst=1 src0=1 src1=0 src2=0
	v_dot4_i32_iu8 v25 /*v281*/, v9 /*v265*/, v70, 0 neg_lo:[1,1,0]
	s_delay_alu instid0(VALU_DEP_1) | instskip(SKIP_1) | instid1(VALU_DEP_1)
	v_cvt_f32_i32_e32 v25 /*v281*/, v25 /*v281*/
	s_set_vgpr_msb 0x44                     ;  msbs: dst=1 src0=0 src1=1 src2=0
	v_fma_f32 v25 /*v281*/, v8, v25 /*v281*/, -v9
	s_set_vgpr_msb 0x55                     ;  msbs: dst=1 src0=1 src1=1 src2=1
	s_delay_alu instid0(VALU_DEP_1) | instskip(SKIP_2) | instid1(VALU_DEP_1)
	v_fma_mix_f32 v24 /*v280*/, v25 /*v281*/, v20 /*v276*/, v24 /*v280*/ op_sel_hi:[0,1,0]
	s_set_vgpr_msb 0x41                     ;  msbs: dst=1 src0=1 src1=0 src2=0
	v_dot4_i32_iu8 v25 /*v281*/, v10 /*v266*/, v71, 0 neg_lo:[1,1,0]
	v_cvt_f32_i32_e32 v25 /*v281*/, v25 /*v281*/
	s_set_vgpr_msb 0x44                     ;  msbs: dst=1 src0=0 src1=1 src2=0
	s_delay_alu instid0(VALU_DEP_1) | instskip(SKIP_1) | instid1(VALU_DEP_1)
	v_fma_f32 v25 /*v281*/, v8, v25 /*v281*/, -v9
	s_set_vgpr_msb 0x55                     ;  msbs: dst=1 src0=1 src1=1 src2=1
	v_fma_mix_f32 v24 /*v280*/, v25 /*v281*/, v20 /*v276*/, v24 /*v280*/ op_sel_hi:[0,1,0]
	s_set_vgpr_msb 0x41                     ;  msbs: dst=1 src0=1 src1=0 src2=0
	v_dot4_i32_iu8 v25 /*v281*/, v11 /*v267*/, v72, 0 neg_lo:[1,1,0]
	s_delay_alu instid0(VALU_DEP_1) | instskip(SKIP_1) | instid1(VALU_DEP_1)
	v_cvt_f32_i32_e32 v25 /*v281*/, v25 /*v281*/
	s_set_vgpr_msb 0x44                     ;  msbs: dst=1 src0=0 src1=1 src2=0
	v_fma_f32 v25 /*v281*/, v10, v25 /*v281*/, -v218
	s_set_vgpr_msb 0x55                     ;  msbs: dst=1 src0=1 src1=1 src2=1
	s_delay_alu instid0(VALU_DEP_1) | instskip(SKIP_2) | instid1(VALU_DEP_1)
	v_fma_mix_f32 v24 /*v280*/, v25 /*v281*/, v26 /*v282*/, v24 /*v280*/ op_sel_hi:[0,1,0]
	s_set_vgpr_msb 0x41                     ;  msbs: dst=1 src0=1 src1=0 src2=0
	v_dot4_i32_iu8 v25 /*v281*/, v12 /*v268*/, v73, 0 neg_lo:[1,1,0]
	v_cvt_f32_i32_e32 v25 /*v281*/, v25 /*v281*/
	s_set_vgpr_msb 0x44                     ;  msbs: dst=1 src0=0 src1=1 src2=0
	s_delay_alu instid0(VALU_DEP_1) | instskip(SKIP_1) | instid1(VALU_DEP_1)
	v_fma_f32 v25 /*v281*/, v10, v25 /*v281*/, -v218
	s_set_vgpr_msb 0x55                     ;  msbs: dst=1 src0=1 src1=1 src2=1
	v_fma_mix_f32 v26 /*v282*/, v25 /*v281*/, v26 /*v282*/, v24 /*v280*/ op_sel_hi:[0,1,0]
	s_set_vgpr_msb 0x41                     ;  msbs: dst=1 src0=1 src1=0 src2=0
	v_dot4_i32_iu8 v24 /*v280*/, v13 /*v269*/, v74, 0 neg_lo:[1,1,0]
	v_dot4_i32_iu8 v25 /*v281*/, v15 /*v271*/, v75, 0 neg_lo:[1,1,0]
	s_delay_alu instid0(VALU_DEP_2) | instskip(NEXT) | instid1(VALU_DEP_2)
	v_cvt_f32_i32_e32 v24 /*v280*/, v24 /*v280*/
	v_cvt_f32_i32_e32 v25 /*v281*/, v25 /*v281*/
	s_set_vgpr_msb 0x44                     ;  msbs: dst=1 src0=0 src1=1 src2=0
	s_delay_alu instid0(VALU_DEP_1) | instskip(SKIP_1) | instid1(VALU_DEP_1)
	v_pk_fma_f32 v[24:25] /*v[280:281]*/, v[10:11], v[24:25] /*v[280:281]*/, v[218:219] neg_lo:[0,0,1] neg_hi:[0,0,1]
	s_set_vgpr_msb 0x41                     ;  msbs: dst=1 src0=1 src1=0 src2=0
	v_pk_mul_f32 v[24:25] /*v[280:281]*/, v[24:25] /*v[280:281]*/, v[32:33] op_sel_hi:[1,0]
	s_set_vgpr_msb 0x45                     ;  msbs: dst=1 src0=1 src1=1 src2=0
	s_delay_alu instid0(VALU_DEP_1) | instskip(NEXT) | instid1(VALU_DEP_1)
	v_add_f32_e32 v24 /*v280*/, v24 /*v280*/, v26 /*v282*/
	v_add_f32_e32 v26 /*v282*/, v24 /*v280*/, v25 /*v281*/
	s_set_vgpr_msb 0x41                     ;  msbs: dst=1 src0=1 src1=0 src2=0
	v_dot4_i32_iu8 v24 /*v280*/, v14 /*v270*/, v76, 0 neg_lo:[1,1,0]
	v_dot4_i32_iu8 v25 /*v281*/, v17 /*v273*/, v77, 0 neg_lo:[1,1,0]
	s_delay_alu instid0(VALU_DEP_2) | instskip(NEXT) | instid1(VALU_DEP_2)
	v_cvt_f32_i32_e32 v24 /*v280*/, v24 /*v280*/
	v_cvt_f32_i32_e32 v25 /*v281*/, v25 /*v281*/
	s_set_vgpr_msb 0x44                     ;  msbs: dst=1 src0=0 src1=1 src2=0
	s_delay_alu instid0(VALU_DEP_1) | instskip(SKIP_1) | instid1(VALU_DEP_1)
	v_pk_fma_f32 v[24:25] /*v[280:281]*/, v[12:13], v[24:25] /*v[280:281]*/, v[216:217] neg_lo:[0,0,1] neg_hi:[0,0,1]
	s_set_vgpr_msb 0x41                     ;  msbs: dst=1 src0=1 src1=0 src2=0
	v_pk_mul_f32 v[24:25] /*v[280:281]*/, v[24:25] /*v[280:281]*/, v[34:35] op_sel_hi:[1,0]
	s_set_vgpr_msb 0x45                     ;  msbs: dst=1 src0=1 src1=1 src2=0
	s_delay_alu instid0(VALU_DEP_1) | instskip(NEXT) | instid1(VALU_DEP_1)
	v_add_f32_e32 v24 /*v280*/, v26 /*v282*/, v24 /*v280*/
	v_add_f32_e32 v26 /*v282*/, v24 /*v280*/, v25 /*v281*/
	s_set_vgpr_msb 0x41                     ;  msbs: dst=1 src0=1 src1=0 src2=0
	;; [unrolled: 15-line block ×5, first 2 shown]
	ds_bpermute_b32 v25 /*v281*/, v241, v24 /*v280*/
	s_wait_dscnt 0x0
	s_set_vgpr_msb 0x45                     ;  msbs: dst=1 src0=1 src1=1 src2=0
	v_add_f32_e32 v28 /*v284*/, v24 /*v280*/, v25 /*v281*/
	s_delay_alu instid0(VALU_DEP_1) | instskip(SKIP_1) | instid1(SALU_CYCLE_1)
	v_cmp_ngt_f32_e64 s15, 0x3f200000, |v28 /*v284*/|
	s_and_saveexec_b32 s27, s15
	s_xor_b32 s15, exec_lo, s27
	s_set_vgpr_msb 0                        ;  msbs: dst=0 src0=0 src1=0 src2=0
	s_cbranch_execz .LBB31_23
; %bb.22:                               ;   in Loop: Header=BB31_21 Depth=1
	s_set_vgpr_msb 0x45                     ;  msbs: dst=1 src0=1 src1=1 src2=0
	v_add_f32_e64 v24 /*v280*/, |v28 /*v284*/|, |v28 /*v284*/|
	s_delay_alu instid0(VALU_DEP_1) | instskip(SKIP_1) | instid1(VALU_DEP_2)
	v_mul_f32_e32 v25 /*v281*/, 0x3fb8aa3b, v24 /*v280*/
	v_cmp_ngt_f32_e32 vcc_lo, 0xc2ce8ed0, v24 /*v280*/
	v_rndne_f32_e32 v26 /*v282*/, v25 /*v281*/
	s_set_vgpr_msb 0x54                     ;  msbs: dst=1 src0=0 src1=1 src2=1
	v_fma_f32 v27 /*v283*/, 0x3fb8aa3b, v24 /*v280*/, -v25 /*v281*/
	s_set_vgpr_msb 0x45                     ;  msbs: dst=1 src0=1 src1=1 src2=0
	s_delay_alu instid0(VALU_DEP_2) | instskip(NEXT) | instid1(VALU_DEP_2)
	v_sub_f32_e32 v25 /*v281*/, v25 /*v281*/, v26 /*v282*/
	v_fmac_f32_e32 v27 /*v283*/, 0x32a5705f, v24 /*v280*/
	v_cvt_i32_f32_e32 v26 /*v282*/, v26 /*v282*/
	s_delay_alu instid0(VALU_DEP_2) | instskip(NEXT) | instid1(VALU_DEP_1)
	v_add_f32_e32 v25 /*v281*/, v25 /*v281*/, v27 /*v283*/
	v_exp_f32_e32 v25 /*v281*/, v25 /*v281*/
	v_nop
	s_delay_alu instid0(TRANS32_DEP_1) | instskip(NEXT) | instid1(VALU_DEP_1)
	v_ldexp_f32 v25 /*v281*/, v25 /*v281*/, v26 /*v282*/
	v_cndmask_b32_e32 v25 /*v281*/, 0, v25 /*v281*/, vcc_lo
	v_cmp_nlt_f32_e32 vcc_lo, 0x42b17218, v24 /*v280*/
	s_delay_alu instid0(VALU_DEP_2) | instskip(NEXT) | instid1(VALU_DEP_1)
	v_cndmask_b32_e32 v24 /*v280*/, 0x7f800000, v25 /*v281*/, vcc_lo
	v_add_f32_e32 v24 /*v280*/, 1.0, v24 /*v280*/
	s_delay_alu instid0(VALU_DEP_1) | instskip(SKIP_1) | instid1(TRANS32_DEP_1)
	v_rcp_f32_e32 v24 /*v280*/, v24 /*v280*/
	v_nop
	v_fma_f32 v29 /*v285*/, v24 /*v280*/, -2.0, 1.0
.LBB31_23:                              ;   in Loop: Header=BB31_21 Depth=1
	s_and_not1_saveexec_b32 s15, s15
	s_set_vgpr_msb 0                        ;  msbs: dst=0 src0=0 src1=0 src2=0
	s_cbranch_execz .LBB31_25
; %bb.24:                               ;   in Loop: Header=BB31_21 Depth=1
	s_set_vgpr_msb 0x55                     ;  msbs: dst=1 src0=1 src1=1 src2=1
	v_mul_f32_e32 v24 /*v280*/, v28 /*v284*/, v28 /*v284*/
	s_delay_alu instid0(VALU_DEP_1) | instskip(NEXT) | instid1(VALU_DEP_1)
	v_fmaak_f32 v25 /*v281*/, s26, v24 /*v280*/, 0x3ca908c9
	v_fmaak_f32 v25 /*v281*/, v24 /*v280*/, v25 /*v281*/, 0xbd5c1c4e
	s_delay_alu instid0(VALU_DEP_1) | instskip(NEXT) | instid1(VALU_DEP_1)
	v_fmaak_f32 v25 /*v281*/, v24 /*v280*/, v25 /*v281*/, 0x3e088382
	v_fmaak_f32 v25 /*v281*/, v24 /*v280*/, v25 /*v281*/, 0xbeaaaa99
	s_delay_alu instid0(VALU_DEP_1) | instskip(NEXT) | instid1(VALU_DEP_1)
	v_mul_f32_e64 v25 /*v281*/, |v28 /*v284*/|, v25 /*v281*/
	v_fma_f32 v29 /*v285*/, v24 /*v280*/, v25 /*v281*/, |v28 /*v284*/|
.LBB31_25:                              ;   in Loop: Header=BB31_21 Depth=1
	s_or_b32 exec_lo, exec_lo, s15
	s_set_vgpr_msb 64                       ;  msbs: dst=1 src0=0 src1=0 src2=0
	v_cvt_f32_f16_e64 v24 /*v280*/, v40
	s_set_vgpr_msb 20                       ;  msbs: dst=0 src0=0 src1=1 src2=1
	v_bfi_b32 v40, 0x7fffffff, v29 /*v285*/, v28 /*v284*/
	s_set_vgpr_msb 64                       ;  msbs: dst=1 src0=0 src1=0 src2=0
	v_cvt_f32_f16_e64 v27 /*v283*/, v33
	v_cvt_f32_f16_e64 v26 /*v282*/, v35
	;; [unrolled: 1-line block ×3, first 2 shown]
	s_set_vgpr_msb 0x41                     ;  msbs: dst=1 src0=1 src1=0 src2=0
	v_cvt_f32_f16_e64 v20 /*v276*/, v20 /*v276*/
	s_set_vgpr_msb 0                        ;  msbs: dst=0 src0=0 src1=0 src2=0
	v_dual_mov_b32 v33, v32 :: v_dual_mov_b32 v35, v34
	v_dual_mov_b32 v37, v36 :: v_dual_mul_f32 v40, s37, v40
	s_and_not1_b32 vcc_lo, exec_lo, s25
	s_cbranch_vccnz .LBB31_27
; %bb.26:                               ;   in Loop: Header=BB31_21 Depth=1
	s_set_vgpr_msb 64                       ;  msbs: dst=1 src0=0 src1=0 src2=0
	global_load_u16 v28 /*v284*/, v132, s[4:5] scale_offset
	s_wait_loadcnt 0x0
	s_set_vgpr_msb 4                        ;  msbs: dst=0 src0=0 src1=1 src2=0
	v_fma_mix_f32 v40, v237, v28 /*v284*/, v40 op_sel_hi:[0,1,0]
.LBB31_27:                              ;   in Loop: Header=BB31_21 Depth=1
	s_set_vgpr_msb 0                        ;  msbs: dst=0 src0=0 src1=0 src2=0
	v_dot4_i32_iu8 v41, v41, v84, 0 neg_lo:[1,1,0]
	v_dot4_i32_iu8 v42, v42, v85, 0 neg_lo:[1,1,0]
	;; [unrolled: 1-line block ×5, first 2 shown]
	v_cvt_f32_i32_e32 v41, v41
	v_cvt_f32_i32_e32 v42, v42
	;; [unrolled: 1-line block ×5, first 2 shown]
	s_delay_alu instid0(VALU_DEP_4) | instskip(NEXT) | instid1(VALU_DEP_3)
	v_dual_fma_f32 v41, v16, v41, -v17 :: v_dual_fma_f32 v42, v16, v42, -v17
	v_dual_fma_f32 v43, v16, v43, -v17 :: v_dual_fma_f32 v44, v16, v44, -v17
	s_set_vgpr_msb 4                        ;  msbs: dst=0 src0=0 src1=1 src2=0
	s_delay_alu instid0(VALU_DEP_2) | instskip(NEXT) | instid1(VALU_DEP_1)
	v_fma_f32 v41, v41, v27 /*v283*/, 0
	v_fmac_f32_e32 v41, v42, v27 /*v283*/
	s_set_vgpr_msb 0                        ;  msbs: dst=0 src0=0 src1=0 src2=0
	v_dot4_i32_iu8 v42, v46, v89, 0 neg_lo:[1,1,0]
	s_set_vgpr_msb 1                        ;  msbs: dst=0 src0=1 src1=0 src2=0
	v_dot4_i32_iu8 v46, v12 /*v268*/, v105, 0 neg_lo:[1,1,0]
	s_set_vgpr_msb 4                        ;  msbs: dst=0 src0=0 src1=1 src2=0
	v_fmac_f32_e32 v41, v43, v27 /*v283*/
	s_set_vgpr_msb 0                        ;  msbs: dst=0 src0=0 src1=0 src2=0
	v_dot4_i32_iu8 v43, v47, v90, 0 neg_lo:[1,1,0]
	v_cvt_f32_i32_e32 v42, v42
	v_fma_f32 v45, v18, v45, -v19
	s_set_vgpr_msb 1                        ;  msbs: dst=0 src0=1 src1=0 src2=0
	v_dot4_i32_iu8 v47, v15 /*v271*/, v107, 0 neg_lo:[1,1,0]
	s_set_vgpr_msb 4                        ;  msbs: dst=0 src0=0 src1=1 src2=0
	v_fmac_f32_e32 v41, v44, v27 /*v283*/
	s_set_vgpr_msb 0                        ;  msbs: dst=0 src0=0 src1=0 src2=0
	v_dot4_i32_iu8 v44, v133, v91, 0 neg_lo:[1,1,0]
	v_cvt_f32_i32_e32 v43, v43
	v_fma_f32 v42, v18, v42, -v19
	v_cvt_f32_i32_e32 v46, v46
	s_set_vgpr_msb 4                        ;  msbs: dst=0 src0=0 src1=1 src2=0
	v_fmac_f32_e32 v41, v45, v26 /*v282*/
	s_set_vgpr_msb 0                        ;  msbs: dst=0 src0=0 src1=0 src2=0
	v_dot4_i32_iu8 v45, v227, v92, 0 neg_lo:[1,1,0]
	v_cvt_f32_i32_e32 v44, v44
	v_fma_f32 v43, v18, v43, -v19
	v_fma_f32 v46, v26, v46, -v212
	s_set_vgpr_msb 4                        ;  msbs: dst=0 src0=0 src1=1 src2=0
	v_fmac_f32_e32 v41, v42, v26 /*v282*/
	s_set_vgpr_msb 0                        ;  msbs: dst=0 src0=0 src1=0 src2=0
	v_dot4_i32_iu8 v42, v228, v93, 0 neg_lo:[1,1,0]
	v_cvt_f32_i32_e32 v45, v45
	v_fma_f32 v44, v18, v44, -v19
	s_set_vgpr_msb 4                        ;  msbs: dst=0 src0=0 src1=1 src2=0
	v_fmac_f32_e32 v41, v43, v26 /*v282*/
	s_set_vgpr_msb 0                        ;  msbs: dst=0 src0=0 src1=0 src2=0
	v_dot4_i32_iu8 v43, v229, v94, 0 neg_lo:[1,1,0]
	v_cvt_f32_i32_e32 v42, v42
	;; [unrolled: 6-line block ×6, first 2 shown]
	v_fma_f32 v45, v22, v45, -v23
	s_set_vgpr_msb 4                        ;  msbs: dst=0 src0=0 src1=1 src2=0
	v_fmac_f32_e32 v41, v44, v25 /*v281*/
	s_set_vgpr_msb 1                        ;  msbs: dst=0 src0=1 src1=0 src2=0
	v_dot4_i32_iu8 v44, v6 /*v262*/, v99, 0 neg_lo:[1,1,0]
	s_set_vgpr_msb 0                        ;  msbs: dst=0 src0=0 src1=0 src2=0
	v_cvt_f32_i32_e32 v43, v43
	v_fma_f32 v42, v22, v42, -v23
	s_set_vgpr_msb 4                        ;  msbs: dst=0 src0=0 src1=1 src2=0
	v_fmac_f32_e32 v41, v45, v24 /*v280*/
	s_set_vgpr_msb 1                        ;  msbs: dst=0 src0=1 src1=0 src2=0
	v_dot4_i32_iu8 v45, v7 /*v263*/, v100, 0 neg_lo:[1,1,0]
	s_set_vgpr_msb 0                        ;  msbs: dst=0 src0=0 src1=0 src2=0
	v_cvt_f32_i32_e32 v44, v44
	;; [unrolled: 7-line block ×7, first 2 shown]
	v_fma_f32 v44, v24, v44, -v25
	s_set_vgpr_msb 4                        ;  msbs: dst=0 src0=0 src1=1 src2=0
	v_fmac_f32_e32 v41, v43, v20 /*v276*/
	v_cvt_f32_i32_e32 v43, v47
	v_cvt_f32_i32_e32 v42, v42
	s_set_vgpr_msb 0                        ;  msbs: dst=0 src0=0 src1=0 src2=0
	v_fma_f32 v45, v26, v45, -v212
	s_set_vgpr_msb 1                        ;  msbs: dst=0 src0=1 src1=0 src2=0
	v_dot4_i32_iu8 v47, v17 /*v273*/, v109, 0 neg_lo:[1,1,0]
	s_set_vgpr_msb 4                        ;  msbs: dst=0 src0=0 src1=1 src2=0
	v_fmac_f32_e32 v41, v44, v20 /*v276*/
	s_set_vgpr_msb 1                        ;  msbs: dst=0 src0=1 src1=0 src2=0
	v_dot4_i32_iu8 v44, v14 /*v270*/, v108, 0 neg_lo:[1,1,0]
	s_set_vgpr_msb 0                        ;  msbs: dst=0 src0=0 src1=0 src2=0
	v_pk_fma_f32 v[42:43], v[26:27], v[42:43], v[212:213] neg_lo:[0,0,1] neg_hi:[0,0,1]
	v_fmac_f32_e32 v41, v45, v32
	v_cvt_f32_i32_e32 v45, v47
	v_cvt_f32_i32_e32 v44, v44
	s_delay_alu instid0(VALU_DEP_4)
	v_pk_mul_f32 v[42:43], v[42:43], v[32:33]
	s_set_vgpr_msb 1                        ;  msbs: dst=0 src0=1 src1=0 src2=0
	v_dot4_i32_iu8 v47, v16 /*v272*/, v110, 0 neg_lo:[1,1,0]
	s_set_vgpr_msb 0                        ;  msbs: dst=0 src0=0 src1=0 src2=0
	v_fmac_f32_e32 v41, v46, v32
	s_set_vgpr_msb 1                        ;  msbs: dst=0 src0=1 src1=0 src2=0
	v_dot4_i32_iu8 v46, v19 /*v275*/, v111, 0 neg_lo:[1,1,0]
	s_set_vgpr_msb 0                        ;  msbs: dst=0 src0=0 src1=0 src2=0
	v_pk_fma_f32 v[32:33], v[28:29], v[44:45], v[210:211] neg_lo:[0,0,1] neg_hi:[0,0,1]
	v_cvt_f32_i32_e32 v44, v47
	v_add_f32_e32 v41, v42, v41
	v_cvt_f32_i32_e32 v45, v46
	s_delay_alu instid0(VALU_DEP_4)
	v_pk_mul_f32 v[32:33], v[32:33], v[34:35]
	s_set_vgpr_msb 1                        ;  msbs: dst=0 src0=1 src1=0 src2=0
	v_dot4_i32_iu8 v46, v22 /*v278*/, v113, 0 neg_lo:[1,1,0]
	v_dot4_i32_iu8 v47, v18 /*v274*/, v112, 0 neg_lo:[1,1,0]
	s_set_vgpr_msb 0                        ;  msbs: dst=0 src0=0 src1=0 src2=0
	v_add_f32_e32 v41, v41, v43
	v_pk_fma_f32 v[42:43], v[28:29], v[44:45], v[210:211] neg_lo:[0,0,1] neg_hi:[0,0,1]
	v_cvt_f32_i32_e32 v45, v46
	v_cvt_f32_i32_e32 v44, v47
	s_delay_alu instid0(VALU_DEP_3) | instskip(SKIP_4) | instid1(VALU_DEP_2)
	v_pk_mul_f32 v[34:35], v[42:43], v[34:35]
	v_add_f32_e32 v32, v41, v32
	s_set_vgpr_msb 1                        ;  msbs: dst=0 src0=1 src1=0 src2=0
	v_dot4_i32_iu8 v42, v23 /*v279*/, v115, 0 neg_lo:[1,1,0]
	s_set_vgpr_msb 0                        ;  msbs: dst=0 src0=0 src1=0 src2=0
	v_add_f32_e32 v41, v32, v33
	v_pk_fma_f32 v[32:33], v[30:31], v[44:45], v[208:209] neg_lo:[0,0,1] neg_hi:[0,0,1]
	s_delay_alu instid0(VALU_DEP_3) | instskip(NEXT) | instid1(VALU_DEP_3)
	v_cvt_f32_i32_e32 v43, v42
	v_add_f32_e32 v34, v34, v41
	s_set_vgpr_msb 1                        ;  msbs: dst=0 src0=1 src1=0 src2=0
	v_dot4_i32_iu8 v41, v21 /*v277*/, v114, 0 neg_lo:[1,1,0]
	s_set_vgpr_msb 0                        ;  msbs: dst=0 src0=0 src1=0 src2=0
	v_pk_mul_f32 v[32:33], v[32:33], v[36:37]
	v_add_f32_e32 v34, v34, v35
	s_delay_alu instid0(VALU_DEP_3) | instskip(NEXT) | instid1(VALU_DEP_2)
	v_cvt_f32_i32_e32 v42, v41
	v_add_f32_e32 v32, v34, v32
	s_delay_alu instid0(VALU_DEP_2) | instskip(NEXT) | instid1(VALU_DEP_2)
	v_pk_fma_f32 v[34:35], v[30:31], v[42:43], v[208:209] neg_lo:[0,0,1] neg_hi:[0,0,1]
	v_add_f32_e32 v41, v32, v33
	s_delay_alu instid0(VALU_DEP_2) | instskip(NEXT) | instid1(VALU_DEP_1)
	v_pk_mul_f32 v[32:33], v[34:35], v[36:37]
	v_add_f32_e32 v32, v32, v41
	s_delay_alu instid0(VALU_DEP_1) | instskip(SKIP_3) | instid1(VALU_DEP_1)
	v_add_f32_e32 v32, v32, v33
	ds_bpermute_b32 v33, v241, v32
	s_wait_dscnt 0x0
	v_add_f32_e32 v32, v32, v33
                                        ; implicit-def: $vgpr33
	v_cmp_ngt_f32_e64 s15, 0x3f200000, |v32|
	s_and_saveexec_b32 s27, s15
	s_delay_alu instid0(SALU_CYCLE_1)
	s_xor_b32 s15, exec_lo, s27
	s_cbranch_execz .LBB31_29
; %bb.28:                               ;   in Loop: Header=BB31_21 Depth=1
	v_add_f32_e64 v33, |v32|, |v32|
	s_delay_alu instid0(VALU_DEP_1) | instskip(SKIP_1) | instid1(VALU_DEP_2)
	v_mul_f32_e32 v34, 0x3fb8aa3b, v33
	v_cmp_ngt_f32_e32 vcc_lo, 0xc2ce8ed0, v33
	v_rndne_f32_e32 v35, v34
	v_fma_f32 v36, 0x3fb8aa3b, v33, -v34
	s_delay_alu instid0(VALU_DEP_2) | instskip(NEXT) | instid1(VALU_DEP_2)
	v_sub_f32_e32 v34, v34, v35
	v_fmac_f32_e32 v36, 0x32a5705f, v33
	v_cvt_i32_f32_e32 v35, v35
	s_delay_alu instid0(VALU_DEP_2) | instskip(NEXT) | instid1(VALU_DEP_1)
	v_add_f32_e32 v34, v34, v36
	v_exp_f32_e32 v34, v34
	v_nop
	s_delay_alu instid0(TRANS32_DEP_1) | instskip(NEXT) | instid1(VALU_DEP_1)
	v_ldexp_f32 v34, v34, v35
	v_cndmask_b32_e32 v34, 0, v34, vcc_lo
	v_cmp_nlt_f32_e32 vcc_lo, 0x42b17218, v33
	s_delay_alu instid0(VALU_DEP_2) | instskip(NEXT) | instid1(VALU_DEP_1)
	v_cndmask_b32_e32 v33, 0x7f800000, v34, vcc_lo
	v_add_f32_e32 v33, 1.0, v33
	s_delay_alu instid0(VALU_DEP_1) | instskip(SKIP_1) | instid1(TRANS32_DEP_1)
	v_rcp_f32_e32 v33, v33
	v_nop
	v_fma_f32 v33, v33, -2.0, 1.0
.LBB31_29:                              ;   in Loop: Header=BB31_21 Depth=1
	s_and_not1_saveexec_b32 s15, s15
	s_cbranch_execz .LBB31_31
; %bb.30:                               ;   in Loop: Header=BB31_21 Depth=1
	v_mul_f32_e32 v33, v32, v32
	s_delay_alu instid0(VALU_DEP_1) | instskip(NEXT) | instid1(VALU_DEP_1)
	v_fmaak_f32 v34, s26, v33, 0x3ca908c9
	v_fmaak_f32 v34, v33, v34, 0xbd5c1c4e
	s_delay_alu instid0(VALU_DEP_1) | instskip(NEXT) | instid1(VALU_DEP_1)
	v_fmaak_f32 v34, v33, v34, 0x3e088382
	v_fmaak_f32 v34, v33, v34, 0xbeaaaa99
	s_delay_alu instid0(VALU_DEP_1) | instskip(NEXT) | instid1(VALU_DEP_1)
	v_mul_f32_e64 v34, |v32|, v34
	v_fma_f32 v33, v33, v34, |v32|
.LBB31_31:                              ;   in Loop: Header=BB31_21 Depth=1
	s_or_b32 exec_lo, exec_lo, s15
	s_delay_alu instid0(VALU_DEP_1) | instskip(SKIP_1) | instid1(VALU_DEP_1)
	v_bfi_b32 v32, 0x7fffffff, v33, v32
	s_and_not1_b32 vcc_lo, exec_lo, s24
	v_mul_f32_e32 v41, s37, v32
	s_cbranch_vccnz .LBB31_33
; %bb.32:                               ;   in Loop: Header=BB31_21 Depth=1
	v_lshl_add_u64 v[32:33], v[172:173], 1, s[4:5]
	global_load_u16 v32, v[32:33], off
	s_wait_loadcnt 0x0
	v_fma_mix_f32 v41, v237, v32, v41 op_sel_hi:[0,1,0]
.LBB31_33:                              ;   in Loop: Header=BB31_21 Depth=1
	s_set_vgpr_msb 0x41                     ;  msbs: dst=1 src0=1 src1=0 src2=0
	v_add_nc_u64_e32 v[26:27] /*v[282:283]*/, s[12:13], v[174:175]
	s_delay_alu instid0(VALU_DEP_1)
	v_add_nc_u64_e32 v[24:25] /*v[280:281]*/, v[26:27] /*v[282:283]*/, v[48:49]
	v_add_nc_u64_e32 v[14:15] /*v[270:271]*/, v[26:27] /*v[282:283]*/, v[146:147]
	s_set_vgpr_msb 1                        ;  msbs: dst=0 src0=1 src1=0 src2=0
	s_clause 0x1
	global_load_b32 v32, v[24:25] /*v[280:281]*/, off offset:6
	global_load_b32 v36, v[26:27] /*v[282:283]*/, off offset:2
	s_wait_loadcnt 0x1
	v_and_b32_e32 v35, 0xf0f0f0f, v32
	s_wait_loadcnt 0x0
	s_set_vgpr_msb 0                        ;  msbs: dst=0 src0=0 src1=0 src2=0
	v_ashrrev_i32_e32 v33, v48, v36
	s_delay_alu instid0(VALU_DEP_1) | instskip(NEXT) | instid1(VALU_DEP_1)
	v_lshlrev_b32_e32 v34, 4, v33
	v_dual_lshlrev_b32 v37, 11, v33 :: v_dual_bitop2_b32 v34, 16, v34 bitop3:0x40
	v_dual_lshlrev_b32 v42, 18, v33 :: v_dual_lshlrev_b32 v33, 25, v33
	s_delay_alu instid0(VALU_DEP_2) | instskip(NEXT) | instid1(VALU_DEP_2)
	v_and_b32_e32 v37, 0x1000, v37
	v_and_b32_e32 v42, 0x100000, v42
	s_delay_alu instid0(VALU_DEP_3) | instskip(NEXT) | instid1(VALU_DEP_1)
	v_and_b32_e32 v33, 0x10000000, v33
	v_or3_b32 v33, v33, v35, v42
	v_ashrrev_i32_e32 v35, v247, v36
	s_delay_alu instid0(VALU_DEP_2)
	v_or3_b32 v42, v33, v34, v37
	s_set_vgpr_msb 1                        ;  msbs: dst=0 src0=1 src1=0 src2=0
	s_clause 0x1
	global_load_u16 v33, v[26:27] /*v[282:283]*/, off
	global_load_b32 v34, v[24:25] /*v[280:281]*/, off offset:14
	v_lshlrev_b32_e32 v37, 4, v35
	s_delay_alu instid0(VALU_DEP_1) | instskip(SKIP_1) | instid1(VALU_DEP_2)
	v_dual_lshlrev_b32 v43, 11, v35 :: v_dual_bitop2_b32 v37, 16, v37 bitop3:0x40
	v_dual_lshlrev_b32 v44, 18, v35 :: v_dual_lshlrev_b32 v35, 25, v35
	v_and_b32_e32 v43, 0x1000, v43
	s_delay_alu instid0(VALU_DEP_2) | instskip(NEXT) | instid1(VALU_DEP_3)
	v_and_b32_e32 v44, 0x100000, v44
	v_and_b32_e32 v35, 0x10000000, v35
	s_set_vgpr_msb 0                        ;  msbs: dst=0 src0=0 src1=0 src2=0
	s_delay_alu instid0(VALU_DEP_1) | instskip(SKIP_2) | instid1(VALU_DEP_1)
	v_or3_b32 v35, v44, v35, v37
	s_wait_loadcnt 0x0
	v_and_b32_e32 v34, 0xf0f0f0f, v34
	v_or3_b32 v43, v35, v43, v34
	v_ashrrev_i32_e32 v34, v248, v36
	s_delay_alu instid0(VALU_DEP_1) | instskip(NEXT) | instid1(VALU_DEP_1)
	v_dual_lshrrev_b32 v32, 4, v32 :: v_dual_lshlrev_b32 v35, 4, v34
	v_and_b32_e32 v32, 0xf0f0f0f, v32
	s_delay_alu instid0(VALU_DEP_2) | instskip(SKIP_1) | instid1(VALU_DEP_2)
	v_dual_lshlrev_b32 v37, 11, v34 :: v_dual_bitop2_b32 v35, 16, v35 bitop3:0x40
	v_dual_lshlrev_b32 v44, 18, v34 :: v_dual_lshlrev_b32 v34, 25, v34
	v_and_b32_e32 v37, 0x1000, v37
	s_delay_alu instid0(VALU_DEP_2) | instskip(NEXT) | instid1(VALU_DEP_3)
	v_and_b32_e32 v44, 0x100000, v44
	v_and_b32_e32 v34, 0x10000000, v34
	s_delay_alu instid0(VALU_DEP_1) | instskip(NEXT) | instid1(VALU_DEP_1)
	v_or3_b32 v32, v34, v32, v44
	v_or3_b32 v44, v32, v35, v37
	s_set_vgpr_msb 1                        ;  msbs: dst=0 src0=1 src1=0 src2=0
	v_add_nc_u64_e32 v[34:35], v[26:27] /*v[282:283]*/, v[134:135]
	s_set_vgpr_msb 0                        ;  msbs: dst=0 src0=0 src1=0 src2=0
	global_load_b32 v32, v[34:35], off offset:6
	s_wait_xcnt 0x0
	v_ashrrev_i32_e32 v34, v249, v36
	s_delay_alu instid0(VALU_DEP_1) | instskip(NEXT) | instid1(VALU_DEP_1)
	v_lshlrev_b32_e32 v35, 4, v34
	v_dual_lshlrev_b32 v36, 11, v34 :: v_dual_bitop2_b32 v35, 16, v35 bitop3:0x40
	v_dual_lshlrev_b32 v37, 18, v34 :: v_dual_lshlrev_b32 v34, 25, v34
	s_delay_alu instid0(VALU_DEP_2) | instskip(NEXT) | instid1(VALU_DEP_2)
	v_and_b32_e32 v36, 0x1000, v36
	v_and_b32_e32 v37, 0x100000, v37
	s_delay_alu instid0(VALU_DEP_3) | instskip(NEXT) | instid1(VALU_DEP_1)
	v_and_b32_e32 v34, 0x10000000, v34
	v_or3_b32 v34, v37, v34, v35
	s_wait_loadcnt 0x0
	v_lshrrev_b32_e32 v32, 4, v32
	s_delay_alu instid0(VALU_DEP_1) | instskip(NEXT) | instid1(VALU_DEP_1)
	v_and_b32_e32 v32, 0xf0f0f0f, v32
	v_or3_b32 v45, v34, v36, v32
	s_set_vgpr_msb 1                        ;  msbs: dst=0 src0=1 src1=0 src2=0
	s_clause 0x1
	global_load_b32 v32, v[24:25] /*v[280:281]*/, off offset:28
	global_load_b32 v34, v[26:27] /*v[282:283]*/, off offset:24
	s_wait_loadcnt 0x1
	v_and_b32_e32 v37, 0xf0f0f0f, v32
	s_wait_loadcnt 0x0
	s_set_vgpr_msb 0                        ;  msbs: dst=0 src0=0 src1=0 src2=0
	v_dual_ashrrev_i32 v35, v48, v34 :: v_dual_lshrrev_b32 v32, 4, v32
	s_delay_alu instid0(VALU_DEP_1) | instskip(NEXT) | instid1(VALU_DEP_1)
	v_lshlrev_b32_e32 v36, 4, v35
	v_dual_lshlrev_b32 v46, 11, v35 :: v_dual_bitop2_b32 v36, 16, v36 bitop3:0x40
	v_dual_lshlrev_b32 v47, 18, v35 :: v_dual_lshlrev_b32 v35, 25, v35
	s_delay_alu instid0(VALU_DEP_2) | instskip(NEXT) | instid1(VALU_DEP_2)
	v_and_b32_e32 v46, 0x1000, v46
	v_and_b32_e32 v47, 0x100000, v47
	s_delay_alu instid0(VALU_DEP_3) | instskip(NEXT) | instid1(VALU_DEP_1)
	v_and_b32_e32 v35, 0x10000000, v35
	v_or3_b32 v35, v35, v37, v47
	v_ashrrev_i32_e32 v37, v247, v34
	s_delay_alu instid0(VALU_DEP_2)
	v_or3_b32 v46, v35, v36, v46
	s_set_vgpr_msb 1                        ;  msbs: dst=0 src0=1 src1=0 src2=0
	s_clause 0x1
	global_load_u16 v35, v[26:27] /*v[282:283]*/, off offset:22
	global_load_b32 v36, v[24:25] /*v[280:281]*/, off offset:36
	v_lshlrev_b32_e32 v47, 4, v37
	s_delay_alu instid0(VALU_DEP_1) | instskip(SKIP_1) | instid1(VALU_DEP_2)
	v_dual_lshlrev_b32 v133, 11, v37 :: v_dual_bitop2_b32 v47, 16, v47 bitop3:0x40
	v_dual_lshlrev_b32 v227, 18, v37 :: v_dual_lshlrev_b32 v37, 25, v37
	v_and_b32_e32 v133, 0x1000, v133
	s_delay_alu instid0(VALU_DEP_2) | instskip(NEXT) | instid1(VALU_DEP_3)
	v_and_b32_e32 v227, 0x100000, v227
	v_and_b32_e32 v37, 0x10000000, v37
	s_set_vgpr_msb 0                        ;  msbs: dst=0 src0=0 src1=0 src2=0
	s_delay_alu instid0(VALU_DEP_1) | instskip(SKIP_2) | instid1(VALU_DEP_1)
	v_or3_b32 v37, v227, v37, v47
	s_wait_loadcnt 0x0
	v_and_b32_e32 v36, 0xf0f0f0f, v36
	v_or3_b32 v47, v37, v133, v36
	v_ashrrev_i32_e32 v36, v248, v34
	v_and_b32_e32 v32, 0xf0f0f0f, v32
	s_delay_alu instid0(VALU_DEP_2) | instskip(SKIP_1) | instid1(VALU_DEP_2)
	v_dual_ashrrev_i32 v34, v250, v34 :: v_dual_lshlrev_b32 v37, 4, v36
	v_dual_lshlrev_b32 v133, 11, v36 :: v_dual_lshlrev_b32 v227, 18, v36
	v_dual_lshlrev_b32 v36, 25, v36 :: v_dual_bitop2_b32 v37, 16, v37 bitop3:0x40
	s_delay_alu instid0(VALU_DEP_2) | instskip(NEXT) | instid1(VALU_DEP_3)
	v_and_b32_e32 v133, 0x1000, v133
	v_and_b32_e32 v227, 0x100000, v227
	s_delay_alu instid0(VALU_DEP_3) | instskip(NEXT) | instid1(VALU_DEP_1)
	v_and_b32_e32 v36, 0x10000000, v36
	v_or3_b32 v32, v36, v32, v227
	v_lshlrev_b32_e32 v227, 18, v34
	s_delay_alu instid0(VALU_DEP_2)
	v_or3_b32 v133, v32, v37, v133
	s_set_vgpr_msb 1                        ;  msbs: dst=0 src0=1 src1=0 src2=0
	v_add_nc_u64_e32 v[36:37], v[26:27] /*v[282:283]*/, v[138:139]
	s_set_vgpr_msb 0                        ;  msbs: dst=0 src0=0 src1=0 src2=0
	global_load_b32 v32, v[36:37], off offset:28
	s_wait_xcnt 0x0
	v_dual_lshlrev_b32 v36, 4, v34 :: v_dual_lshlrev_b32 v37, 11, v34
	v_lshlrev_b32_e32 v34, 25, v34
	v_and_b32_e32 v227, 0x100000, v227
	s_delay_alu instid0(VALU_DEP_3) | instskip(NEXT) | instid1(VALU_DEP_4)
	v_and_b32_e32 v36, 16, v36
	v_and_b32_e32 v37, 0x1000, v37
	s_delay_alu instid0(VALU_DEP_4) | instskip(NEXT) | instid1(VALU_DEP_1)
	v_and_b32_e32 v34, 0x10000000, v34
	v_or3_b32 v34, v227, v34, v36
	s_wait_loadcnt 0x0
	v_lshrrev_b32_e32 v32, 4, v32
	s_delay_alu instid0(VALU_DEP_1) | instskip(NEXT) | instid1(VALU_DEP_1)
	v_and_b32_e32 v32, 0xf0f0f0f, v32
	v_or3_b32 v227, v34, v37, v32
	s_set_vgpr_msb 1                        ;  msbs: dst=0 src0=1 src1=0 src2=0
	s_clause 0x1
	global_load_b32 v32, v[24:25] /*v[280:281]*/, off offset:50
	global_load_b32 v34, v[26:27] /*v[282:283]*/, off offset:46
	s_wait_loadcnt 0x1
	v_and_b32_e32 v228, 0xf0f0f0f, v32
	s_wait_loadcnt 0x0
	s_set_vgpr_msb 0                        ;  msbs: dst=0 src0=0 src1=0 src2=0
	v_dual_ashrrev_i32 v36, v48, v34 :: v_dual_lshrrev_b32 v32, 4, v32
	s_delay_alu instid0(VALU_DEP_1) | instskip(NEXT) | instid1(VALU_DEP_2)
	v_lshlrev_b32_e32 v37, 4, v36
	v_and_b32_e32 v32, 0xf0f0f0f, v32
	s_delay_alu instid0(VALU_DEP_2) | instskip(SKIP_1) | instid1(VALU_DEP_2)
	v_dual_lshlrev_b32 v229, 11, v36 :: v_dual_bitop2_b32 v37, 16, v37 bitop3:0x40
	v_dual_lshlrev_b32 v230, 18, v36 :: v_dual_lshlrev_b32 v36, 25, v36
	v_and_b32_e32 v229, 0x1000, v229
	s_delay_alu instid0(VALU_DEP_2) | instskip(NEXT) | instid1(VALU_DEP_3)
	v_and_b32_e32 v230, 0x100000, v230
	v_and_b32_e32 v36, 0x10000000, v36
	s_delay_alu instid0(VALU_DEP_1) | instskip(NEXT) | instid1(VALU_DEP_1)
	v_or3_b32 v36, v36, v228, v230
	v_or3_b32 v228, v36, v37, v229
	s_set_vgpr_msb 1                        ;  msbs: dst=0 src0=1 src1=0 src2=0
	s_clause 0x1
	global_load_u16 v37, v[26:27] /*v[282:283]*/, off offset:44
	global_load_b32 v36, v[24:25] /*v[280:281]*/, off offset:58
	s_set_vgpr_msb 0                        ;  msbs: dst=0 src0=0 src1=0 src2=0
	v_ashrrev_i32_e32 v229, v247, v34
	s_delay_alu instid0(VALU_DEP_1) | instskip(SKIP_1) | instid1(VALU_DEP_2)
	v_dual_lshlrev_b32 v230, 4, v229 :: v_dual_lshlrev_b32 v231, 11, v229
	v_dual_lshlrev_b32 v232, 18, v229 :: v_dual_lshlrev_b32 v229, 25, v229
	v_and_b32_e32 v230, 16, v230
	s_delay_alu instid0(VALU_DEP_3) | instskip(NEXT) | instid1(VALU_DEP_3)
	v_and_b32_e32 v231, 0x1000, v231
	v_and_b32_e32 v232, 0x100000, v232
	s_delay_alu instid0(VALU_DEP_4) | instskip(NEXT) | instid1(VALU_DEP_1)
	v_and_b32_e32 v229, 0x10000000, v229
	v_or3_b32 v229, v232, v229, v230
	s_wait_loadcnt 0x0
	v_and_b32_e32 v36, 0xf0f0f0f, v36
	s_delay_alu instid0(VALU_DEP_1) | instskip(SKIP_1) | instid1(VALU_DEP_1)
	v_or3_b32 v229, v229, v231, v36
	v_dual_ashrrev_i32 v36, v248, v34 :: v_dual_ashrrev_i32 v34, v251, v34
	v_dual_lshlrev_b32 v230, 4, v36 :: v_dual_lshlrev_b32 v231, 11, v36
	v_dual_lshlrev_b32 v232, 18, v36 :: v_dual_lshlrev_b32 v36, 25, v36
	s_delay_alu instid0(VALU_DEP_2) | instskip(NEXT) | instid1(VALU_DEP_3)
	v_and_b32_e32 v230, 16, v230
	v_and_b32_e32 v231, 0x1000, v231
	s_delay_alu instid0(VALU_DEP_3) | instskip(NEXT) | instid1(VALU_DEP_4)
	v_and_b32_e32 v232, 0x100000, v232
	v_and_b32_e32 v36, 0x10000000, v36
	s_delay_alu instid0(VALU_DEP_1)
	v_or3_b32 v32, v36, v32, v232
	s_set_vgpr_msb 1                        ;  msbs: dst=0 src0=1 src1=0 src2=0
	v_add_nc_u64_e32 v[232:233], v[26:27] /*v[282:283]*/, v[140:141]
	v_lshlrev_b32_e32 v36, 4, v34
	s_set_vgpr_msb 0                        ;  msbs: dst=0 src0=0 src1=0 src2=0
	v_or3_b32 v230, v32, v230, v231
	s_delay_alu instid0(VALU_DEP_2) | instskip(SKIP_4) | instid1(VALU_DEP_2)
	v_dual_lshlrev_b32 v231, 11, v34 :: v_dual_bitop2_b32 v36, 16, v36 bitop3:0x40
	global_load_b32 v32, v[232:233], off offset:50
	s_wait_xcnt 0x0
	v_dual_lshlrev_b32 v232, 18, v34 :: v_dual_lshlrev_b32 v34, 25, v34
	v_and_b32_e32 v231, 0x1000, v231
	v_and_b32_e32 v232, 0x100000, v232
	s_delay_alu instid0(VALU_DEP_3) | instskip(NEXT) | instid1(VALU_DEP_1)
	v_and_b32_e32 v34, 0x10000000, v34
	v_or3_b32 v34, v232, v34, v36
	s_wait_loadcnt 0x0
	v_lshrrev_b32_e32 v32, 4, v32
	s_delay_alu instid0(VALU_DEP_1) | instskip(NEXT) | instid1(VALU_DEP_1)
	v_and_b32_e32 v32, 0xf0f0f0f, v32
	v_or3_b32 v231, v34, v231, v32
	s_set_vgpr_msb 1                        ;  msbs: dst=0 src0=1 src1=0 src2=0
	s_clause 0x1
	global_load_b32 v32, v[24:25] /*v[280:281]*/, off offset:72
	global_load_b32 v34, v[26:27] /*v[282:283]*/, off offset:68
	s_wait_loadcnt 0x1
	v_and_b32_e32 v233, 0xf0f0f0f, v32
	s_wait_loadcnt 0x0
	s_set_vgpr_msb 0                        ;  msbs: dst=0 src0=0 src1=0 src2=0
	v_dual_ashrrev_i32 v36, v48, v34 :: v_dual_lshrrev_b32 v32, 4, v32
	s_delay_alu instid0(VALU_DEP_1) | instskip(NEXT) | instid1(VALU_DEP_2)
	v_lshlrev_b32_e32 v232, 4, v36
	v_and_b32_e32 v32, 0xf0f0f0f, v32
	s_delay_alu instid0(VALU_DEP_2)
	v_and_b32_e32 v232, 16, v232
	s_set_vgpr_msb 64                       ;  msbs: dst=1 src0=0 src1=0 src2=0
	v_dual_lshlrev_b32 v6 /*v262*/, 11, v36 :: v_dual_lshlrev_b32 v7 /*v263*/, 18, v36
	s_set_vgpr_msb 0                        ;  msbs: dst=0 src0=0 src1=0 src2=0
	v_lshlrev_b32_e32 v36, 25, v36
	s_set_vgpr_msb 0x44                     ;  msbs: dst=1 src0=0 src1=1 src2=0
	s_delay_alu instid0(VALU_DEP_2) | instskip(SKIP_3) | instid1(VALU_DEP_1)
	v_and_b32_e32 v6 /*v262*/, 0x1000, v6 /*v262*/
	v_and_b32_e32 v7 /*v263*/, 0x100000, v7 /*v263*/
	s_set_vgpr_msb 16                       ;  msbs: dst=0 src0=0 src1=0 src2=1
	v_and_b32_e32 v36, 0x10000000, v36
	v_or3_b32 v36, v36, v233, v7 /*v263*/
	v_ashrrev_i32_e32 v233, v247, v34
	s_delay_alu instid0(VALU_DEP_2)
	v_or3_b32 v232, v36, v232, v6 /*v262*/
	s_set_vgpr_msb 0x41                     ;  msbs: dst=1 src0=1 src1=0 src2=0
	s_clause 0x2
	global_load_u16 v12 /*v268*/, v[26:27] /*v[282:283]*/, off offset:66
	s_set_vgpr_msb 1                        ;  msbs: dst=0 src0=1 src1=0 src2=0
	global_load_b32 v36, v[24:25] /*v[280:281]*/, off offset:80
	s_set_vgpr_msb 64                       ;  msbs: dst=1 src0=0 src1=0 src2=0
	v_dual_lshlrev_b32 v6 /*v262*/, 4, v233 :: v_dual_lshlrev_b32 v7 /*v263*/, 11, v233
	v_lshlrev_b32_e32 v8 /*v264*/, 18, v233
	s_set_vgpr_msb 0                        ;  msbs: dst=0 src0=0 src1=0 src2=0
	v_lshlrev_b32_e32 v233, 25, v233
	s_set_vgpr_msb 0x44                     ;  msbs: dst=1 src0=0 src1=1 src2=0
	v_and_b32_e32 v6 /*v262*/, 16, v6 /*v262*/
	v_and_b32_e32 v7 /*v263*/, 0x1000, v7 /*v263*/
	;; [unrolled: 1-line block ×3, first 2 shown]
	s_set_vgpr_msb 17                       ;  msbs: dst=0 src0=1 src1=0 src2=1
	v_and_b32_e32 v233, 0x10000000, v233
	s_delay_alu instid0(VALU_DEP_1) | instskip(SKIP_3) | instid1(VALU_DEP_1)
	v_or3_b32 v233, v8 /*v264*/, v233, v6 /*v262*/
	s_wait_loadcnt 0x0
	v_and_b32_e32 v36, 0xf0f0f0f, v36
	s_set_vgpr_msb 4                        ;  msbs: dst=0 src0=0 src1=1 src2=0
	v_or3_b32 v233, v233, v7 /*v263*/, v36
	s_set_vgpr_msb 0                        ;  msbs: dst=0 src0=0 src1=0 src2=0
	v_ashrrev_i32_e32 v36, v248, v34
	v_ashrrev_i32_e32 v34, v252, v34
	s_set_vgpr_msb 64                       ;  msbs: dst=1 src0=0 src1=0 src2=0
	s_delay_alu instid0(VALU_DEP_2)
	v_dual_lshlrev_b32 v6 /*v262*/, 4, v36 :: v_dual_lshlrev_b32 v7 /*v263*/, 11, v36
	v_lshlrev_b32_e32 v8 /*v264*/, 18, v36
	s_set_vgpr_msb 0                        ;  msbs: dst=0 src0=0 src1=0 src2=0
	v_lshlrev_b32_e32 v36, 25, v36
	s_set_vgpr_msb 0x44                     ;  msbs: dst=1 src0=0 src1=1 src2=0
	v_and_b32_e32 v6 /*v262*/, 16, v6 /*v262*/
	v_and_b32_e32 v7 /*v263*/, 0x1000, v7 /*v263*/
	;; [unrolled: 1-line block ×3, first 2 shown]
	s_set_vgpr_msb 16                       ;  msbs: dst=0 src0=0 src1=0 src2=1
	v_and_b32_e32 v36, 0x10000000, v36
	s_delay_alu instid0(VALU_DEP_1)
	v_or3_b32 v32, v36, v32, v8 /*v264*/
	s_set_vgpr_msb 0x41                     ;  msbs: dst=1 src0=1 src1=0 src2=0
	v_add_nc_u64_e32 v[8:9] /*v[264:265]*/, v[26:27] /*v[282:283]*/, v[144:145]
	s_set_vgpr_msb 0                        ;  msbs: dst=0 src0=0 src1=0 src2=0
	v_lshlrev_b32_e32 v36, 4, v34
	s_set_vgpr_msb 0x54                     ;  msbs: dst=1 src0=0 src1=1 src2=1
	v_or3_b32 v6 /*v262*/, v32, v6 /*v262*/, v7 /*v263*/
	s_set_vgpr_msb 64                       ;  msbs: dst=1 src0=0 src1=0 src2=0
	v_lshlrev_b32_e32 v7 /*v263*/, 11, v34
	s_set_vgpr_msb 1                        ;  msbs: dst=0 src0=1 src1=0 src2=0
	v_and_b32_e32 v36, 16, v36
	global_load_b32 v32, v[8:9] /*v[264:265]*/, off offset:72
	s_wait_xcnt 0x0
	s_set_vgpr_msb 64                       ;  msbs: dst=1 src0=0 src1=0 src2=0
	v_lshlrev_b32_e32 v8 /*v264*/, 18, v34
	s_set_vgpr_msb 0                        ;  msbs: dst=0 src0=0 src1=0 src2=0
	v_lshlrev_b32_e32 v34, 25, v34
	s_set_vgpr_msb 0x44                     ;  msbs: dst=1 src0=0 src1=1 src2=0
	v_and_b32_e32 v7 /*v263*/, 0x1000, v7 /*v263*/
	v_and_b32_e32 v8 /*v264*/, 0x100000, v8 /*v264*/
	s_set_vgpr_msb 1                        ;  msbs: dst=0 src0=1 src1=0 src2=0
	v_and_b32_e32 v34, 0x10000000, v34
	s_delay_alu instid0(VALU_DEP_1) | instskip(SKIP_2) | instid1(VALU_DEP_1)
	v_or3_b32 v34, v8 /*v264*/, v34, v36
	s_wait_loadcnt 0x0
	v_lshrrev_b32_e32 v32, 4, v32
	v_and_b32_e32 v32, 0xf0f0f0f, v32
	s_set_vgpr_msb 0x44                     ;  msbs: dst=1 src0=0 src1=1 src2=0
	s_delay_alu instid0(VALU_DEP_1)
	v_or3_b32 v7 /*v263*/, v34, v7 /*v263*/, v32
	s_set_vgpr_msb 1                        ;  msbs: dst=0 src0=1 src1=0 src2=0
	s_clause 0x1
	global_load_b32 v32, v[24:25] /*v[280:281]*/, off offset:94
	global_load_b32 v34, v[26:27] /*v[282:283]*/, off offset:90
	s_wait_loadcnt 0x1
	s_set_vgpr_msb 64                       ;  msbs: dst=1 src0=0 src1=0 src2=0
	v_and_b32_e32 v9 /*v265*/, 0xf0f0f0f, v32
	s_wait_loadcnt 0x0
	s_set_vgpr_msb 0                        ;  msbs: dst=0 src0=0 src1=0 src2=0
	v_dual_ashrrev_i32 v36, v48, v34 :: v_dual_lshrrev_b32 v32, 4, v32
	s_set_vgpr_msb 64                       ;  msbs: dst=1 src0=0 src1=0 src2=0
	s_delay_alu instid0(VALU_DEP_1)
	v_dual_lshlrev_b32 v8 /*v264*/, 4, v36 :: v_dual_lshlrev_b32 v10 /*v266*/, 11, v36
	v_lshlrev_b32_e32 v11 /*v267*/, 18, v36
	s_set_vgpr_msb 0                        ;  msbs: dst=0 src0=0 src1=0 src2=0
	v_lshlrev_b32_e32 v36, 25, v36
	v_and_b32_e32 v32, 0xf0f0f0f, v32
	s_set_vgpr_msb 0x44                     ;  msbs: dst=1 src0=0 src1=1 src2=0
	v_and_b32_e32 v10 /*v266*/, 0x1000, v10 /*v266*/
	v_and_b32_e32 v11 /*v267*/, 0x100000, v11 /*v267*/
	s_set_vgpr_msb 0                        ;  msbs: dst=0 src0=0 src1=0 src2=0
	v_and_b32_e32 v36, 0x10000000, v36
	s_set_vgpr_msb 20                       ;  msbs: dst=0 src0=0 src1=1 src2=1
	s_delay_alu instid0(VALU_DEP_1) | instskip(SKIP_3) | instid1(VALU_DEP_1)
	v_or3_b32 v36, v36, v9 /*v265*/, v11 /*v267*/
	s_set_vgpr_msb 64                       ;  msbs: dst=1 src0=0 src1=0 src2=0
	v_ashrrev_i32_e32 v9 /*v265*/, v247, v34
	s_set_vgpr_msb 0x54                     ;  msbs: dst=1 src0=0 src1=1 src2=1
	v_dual_lshlrev_b32 v13 /*v269*/, 18, v9 /*v265*/ :: v_dual_bitop2_b32 v8 /*v264*/, 16, v8 /*v264*/ bitop3:0x40
	s_delay_alu instid0(VALU_DEP_1)
	v_or3_b32 v8 /*v264*/, v36, v8 /*v264*/, v10 /*v266*/
	s_set_vgpr_msb 0x41                     ;  msbs: dst=1 src0=1 src1=0 src2=0
	s_clause 0x2
	global_load_u16 v22 /*v278*/, v[26:27] /*v[282:283]*/, off offset:88
	s_set_vgpr_msb 1                        ;  msbs: dst=0 src0=1 src1=0 src2=0
	global_load_b32 v36, v[24:25] /*v[280:281]*/, off offset:102
	s_set_vgpr_msb 0x55                     ;  msbs: dst=1 src0=1 src1=1 src2=1
	v_dual_lshlrev_b32 v10 /*v266*/, 4, v9 /*v265*/ :: v_dual_lshlrev_b32 v11 /*v267*/, 11, v9 /*v265*/
	v_lshlrev_b32_e32 v9 /*v265*/, 25, v9 /*v265*/
	v_and_b32_e32 v13 /*v269*/, 0x100000, v13 /*v269*/
	s_delay_alu instid0(VALU_DEP_3) | instskip(NEXT) | instid1(VALU_DEP_4)
	v_and_b32_e32 v10 /*v266*/, 16, v10 /*v266*/
	v_and_b32_e32 v11 /*v267*/, 0x1000, v11 /*v267*/
	s_delay_alu instid0(VALU_DEP_4) | instskip(NEXT) | instid1(VALU_DEP_1)
	v_and_b32_e32 v9 /*v265*/, 0x10000000, v9 /*v265*/
	v_or3_b32 v9 /*v265*/, v13 /*v269*/, v9 /*v265*/, v10 /*v266*/
	s_wait_loadcnt 0x0
	s_set_vgpr_msb 0                        ;  msbs: dst=0 src0=0 src1=0 src2=0
	v_and_b32_e32 v36, 0xf0f0f0f, v36
	s_set_vgpr_msb 0x45                     ;  msbs: dst=1 src0=1 src1=1 src2=0
	s_delay_alu instid0(VALU_DEP_1) | instskip(SKIP_3) | instid1(VALU_DEP_1)
	v_or3_b32 v9 /*v265*/, v9 /*v265*/, v11 /*v267*/, v36
	s_set_vgpr_msb 0                        ;  msbs: dst=0 src0=0 src1=0 src2=0
	v_dual_ashrrev_i32 v36, v248, v34 :: v_dual_ashrrev_i32 v34, v253, v34
	s_set_vgpr_msb 64                       ;  msbs: dst=1 src0=0 src1=0 src2=0
	v_dual_lshlrev_b32 v10 /*v266*/, 4, v36 :: v_dual_lshlrev_b32 v11 /*v267*/, 11, v36
	v_lshlrev_b32_e32 v13 /*v269*/, 18, v36
	s_set_vgpr_msb 0                        ;  msbs: dst=0 src0=0 src1=0 src2=0
	v_lshlrev_b32_e32 v36, 25, v36
	s_set_vgpr_msb 0x44                     ;  msbs: dst=1 src0=0 src1=1 src2=0
	v_and_b32_e32 v10 /*v266*/, 16, v10 /*v266*/
	v_and_b32_e32 v11 /*v267*/, 0x1000, v11 /*v267*/
	;; [unrolled: 1-line block ×3, first 2 shown]
	s_set_vgpr_msb 16                       ;  msbs: dst=0 src0=0 src1=0 src2=1
	v_and_b32_e32 v36, 0x10000000, v36
	s_delay_alu instid0(VALU_DEP_1)
	v_or3_b32 v32, v36, v32, v13 /*v269*/
	v_lshlrev_b32_e32 v36, 4, v34
	s_set_vgpr_msb 64                       ;  msbs: dst=1 src0=0 src1=0 src2=0
	v_lshlrev_b32_e32 v13 /*v269*/, 18, v34
	s_set_vgpr_msb 0x54                     ;  msbs: dst=1 src0=0 src1=1 src2=1
	v_or3_b32 v10 /*v266*/, v32, v10 /*v266*/, v11 /*v267*/
	s_set_vgpr_msb 1                        ;  msbs: dst=0 src0=1 src1=0 src2=0
	global_load_b32 v32, v[14:15] /*v[270:271]*/, off offset:94
	s_set_vgpr_msb 64                       ;  msbs: dst=1 src0=0 src1=0 src2=0
	v_lshlrev_b32_e32 v11 /*v267*/, 11, v34
	s_set_vgpr_msb 0                        ;  msbs: dst=0 src0=0 src1=0 src2=0
	v_dual_lshlrev_b32 v34, 25, v34 :: v_dual_bitop2_b32 v36, 16, v36 bitop3:0x40
	s_set_vgpr_msb 0x44                     ;  msbs: dst=1 src0=0 src1=1 src2=0
	v_and_b32_e32 v13 /*v269*/, 0x100000, v13 /*v269*/
	v_and_b32_e32 v11 /*v267*/, 0x1000, v11 /*v267*/
	s_set_vgpr_msb 1                        ;  msbs: dst=0 src0=1 src1=0 src2=0
	v_and_b32_e32 v34, 0x10000000, v34
	s_delay_alu instid0(VALU_DEP_1) | instskip(SKIP_2) | instid1(VALU_DEP_1)
	v_or3_b32 v34, v13 /*v269*/, v34, v36
	s_wait_loadcnt 0x0
	v_lshrrev_b32_e32 v32, 4, v32
	v_and_b32_e32 v32, 0xf0f0f0f, v32
	s_set_vgpr_msb 0x44                     ;  msbs: dst=1 src0=0 src1=1 src2=0
	s_delay_alu instid0(VALU_DEP_1)
	v_or3_b32 v11 /*v267*/, v34, v11 /*v267*/, v32
	s_set_vgpr_msb 1                        ;  msbs: dst=0 src0=1 src1=0 src2=0
	s_clause 0x3
	global_load_b32 v34, v[24:25] /*v[280:281]*/, off offset:116
	global_load_b32 v36, v[26:27] /*v[282:283]*/, off offset:112
	s_set_vgpr_msb 0x41                     ;  msbs: dst=1 src0=1 src1=0 src2=0
	global_load_u16 v28 /*v284*/, v[26:27] /*v[282:283]*/, off offset:110
	s_wait_loadcnt 0x2
	v_and_b32_e32 v14 /*v270*/, 0xf0f0f0f, v34
	s_wait_loadcnt 0x1
	s_set_vgpr_msb 0                        ;  msbs: dst=0 src0=0 src1=0 src2=0
	v_dual_ashrrev_i32 v32, v48, v36 :: v_dual_lshrrev_b32 v34, 4, v34
	s_set_vgpr_msb 64                       ;  msbs: dst=1 src0=0 src1=0 src2=0
	s_delay_alu instid0(VALU_DEP_1)
	v_dual_lshlrev_b32 v13 /*v269*/, 4, v32 :: v_dual_lshlrev_b32 v16 /*v272*/, 18, v32
	v_lshlrev_b32_e32 v15 /*v271*/, 11, v32
	s_set_vgpr_msb 0                        ;  msbs: dst=0 src0=0 src1=0 src2=0
	v_lshlrev_b32_e32 v32, 25, v32
	v_and_b32_e32 v34, 0xf0f0f0f, v34
	s_set_vgpr_msb 0x44                     ;  msbs: dst=1 src0=0 src1=1 src2=0
	v_and_b32_e32 v13 /*v269*/, 16, v13 /*v269*/
	v_and_b32_e32 v16 /*v272*/, 0x100000, v16 /*v272*/
	;; [unrolled: 1-line block ×3, first 2 shown]
	s_set_vgpr_msb 0                        ;  msbs: dst=0 src0=0 src1=0 src2=0
	v_and_b32_e32 v32, 0x10000000, v32
	s_set_vgpr_msb 20                       ;  msbs: dst=0 src0=0 src1=1 src2=1
	s_delay_alu instid0(VALU_DEP_1)
	v_or3_b32 v32, v32, v14 /*v270*/, v16 /*v272*/
	s_set_vgpr_msb 0x41                     ;  msbs: dst=1 src0=1 src1=0 src2=0
	global_load_b32 v14 /*v270*/, v[24:25] /*v[280:281]*/, off offset:124
	s_set_vgpr_msb 0x54                     ;  msbs: dst=1 src0=0 src1=1 src2=1
	v_or3_b32 v13 /*v269*/, v32, v13 /*v269*/, v15 /*v271*/
	s_set_vgpr_msb 64                       ;  msbs: dst=1 src0=0 src1=0 src2=0
	v_ashrrev_i32_e32 v15 /*v271*/, v247, v36
	s_set_vgpr_msb 0x55                     ;  msbs: dst=1 src0=1 src1=1 src2=1
	s_delay_alu instid0(VALU_DEP_1) | instskip(SKIP_1) | instid1(VALU_DEP_2)
	v_dual_lshlrev_b32 v16 /*v272*/, 4, v15 /*v271*/ :: v_dual_lshlrev_b32 v17 /*v273*/, 11, v15 /*v271*/
	v_dual_lshlrev_b32 v18 /*v274*/, 18, v15 /*v271*/ :: v_dual_lshlrev_b32 v15 /*v271*/, 25, v15 /*v271*/
	v_and_b32_e32 v16 /*v272*/, 16, v16 /*v272*/
	s_delay_alu instid0(VALU_DEP_3) | instskip(NEXT) | instid1(VALU_DEP_3)
	v_and_b32_e32 v17 /*v273*/, 0x1000, v17 /*v273*/
	v_and_b32_e32 v18 /*v274*/, 0x100000, v18 /*v274*/
	s_delay_alu instid0(VALU_DEP_4) | instskip(NEXT) | instid1(VALU_DEP_1)
	v_and_b32_e32 v15 /*v271*/, 0x10000000, v15 /*v271*/
	v_or3_b32 v15 /*v271*/, v18 /*v274*/, v15 /*v271*/, v16 /*v272*/
	s_wait_loadcnt 0x0
	v_and_b32_e32 v14 /*v270*/, 0xf0f0f0f, v14 /*v270*/
	s_delay_alu instid0(VALU_DEP_1)
	v_or3_b32 v14 /*v270*/, v15 /*v271*/, v17 /*v273*/, v14 /*v270*/
	s_set_vgpr_msb 64                       ;  msbs: dst=1 src0=0 src1=0 src2=0
	v_ashrrev_i32_e32 v15 /*v271*/, v248, v36
	s_set_vgpr_msb 0                        ;  msbs: dst=0 src0=0 src1=0 src2=0
	v_ashrrev_i32_e32 v36, v255, v36
	s_set_vgpr_msb 0x44                     ;  msbs: dst=1 src0=0 src1=1 src2=0
	s_delay_alu instid0(VALU_DEP_2) | instskip(SKIP_1) | instid1(VALU_DEP_2)
	v_dual_lshlrev_b32 v16 /*v272*/, 4, v15 /*v271*/ :: v_dual_lshlrev_b32 v17 /*v273*/, 11, v15 /*v271*/
	v_dual_lshlrev_b32 v18 /*v274*/, 18, v15 /*v271*/ :: v_dual_lshlrev_b32 v15 /*v271*/, 25, v15 /*v271*/
	v_and_b32_e32 v16 /*v272*/, 16, v16 /*v272*/
	s_delay_alu instid0(VALU_DEP_3) | instskip(NEXT) | instid1(VALU_DEP_3)
	v_and_b32_e32 v17 /*v273*/, 0x1000, v17 /*v273*/
	v_and_b32_e32 v18 /*v274*/, 0x100000, v18 /*v274*/
	s_delay_alu instid0(VALU_DEP_4) | instskip(SKIP_1) | instid1(VALU_DEP_1)
	v_and_b32_e32 v15 /*v271*/, 0x10000000, v15 /*v271*/
	s_set_vgpr_msb 17                       ;  msbs: dst=0 src0=1 src1=0 src2=1
	v_or3_b32 v34, v15 /*v271*/, v34, v18 /*v274*/
	s_set_vgpr_msb 64                       ;  msbs: dst=1 src0=0 src1=0 src2=0
	v_lshlrev_b32_e32 v18 /*v274*/, 18, v36
	s_set_vgpr_msb 0x54                     ;  msbs: dst=1 src0=0 src1=1 src2=1
	s_delay_alu instid0(VALU_DEP_2)
	v_or3_b32 v15 /*v271*/, v34, v16 /*v272*/, v17 /*v273*/
	s_set_vgpr_msb 0x41                     ;  msbs: dst=1 src0=1 src1=0 src2=0
	v_add_nc_u64_e32 v[16:17] /*v[272:273]*/, v[26:27] /*v[282:283]*/, v[150:151]
	s_set_vgpr_msb 0x44                     ;  msbs: dst=1 src0=0 src1=1 src2=0
	v_and_b32_e32 v18 /*v274*/, 0x100000, v18 /*v274*/
	s_set_vgpr_msb 1                        ;  msbs: dst=0 src0=1 src1=0 src2=0
	global_load_b32 v34, v[16:17] /*v[272:273]*/, off offset:116
	s_wait_xcnt 0x0
	s_set_vgpr_msb 64                       ;  msbs: dst=1 src0=0 src1=0 src2=0
	v_dual_lshlrev_b32 v16 /*v272*/, 4, v36 :: v_dual_lshlrev_b32 v17 /*v273*/, 11, v36
	s_set_vgpr_msb 1                        ;  msbs: dst=0 src0=1 src1=0 src2=0
	v_lshlrev_b32_e32 v36, 25, v36
	v_cvt_f32_f16_e64 v32, v28 /*v284*/
	s_set_vgpr_msb 0x44                     ;  msbs: dst=1 src0=0 src1=1 src2=0
	v_and_b32_e32 v16 /*v272*/, 16, v16 /*v272*/
	v_and_b32_e32 v17 /*v273*/, 0x1000, v17 /*v273*/
	s_set_vgpr_msb 17                       ;  msbs: dst=0 src0=1 src1=0 src2=1
	v_and_b32_e32 v36, 0x10000000, v36
	s_delay_alu instid0(VALU_DEP_1) | instskip(SKIP_2) | instid1(VALU_DEP_1)
	v_or3_b32 v36, v18 /*v274*/, v36, v16 /*v272*/
	s_wait_loadcnt 0x0
	v_lshrrev_b32_e32 v34, 4, v34
	v_and_b32_e32 v34, 0xf0f0f0f, v34
	s_set_vgpr_msb 0x44                     ;  msbs: dst=1 src0=0 src1=1 src2=0
	s_delay_alu instid0(VALU_DEP_1)
	v_or3_b32 v17 /*v273*/, v36, v17 /*v273*/, v34
	s_set_vgpr_msb 1                        ;  msbs: dst=0 src0=1 src1=0 src2=0
	s_clause 0x2
	global_load_b32 v36, v[24:25] /*v[280:281]*/, off offset:138
	s_set_vgpr_msb 0x41                     ;  msbs: dst=1 src0=1 src1=0 src2=0
	global_load_b32 v23 /*v279*/, v[26:27] /*v[282:283]*/, off offset:134
	s_wait_loadcnt 0x1
	v_and_b32_e32 v18 /*v274*/, 0xf0f0f0f, v36
	s_wait_loadcnt 0x0
	s_set_vgpr_msb 4                        ;  msbs: dst=0 src0=0 src1=1 src2=0
	v_ashrrev_i32_e32 v34, v48, v23 /*v279*/
	s_set_vgpr_msb 0                        ;  msbs: dst=0 src0=0 src1=0 src2=0
	v_lshrrev_b32_e32 v36, 4, v36
	s_set_vgpr_msb 64                       ;  msbs: dst=1 src0=0 src1=0 src2=0
	s_delay_alu instid0(VALU_DEP_2)
	v_dual_lshlrev_b32 v16 /*v272*/, 4, v34 :: v_dual_lshlrev_b32 v19 /*v275*/, 11, v34
	v_lshlrev_b32_e32 v20 /*v276*/, 18, v34
	s_set_vgpr_msb 0                        ;  msbs: dst=0 src0=0 src1=0 src2=0
	v_lshlrev_b32_e32 v34, 25, v34
	v_and_b32_e32 v36, 0xf0f0f0f, v36
	s_set_vgpr_msb 0x44                     ;  msbs: dst=1 src0=0 src1=1 src2=0
	v_and_b32_e32 v16 /*v272*/, 16, v16 /*v272*/
	v_and_b32_e32 v19 /*v275*/, 0x1000, v19 /*v275*/
	;; [unrolled: 1-line block ×3, first 2 shown]
	s_set_vgpr_msb 0                        ;  msbs: dst=0 src0=0 src1=0 src2=0
	v_and_b32_e32 v34, 0x10000000, v34
	s_set_vgpr_msb 20                       ;  msbs: dst=0 src0=0 src1=1 src2=1
	s_delay_alu instid0(VALU_DEP_1)
	v_or3_b32 v34, v34, v18 /*v274*/, v20 /*v276*/
	s_set_vgpr_msb 0x41                     ;  msbs: dst=1 src0=1 src1=0 src2=0
	global_load_b32 v18 /*v274*/, v[24:25] /*v[280:281]*/, off offset:146
	s_set_vgpr_msb 0x54                     ;  msbs: dst=1 src0=0 src1=1 src2=1
	v_or3_b32 v16 /*v272*/, v34, v16 /*v272*/, v19 /*v275*/
	v_ashrrev_i32_e32 v19 /*v275*/, v247, v23 /*v279*/
	s_set_vgpr_msb 1                        ;  msbs: dst=0 src0=1 src1=0 src2=0
	global_load_u16 v34, v[26:27] /*v[282:283]*/, off offset:132
	s_set_vgpr_msb 0x55                     ;  msbs: dst=1 src0=1 src1=1 src2=1
	v_dual_lshlrev_b32 v20 /*v276*/, 4, v19 /*v275*/ :: v_dual_lshlrev_b32 v21 /*v277*/, 11, v19 /*v275*/
	v_dual_lshlrev_b32 v29 /*v285*/, 18, v19 /*v275*/ :: v_dual_lshlrev_b32 v19 /*v275*/, 25, v19 /*v275*/
	s_delay_alu instid0(VALU_DEP_2) | instskip(NEXT) | instid1(VALU_DEP_3)
	v_and_b32_e32 v20 /*v276*/, 16, v20 /*v276*/
	v_and_b32_e32 v21 /*v277*/, 0x1000, v21 /*v277*/
	s_delay_alu instid0(VALU_DEP_3) | instskip(NEXT) | instid1(VALU_DEP_4)
	v_and_b32_e32 v29 /*v285*/, 0x100000, v29 /*v285*/
	v_and_b32_e32 v19 /*v275*/, 0x10000000, v19 /*v275*/
	s_delay_alu instid0(VALU_DEP_1) | instskip(SKIP_2) | instid1(VALU_DEP_1)
	v_or3_b32 v19 /*v275*/, v29 /*v285*/, v19 /*v275*/, v20 /*v276*/
	s_wait_loadcnt 0x1
	v_and_b32_e32 v18 /*v274*/, 0xf0f0f0f, v18 /*v274*/
	v_or3_b32 v19 /*v275*/, v19 /*v275*/, v21 /*v277*/, v18 /*v274*/
	s_set_vgpr_msb 0x44                     ;  msbs: dst=1 src0=0 src1=1 src2=0
	v_ashrrev_i32_e32 v18 /*v274*/, v248, v23 /*v279*/
	s_delay_alu instid0(VALU_DEP_1) | instskip(NEXT) | instid1(VALU_DEP_1)
	v_lshlrev_b32_e32 v20 /*v276*/, 4, v18 /*v274*/
	v_dual_lshlrev_b32 v21 /*v277*/, 11, v18 /*v274*/ :: v_dual_bitop2_b32 v20 /*v276*/, 16, v20 /*v276*/ bitop3:0x40
	v_dual_lshlrev_b32 v29 /*v285*/, 18, v18 /*v274*/ :: v_dual_lshlrev_b32 v18 /*v274*/, 25, v18 /*v274*/
	s_delay_alu instid0(VALU_DEP_2) | instskip(NEXT) | instid1(VALU_DEP_2)
	v_and_b32_e32 v21 /*v277*/, 0x1000, v21 /*v277*/
	v_and_b32_e32 v29 /*v285*/, 0x100000, v29 /*v285*/
	s_delay_alu instid0(VALU_DEP_3) | instskip(SKIP_1) | instid1(VALU_DEP_1)
	v_and_b32_e32 v18 /*v274*/, 0x10000000, v18 /*v274*/
	s_set_vgpr_msb 17                       ;  msbs: dst=0 src0=1 src1=0 src2=1
	v_or3_b32 v36, v18 /*v274*/, v36, v29 /*v285*/
	s_set_vgpr_msb 0x54                     ;  msbs: dst=1 src0=0 src1=1 src2=1
	s_delay_alu instid0(VALU_DEP_1)
	v_or3_b32 v18 /*v274*/, v36, v20 /*v276*/, v21 /*v277*/
	s_set_vgpr_msb 0x41                     ;  msbs: dst=1 src0=1 src1=0 src2=0
	v_add_nc_u64_e32 v[20:21] /*v[276:277]*/, v[26:27] /*v[282:283]*/, v[154:155]
	s_set_vgpr_msb 1                        ;  msbs: dst=0 src0=1 src1=0 src2=0
	global_load_b32 v36, v[20:21] /*v[276:277]*/, off offset:138
	s_wait_xcnt 0x0
	s_set_vgpr_msb 0x45                     ;  msbs: dst=1 src0=1 src1=1 src2=0
	v_ashrrev_i32_e32 v20 /*v276*/, v0 /*v256*/, v23 /*v279*/
	s_wait_loadcnt 0x1
	s_set_vgpr_msb 0                        ;  msbs: dst=0 src0=0 src1=0 src2=0
	v_cvt_f32_f16_e32 v34, v34
	s_set_vgpr_msb 0x55                     ;  msbs: dst=1 src0=1 src1=1 src2=1
	v_lshlrev_b32_e32 v21 /*v277*/, 4, v20 /*v276*/
	s_delay_alu instid0(VALU_DEP_1) | instskip(SKIP_1) | instid1(VALU_DEP_2)
	v_dual_lshlrev_b32 v23 /*v279*/, 11, v20 /*v276*/ :: v_dual_bitop2_b32 v21 /*v277*/, 16, v21 /*v277*/ bitop3:0x40
	v_dual_lshlrev_b32 v29 /*v285*/, 18, v20 /*v276*/ :: v_dual_lshlrev_b32 v20 /*v276*/, 25, v20 /*v276*/
	v_and_b32_e32 v23 /*v279*/, 0x1000, v23 /*v279*/
	s_delay_alu instid0(VALU_DEP_2) | instskip(NEXT) | instid1(VALU_DEP_3)
	v_and_b32_e32 v29 /*v285*/, 0x100000, v29 /*v285*/
	v_and_b32_e32 v20 /*v276*/, 0x10000000, v20 /*v276*/
	s_delay_alu instid0(VALU_DEP_1) | instskip(SKIP_3) | instid1(VALU_DEP_1)
	v_or3_b32 v20 /*v276*/, v29 /*v285*/, v20 /*v276*/, v21 /*v277*/
	s_wait_loadcnt 0x0
	s_set_vgpr_msb 0                        ;  msbs: dst=0 src0=0 src1=0 src2=0
	v_lshrrev_b32_e32 v36, 4, v36
	v_and_b32_e32 v36, 0xf0f0f0f, v36
	s_set_vgpr_msb 0x45                     ;  msbs: dst=1 src0=1 src1=1 src2=0
	s_delay_alu instid0(VALU_DEP_1)
	v_or3_b32 v21 /*v277*/, v20 /*v276*/, v23 /*v279*/, v36
	s_clause 0x2
	global_load_b32 v23 /*v279*/, v[24:25] /*v[280:281]*/, off offset:160
	global_load_b32 v29 /*v285*/, v[26:27] /*v[282:283]*/, off offset:156
	;; [unrolled: 1-line block ×3, first 2 shown]
	s_wait_loadcnt 0x2
	v_and_b32_e32 v30 /*v286*/, 0xf0f0f0f, v23 /*v279*/
	s_wait_loadcnt 0x1
	s_set_vgpr_msb 4                        ;  msbs: dst=0 src0=0 src1=1 src2=0
	v_ashrrev_i32_e32 v36, v48, v29 /*v285*/
	s_wait_xcnt 0x0
	s_set_vgpr_msb 0x44                     ;  msbs: dst=1 src0=0 src1=1 src2=0
	v_dual_ashrrev_i32 v25 /*v281*/, v247, v29 /*v285*/ :: v_dual_lshrrev_b32 v23 /*v279*/, 4, v23 /*v279*/
	s_wait_loadcnt 0x0
	v_and_b32_e32 v24 /*v280*/, 0xf0f0f0f, v24 /*v280*/
	s_set_vgpr_msb 64                       ;  msbs: dst=1 src0=0 src1=0 src2=0
	v_dual_lshlrev_b32 v20 /*v276*/, 4, v36 :: v_dual_lshlrev_b32 v31 /*v287*/, 11, v36
	v_lshlrev_b32_e32 v32 /*v288*/, 18, v36
	s_set_vgpr_msb 0                        ;  msbs: dst=0 src0=0 src1=0 src2=0
	v_lshlrev_b32_e32 v36, 25, v36
	s_set_vgpr_msb 0x44                     ;  msbs: dst=1 src0=0 src1=1 src2=0
	v_and_b32_e32 v23 /*v279*/, 0xf0f0f0f, v23 /*v279*/
	v_and_b32_e32 v20 /*v276*/, 16, v20 /*v276*/
	;; [unrolled: 1-line block ×4, first 2 shown]
	s_set_vgpr_msb 0                        ;  msbs: dst=0 src0=0 src1=0 src2=0
	v_and_b32_e32 v36, 0x10000000, v36
	s_set_vgpr_msb 20                       ;  msbs: dst=0 src0=0 src1=1 src2=1
	s_delay_alu instid0(VALU_DEP_1) | instskip(SKIP_2) | instid1(VALU_DEP_2)
	v_or3_b32 v36, v36, v30 /*v286*/, v32 /*v288*/
	s_set_vgpr_msb 0x54                     ;  msbs: dst=1 src0=0 src1=1 src2=1
	v_dual_lshlrev_b32 v30 /*v286*/, 4, v25 /*v281*/ :: v_dual_lshlrev_b32 v32 /*v288*/, 18, v25 /*v281*/
	v_or3_b32 v20 /*v276*/, v36, v20 /*v276*/, v31 /*v287*/
	s_set_vgpr_msb 1                        ;  msbs: dst=0 src0=1 src1=0 src2=0
	global_load_u16 v36, v[26:27] /*v[282:283]*/, off offset:154
	s_set_vgpr_msb 0x44                     ;  msbs: dst=1 src0=0 src1=1 src2=0
	v_dual_lshlrev_b32 v31 /*v287*/, 11, v25 /*v281*/ :: v_dual_bitop2_b32 v30 /*v286*/, 16, v30 /*v286*/ bitop3:0x40
	v_lshlrev_b32_e32 v25 /*v281*/, 25, v25 /*v281*/
	v_and_b32_e32 v32 /*v288*/, 0x100000, v32 /*v288*/
	s_wait_xcnt 0x0
	s_set_vgpr_msb 0x41                     ;  msbs: dst=1 src0=1 src1=0 src2=0
	v_add_nc_u64_e32 v[26:27] /*v[282:283]*/, v[26:27] /*v[282:283]*/, v[158:159]
	s_set_vgpr_msb 0x55                     ;  msbs: dst=1 src0=1 src1=1 src2=1
	v_and_b32_e32 v31 /*v287*/, 0x1000, v31 /*v287*/
	v_and_b32_e32 v25 /*v281*/, 0x10000000, v25 /*v281*/
	s_delay_alu instid0(VALU_DEP_1) | instskip(NEXT) | instid1(VALU_DEP_1)
	v_or3_b32 v25 /*v281*/, v32 /*v288*/, v25 /*v281*/, v30 /*v286*/
	v_or3_b32 v24 /*v280*/, v25 /*v281*/, v31 /*v287*/, v24 /*v280*/
	s_set_vgpr_msb 0x44                     ;  msbs: dst=1 src0=0 src1=1 src2=0
	v_ashrrev_i32_e32 v25 /*v281*/, v248, v29 /*v285*/
	s_delay_alu instid0(VALU_DEP_1) | instskip(NEXT) | instid1(VALU_DEP_1)
	v_lshlrev_b32_e32 v30 /*v286*/, 4, v25 /*v281*/
	v_dual_lshlrev_b32 v31 /*v287*/, 11, v25 /*v281*/ :: v_dual_bitop2_b32 v30 /*v286*/, 16, v30 /*v286*/ bitop3:0x40
	v_dual_lshlrev_b32 v32 /*v288*/, 18, v25 /*v281*/ :: v_dual_lshlrev_b32 v25 /*v281*/, 25, v25 /*v281*/
	s_delay_alu instid0(VALU_DEP_2) | instskip(NEXT) | instid1(VALU_DEP_2)
	v_and_b32_e32 v31 /*v287*/, 0x1000, v31 /*v287*/
	v_and_b32_e32 v32 /*v288*/, 0x100000, v32 /*v288*/
	s_delay_alu instid0(VALU_DEP_3) | instskip(SKIP_1) | instid1(VALU_DEP_1)
	v_and_b32_e32 v25 /*v281*/, 0x10000000, v25 /*v281*/
	s_set_vgpr_msb 0x55                     ;  msbs: dst=1 src0=1 src1=1 src2=1
	v_or3_b32 v23 /*v279*/, v25 /*v281*/, v23 /*v279*/, v32 /*v288*/
	global_load_b32 v25 /*v281*/, v[26:27] /*v[282:283]*/, off offset:160
	s_wait_xcnt 0x0
	v_ashrrev_i32_e32 v26 /*v282*/, v1 /*v257*/, v29 /*v285*/
	v_or3_b32 v23 /*v279*/, v23 /*v279*/, v30 /*v286*/, v31 /*v287*/
                                        ; implicit-def: $vgpr287
	s_delay_alu instid0(VALU_DEP_2) | instskip(NEXT) | instid1(VALU_DEP_1)
	v_lshlrev_b32_e32 v27 /*v283*/, 4, v26 /*v282*/
	v_dual_lshlrev_b32 v29 /*v285*/, 11, v26 /*v282*/ :: v_dual_bitop2_b32 v27 /*v283*/, 16, v27 /*v283*/ bitop3:0x40
	v_dual_lshlrev_b32 v30 /*v286*/, 18, v26 /*v282*/ :: v_dual_lshlrev_b32 v26 /*v282*/, 25, v26 /*v282*/
	s_delay_alu instid0(VALU_DEP_2) | instskip(NEXT) | instid1(VALU_DEP_2)
	v_and_b32_e32 v29 /*v285*/, 0x1000, v29 /*v285*/
	v_and_b32_e32 v30 /*v286*/, 0x100000, v30 /*v286*/
	s_delay_alu instid0(VALU_DEP_3) | instskip(NEXT) | instid1(VALU_DEP_1)
	v_and_b32_e32 v26 /*v282*/, 0x10000000, v26 /*v282*/
	v_or3_b32 v26 /*v282*/, v30 /*v286*/, v26 /*v282*/, v27 /*v283*/
	s_set_vgpr_msb 64                       ;  msbs: dst=1 src0=0 src1=0 src2=0
	v_dot4_i32_iu8 v27 /*v283*/, v43, v53, 0 neg_lo:[1,1,0]
	s_set_vgpr_msb 0x41                     ;  msbs: dst=1 src0=1 src1=0 src2=0
	s_delay_alu instid0(VALU_DEP_1) | instskip(SKIP_1) | instid1(VALU_DEP_1)
	v_cvt_f32_i32_e32 v27 /*v283*/, v27 /*v283*/
	s_set_vgpr_msb 0x44                     ;  msbs: dst=1 src0=0 src1=1 src2=0
	v_fma_f32 v27 /*v283*/, v0, v27 /*v283*/, -v1
	s_wait_loadcnt 0x1
	s_set_vgpr_msb 0                        ;  msbs: dst=0 src0=0 src1=0 src2=0
	v_cvt_f32_f16_e32 v36, v36
	s_wait_loadcnt 0x0
	s_set_vgpr_msb 0x55                     ;  msbs: dst=1 src0=1 src1=1 src2=1
	v_lshrrev_b32_e32 v25 /*v281*/, 4, v25 /*v281*/
	s_delay_alu instid0(VALU_DEP_1) | instskip(NEXT) | instid1(VALU_DEP_1)
	v_and_b32_e32 v25 /*v281*/, 0xf0f0f0f, v25 /*v281*/
	v_or3_b32 v25 /*v281*/, v26 /*v282*/, v29 /*v285*/, v25 /*v281*/
	s_set_vgpr_msb 64                       ;  msbs: dst=1 src0=0 src1=0 src2=0
	v_dot4_i32_iu8 v26 /*v282*/, v42, v52, 0 neg_lo:[1,1,0]
	s_set_vgpr_msb 0x41                     ;  msbs: dst=1 src0=1 src1=0 src2=0
	s_delay_alu instid0(VALU_DEP_1) | instskip(SKIP_1) | instid1(VALU_DEP_1)
	v_cvt_f32_i32_e32 v26 /*v282*/, v26 /*v282*/
	s_set_vgpr_msb 0x44                     ;  msbs: dst=1 src0=0 src1=1 src2=0
	v_fma_f32 v26 /*v282*/, v0, v26 /*v282*/, -v1
	s_set_vgpr_msb 0x51                     ;  msbs: dst=1 src0=1 src1=0 src2=1
	s_delay_alu instid0(VALU_DEP_1) | instskip(NEXT) | instid1(VALU_DEP_1)
	v_fma_mix_f32 v26 /*v282*/, v26 /*v282*/, v33, 0 op_sel_hi:[0,1,0]
	v_fma_mix_f32 v26 /*v282*/, v27 /*v283*/, v33, v26 /*v282*/ op_sel_hi:[0,1,0]
	s_set_vgpr_msb 64                       ;  msbs: dst=1 src0=0 src1=0 src2=0
	v_dot4_i32_iu8 v27 /*v283*/, v44, v54, 0 neg_lo:[1,1,0]
	s_set_vgpr_msb 0x41                     ;  msbs: dst=1 src0=1 src1=0 src2=0
	s_delay_alu instid0(VALU_DEP_1) | instskip(SKIP_1) | instid1(VALU_DEP_1)
	v_cvt_f32_i32_e32 v27 /*v283*/, v27 /*v283*/
	s_set_vgpr_msb 0x44                     ;  msbs: dst=1 src0=0 src1=1 src2=0
	v_fma_f32 v27 /*v283*/, v0, v27 /*v283*/, -v1
	s_set_vgpr_msb 0x51                     ;  msbs: dst=1 src0=1 src1=0 src2=1
	s_delay_alu instid0(VALU_DEP_1) | instskip(SKIP_3) | instid1(VALU_DEP_1)
	v_fma_mix_f32 v26 /*v282*/, v27 /*v283*/, v33, v26 /*v282*/ op_sel_hi:[0,1,0]
	s_set_vgpr_msb 64                       ;  msbs: dst=1 src0=0 src1=0 src2=0
	v_dot4_i32_iu8 v27 /*v283*/, v45, v55, 0 neg_lo:[1,1,0]
	s_set_vgpr_msb 0x41                     ;  msbs: dst=1 src0=1 src1=0 src2=0
	v_cvt_f32_i32_e32 v27 /*v283*/, v27 /*v283*/
	s_set_vgpr_msb 0x44                     ;  msbs: dst=1 src0=0 src1=1 src2=0
	s_delay_alu instid0(VALU_DEP_1) | instskip(SKIP_1) | instid1(VALU_DEP_1)
	v_fma_f32 v27 /*v283*/, v0, v27 /*v283*/, -v1
	s_set_vgpr_msb 0x51                     ;  msbs: dst=1 src0=1 src1=0 src2=1
	v_fma_mix_f32 v26 /*v282*/, v27 /*v283*/, v33, v26 /*v282*/ op_sel_hi:[0,1,0]
	s_set_vgpr_msb 64                       ;  msbs: dst=1 src0=0 src1=0 src2=0
	v_dot4_i32_iu8 v27 /*v283*/, v46, v56, 0 neg_lo:[1,1,0]
	s_set_vgpr_msb 0x41                     ;  msbs: dst=1 src0=1 src1=0 src2=0
	s_delay_alu instid0(VALU_DEP_1) | instskip(SKIP_1) | instid1(VALU_DEP_1)
	v_cvt_f32_i32_e32 v27 /*v283*/, v27 /*v283*/
	s_set_vgpr_msb 0x44                     ;  msbs: dst=1 src0=0 src1=1 src2=0
	v_fma_f32 v27 /*v283*/, v2, v27 /*v283*/, -v3
	s_set_vgpr_msb 0x51                     ;  msbs: dst=1 src0=1 src1=0 src2=1
	s_delay_alu instid0(VALU_DEP_1) | instskip(SKIP_3) | instid1(VALU_DEP_1)
	v_fma_mix_f32 v26 /*v282*/, v27 /*v283*/, v35, v26 /*v282*/ op_sel_hi:[0,1,0]
	s_set_vgpr_msb 64                       ;  msbs: dst=1 src0=0 src1=0 src2=0
	v_dot4_i32_iu8 v27 /*v283*/, v47, v57, 0 neg_lo:[1,1,0]
	s_set_vgpr_msb 0x41                     ;  msbs: dst=1 src0=1 src1=0 src2=0
	v_cvt_f32_i32_e32 v27 /*v283*/, v27 /*v283*/
	s_set_vgpr_msb 0x44                     ;  msbs: dst=1 src0=0 src1=1 src2=0
	s_delay_alu instid0(VALU_DEP_1) | instskip(SKIP_1) | instid1(VALU_DEP_1)
	v_fma_f32 v27 /*v283*/, v2, v27 /*v283*/, -v3
	s_set_vgpr_msb 0x51                     ;  msbs: dst=1 src0=1 src1=0 src2=1
	;; [unrolled: 19-line block ×5, first 2 shown]
	v_fma_mix_f32 v26 /*v282*/, v27 /*v283*/, v37, v26 /*v282*/ op_sel_hi:[0,1,0]
	s_set_vgpr_msb 64                       ;  msbs: dst=1 src0=0 src1=0 src2=0
	v_dot4_i32_iu8 v27 /*v283*/, v232, v64, 0 neg_lo:[1,1,0]
	s_set_vgpr_msb 0x41                     ;  msbs: dst=1 src0=1 src1=0 src2=0
	s_delay_alu instid0(VALU_DEP_1) | instskip(SKIP_1) | instid1(VALU_DEP_1)
	v_cvt_f32_i32_e32 v27 /*v283*/, v27 /*v283*/
	s_set_vgpr_msb 0x44                     ;  msbs: dst=1 src0=0 src1=1 src2=0
	v_fma_f32 v27 /*v283*/, v6, v27 /*v283*/, -v7
	s_set_vgpr_msb 0x55                     ;  msbs: dst=1 src0=1 src1=1 src2=1
	s_delay_alu instid0(VALU_DEP_1) | instskip(SKIP_3) | instid1(VALU_DEP_1)
	v_fma_mix_f32 v26 /*v282*/, v27 /*v283*/, v12 /*v268*/, v26 /*v282*/ op_sel_hi:[0,1,0]
	s_set_vgpr_msb 64                       ;  msbs: dst=1 src0=0 src1=0 src2=0
	v_dot4_i32_iu8 v27 /*v283*/, v233, v65, 0 neg_lo:[1,1,0]
	s_set_vgpr_msb 0x41                     ;  msbs: dst=1 src0=1 src1=0 src2=0
	v_cvt_f32_i32_e32 v27 /*v283*/, v27 /*v283*/
	s_set_vgpr_msb 0x44                     ;  msbs: dst=1 src0=0 src1=1 src2=0
	s_delay_alu instid0(VALU_DEP_1) | instskip(SKIP_1) | instid1(VALU_DEP_1)
	v_fma_f32 v27 /*v283*/, v6, v27 /*v283*/, -v7
	s_set_vgpr_msb 0x55                     ;  msbs: dst=1 src0=1 src1=1 src2=1
	v_fma_mix_f32 v26 /*v282*/, v27 /*v283*/, v12 /*v268*/, v26 /*v282*/ op_sel_hi:[0,1,0]
	s_set_vgpr_msb 0x41                     ;  msbs: dst=1 src0=1 src1=0 src2=0
	v_dot4_i32_iu8 v27 /*v283*/, v6 /*v262*/, v66, 0 neg_lo:[1,1,0]
	s_delay_alu instid0(VALU_DEP_1) | instskip(SKIP_1) | instid1(VALU_DEP_1)
	v_cvt_f32_i32_e32 v27 /*v283*/, v27 /*v283*/
	s_set_vgpr_msb 0x44                     ;  msbs: dst=1 src0=0 src1=1 src2=0
	v_fma_f32 v27 /*v283*/, v6, v27 /*v283*/, -v7
	s_set_vgpr_msb 0x55                     ;  msbs: dst=1 src0=1 src1=1 src2=1
	s_delay_alu instid0(VALU_DEP_1) | instskip(SKIP_2) | instid1(VALU_DEP_1)
	v_fma_mix_f32 v26 /*v282*/, v27 /*v283*/, v12 /*v268*/, v26 /*v282*/ op_sel_hi:[0,1,0]
	s_set_vgpr_msb 0x41                     ;  msbs: dst=1 src0=1 src1=0 src2=0
	v_dot4_i32_iu8 v27 /*v283*/, v7 /*v263*/, v67, 0 neg_lo:[1,1,0]
	v_cvt_f32_i32_e32 v27 /*v283*/, v27 /*v283*/
	s_set_vgpr_msb 0x44                     ;  msbs: dst=1 src0=0 src1=1 src2=0
	s_delay_alu instid0(VALU_DEP_1) | instskip(SKIP_1) | instid1(VALU_DEP_1)
	v_fma_f32 v27 /*v283*/, v6, v27 /*v283*/, -v7
	s_set_vgpr_msb 0x55                     ;  msbs: dst=1 src0=1 src1=1 src2=1
	v_fma_mix_f32 v26 /*v282*/, v27 /*v283*/, v12 /*v268*/, v26 /*v282*/ op_sel_hi:[0,1,0]
	s_set_vgpr_msb 0x41                     ;  msbs: dst=1 src0=1 src1=0 src2=0
	v_dot4_i32_iu8 v27 /*v283*/, v8 /*v264*/, v68, 0 neg_lo:[1,1,0]
	s_delay_alu instid0(VALU_DEP_1) | instskip(SKIP_1) | instid1(VALU_DEP_1)
	v_cvt_f32_i32_e32 v27 /*v283*/, v27 /*v283*/
	s_set_vgpr_msb 0x44                     ;  msbs: dst=1 src0=0 src1=1 src2=0
	v_fma_f32 v27 /*v283*/, v8, v27 /*v283*/, -v9
	s_set_vgpr_msb 0x55                     ;  msbs: dst=1 src0=1 src1=1 src2=1
	s_delay_alu instid0(VALU_DEP_1) | instskip(SKIP_2) | instid1(VALU_DEP_1)
	v_fma_mix_f32 v26 /*v282*/, v27 /*v283*/, v22 /*v278*/, v26 /*v282*/ op_sel_hi:[0,1,0]
	s_set_vgpr_msb 0x41                     ;  msbs: dst=1 src0=1 src1=0 src2=0
	v_dot4_i32_iu8 v27 /*v283*/, v9 /*v265*/, v69, 0 neg_lo:[1,1,0]
	;; [unrolled: 17-line block ×4, first 2 shown]
	v_cvt_f32_i32_e32 v27 /*v283*/, v27 /*v283*/
	s_set_vgpr_msb 0x44                     ;  msbs: dst=1 src0=0 src1=1 src2=0
	s_delay_alu instid0(VALU_DEP_1) | instskip(SKIP_1) | instid1(VALU_DEP_1)
	v_fma_f32 v27 /*v283*/, v10, v27 /*v283*/, -v218
	s_set_vgpr_msb 0x55                     ;  msbs: dst=1 src0=1 src1=1 src2=1
	v_fma_mix_f32 v28 /*v284*/, v27 /*v283*/, v28 /*v284*/, v26 /*v282*/ op_sel_hi:[0,1,0]
	s_set_vgpr_msb 0x41                     ;  msbs: dst=1 src0=1 src1=0 src2=0
	v_dot4_i32_iu8 v26 /*v282*/, v15 /*v271*/, v74, 0 neg_lo:[1,1,0]
	v_dot4_i32_iu8 v27 /*v283*/, v17 /*v273*/, v75, 0 neg_lo:[1,1,0]
	s_delay_alu instid0(VALU_DEP_2) | instskip(NEXT) | instid1(VALU_DEP_2)
	v_cvt_f32_i32_e32 v26 /*v282*/, v26 /*v282*/
	v_cvt_f32_i32_e32 v27 /*v283*/, v27 /*v283*/
	s_set_vgpr_msb 0x44                     ;  msbs: dst=1 src0=0 src1=1 src2=0
	s_delay_alu instid0(VALU_DEP_1) | instskip(SKIP_1) | instid1(VALU_DEP_1)
	v_pk_fma_f32 v[26:27] /*v[282:283]*/, v[10:11], v[26:27] /*v[282:283]*/, v[218:219] neg_lo:[0,0,1] neg_hi:[0,0,1]
	s_set_vgpr_msb 0x41                     ;  msbs: dst=1 src0=1 src1=0 src2=0
	v_pk_mul_f32 v[26:27] /*v[282:283]*/, v[26:27] /*v[282:283]*/, v[32:33] op_sel_hi:[1,0]
	s_set_vgpr_msb 0x45                     ;  msbs: dst=1 src0=1 src1=1 src2=0
	s_delay_alu instid0(VALU_DEP_1) | instskip(NEXT) | instid1(VALU_DEP_1)
	v_add_f32_e32 v26 /*v282*/, v26 /*v282*/, v28 /*v284*/
	v_add_f32_e32 v28 /*v284*/, v26 /*v282*/, v27 /*v283*/
	s_set_vgpr_msb 0x41                     ;  msbs: dst=1 src0=1 src1=0 src2=0
	v_dot4_i32_iu8 v26 /*v282*/, v16 /*v272*/, v76, 0 neg_lo:[1,1,0]
	v_dot4_i32_iu8 v27 /*v283*/, v19 /*v275*/, v77, 0 neg_lo:[1,1,0]
	s_delay_alu instid0(VALU_DEP_2) | instskip(NEXT) | instid1(VALU_DEP_2)
	v_cvt_f32_i32_e32 v26 /*v282*/, v26 /*v282*/
	v_cvt_f32_i32_e32 v27 /*v283*/, v27 /*v283*/
	s_set_vgpr_msb 0x44                     ;  msbs: dst=1 src0=0 src1=1 src2=0
	s_delay_alu instid0(VALU_DEP_1) | instskip(SKIP_1) | instid1(VALU_DEP_1)
	v_pk_fma_f32 v[26:27] /*v[282:283]*/, v[12:13], v[26:27] /*v[282:283]*/, v[216:217] neg_lo:[0,0,1] neg_hi:[0,0,1]
	s_set_vgpr_msb 0x41                     ;  msbs: dst=1 src0=1 src1=0 src2=0
	v_pk_mul_f32 v[26:27] /*v[282:283]*/, v[26:27] /*v[282:283]*/, v[34:35] op_sel_hi:[1,0]
	s_set_vgpr_msb 0x45                     ;  msbs: dst=1 src0=1 src1=1 src2=0
	s_delay_alu instid0(VALU_DEP_1) | instskip(NEXT) | instid1(VALU_DEP_1)
	v_add_f32_e32 v26 /*v282*/, v28 /*v284*/, v26 /*v282*/
	v_add_f32_e32 v28 /*v284*/, v26 /*v282*/, v27 /*v283*/
	;; [unrolled: 15-line block ×5, first 2 shown]
	s_set_vgpr_msb 0x44                     ;  msbs: dst=1 src0=0 src1=1 src2=0
	ds_bpermute_b32 v27 /*v283*/, v241, v26 /*v282*/
	s_wait_dscnt 0x0
	s_set_vgpr_msb 0x45                     ;  msbs: dst=1 src0=1 src1=1 src2=0
	v_add_f32_e32 v30 /*v286*/, v26 /*v282*/, v27 /*v283*/
	s_delay_alu instid0(VALU_DEP_1) | instskip(SKIP_1) | instid1(SALU_CYCLE_1)
	v_cmp_ngt_f32_e64 s15, 0x3f200000, |v30 /*v286*/|
	s_and_saveexec_b32 s27, s15
	s_xor_b32 s15, exec_lo, s27
	s_set_vgpr_msb 0                        ;  msbs: dst=0 src0=0 src1=0 src2=0
	s_cbranch_execz .LBB31_35
; %bb.34:                               ;   in Loop: Header=BB31_21 Depth=1
	s_set_vgpr_msb 0x45                     ;  msbs: dst=1 src0=1 src1=1 src2=0
	v_add_f32_e64 v26 /*v282*/, |v30 /*v286*/|, |v30 /*v286*/|
	s_delay_alu instid0(VALU_DEP_1) | instskip(SKIP_1) | instid1(VALU_DEP_2)
	v_mul_f32_e32 v27 /*v283*/, 0x3fb8aa3b, v26 /*v282*/
	v_cmp_ngt_f32_e32 vcc_lo, 0xc2ce8ed0, v26 /*v282*/
	v_rndne_f32_e32 v28 /*v284*/, v27 /*v283*/
	s_set_vgpr_msb 0x54                     ;  msbs: dst=1 src0=0 src1=1 src2=1
	v_fma_f32 v29 /*v285*/, 0x3fb8aa3b, v26 /*v282*/, -v27 /*v283*/
	s_set_vgpr_msb 0x45                     ;  msbs: dst=1 src0=1 src1=1 src2=0
	s_delay_alu instid0(VALU_DEP_2) | instskip(NEXT) | instid1(VALU_DEP_2)
	v_sub_f32_e32 v27 /*v283*/, v27 /*v283*/, v28 /*v284*/
	v_fmac_f32_e32 v29 /*v285*/, 0x32a5705f, v26 /*v282*/
	v_cvt_i32_f32_e32 v28 /*v284*/, v28 /*v284*/
	s_delay_alu instid0(VALU_DEP_2) | instskip(NEXT) | instid1(VALU_DEP_1)
	v_add_f32_e32 v27 /*v283*/, v27 /*v283*/, v29 /*v285*/
	v_exp_f32_e32 v27 /*v283*/, v27 /*v283*/
	v_nop
	s_delay_alu instid0(TRANS32_DEP_1) | instskip(NEXT) | instid1(VALU_DEP_1)
	v_ldexp_f32 v27 /*v283*/, v27 /*v283*/, v28 /*v284*/
	v_cndmask_b32_e32 v27 /*v283*/, 0, v27 /*v283*/, vcc_lo
	v_cmp_nlt_f32_e32 vcc_lo, 0x42b17218, v26 /*v282*/
	s_delay_alu instid0(VALU_DEP_2) | instskip(NEXT) | instid1(VALU_DEP_1)
	v_cndmask_b32_e32 v26 /*v282*/, 0x7f800000, v27 /*v283*/, vcc_lo
	v_add_f32_e32 v26 /*v282*/, 1.0, v26 /*v282*/
	s_delay_alu instid0(VALU_DEP_1) | instskip(SKIP_1) | instid1(TRANS32_DEP_1)
	v_rcp_f32_e32 v26 /*v282*/, v26 /*v282*/
	v_nop
	v_fma_f32 v31 /*v287*/, v26 /*v282*/, -2.0, 1.0
.LBB31_35:                              ;   in Loop: Header=BB31_21 Depth=1
	s_and_not1_saveexec_b32 s15, s15
	s_set_vgpr_msb 0                        ;  msbs: dst=0 src0=0 src1=0 src2=0
	s_cbranch_execz .LBB31_37
; %bb.36:                               ;   in Loop: Header=BB31_21 Depth=1
	s_set_vgpr_msb 0x55                     ;  msbs: dst=1 src0=1 src1=1 src2=1
	v_mul_f32_e32 v26 /*v282*/, v30 /*v286*/, v30 /*v286*/
	s_delay_alu instid0(VALU_DEP_1) | instskip(NEXT) | instid1(VALU_DEP_1)
	v_fmaak_f32 v27 /*v283*/, s26, v26 /*v282*/, 0x3ca908c9
	v_fmaak_f32 v27 /*v283*/, v26 /*v282*/, v27 /*v283*/, 0xbd5c1c4e
	s_delay_alu instid0(VALU_DEP_1) | instskip(NEXT) | instid1(VALU_DEP_1)
	v_fmaak_f32 v27 /*v283*/, v26 /*v282*/, v27 /*v283*/, 0x3e088382
	v_fmaak_f32 v27 /*v283*/, v26 /*v282*/, v27 /*v283*/, 0xbeaaaa99
	s_delay_alu instid0(VALU_DEP_1) | instskip(NEXT) | instid1(VALU_DEP_1)
	v_mul_f32_e64 v27 /*v283*/, |v30 /*v286*/|, v27 /*v283*/
	v_fma_f32 v31 /*v287*/, v26 /*v282*/, v27 /*v283*/, |v30 /*v286*/|
.LBB31_37:                              ;   in Loop: Header=BB31_21 Depth=1
	s_or_b32 exec_lo, exec_lo, s15
	s_set_vgpr_msb 0x41                     ;  msbs: dst=1 src0=1 src1=0 src2=0
	v_cvt_f32_f16_e64 v26 /*v282*/, v12 /*v268*/
	s_set_vgpr_msb 0x54                     ;  msbs: dst=1 src0=0 src1=1 src2=1
	v_bfi_b32 v12 /*v268*/, 0x7fffffff, v31 /*v287*/, v30 /*v286*/
	v_cvt_f32_f16_e64 v29 /*v285*/, v33
	v_cvt_f32_f16_e64 v28 /*v284*/, v35
	;; [unrolled: 1-line block ×3, first 2 shown]
	s_set_vgpr_msb 0x41                     ;  msbs: dst=1 src0=1 src1=0 src2=0
	v_cvt_f32_f16_e64 v22 /*v278*/, v22 /*v278*/
	s_set_vgpr_msb 0                        ;  msbs: dst=0 src0=0 src1=0 src2=0
	v_dual_mov_b32 v33, v32 :: v_dual_mov_b32 v35, v34
	v_mov_b32_e32 v37, v36
	s_set_vgpr_msb 0x44                     ;  msbs: dst=1 src0=0 src1=1 src2=0
	v_mul_f32_e32 v12 /*v268*/, s37, v12 /*v268*/
	s_and_not1_b32 vcc_lo, exec_lo, s25
	s_set_vgpr_msb 0                        ;  msbs: dst=0 src0=0 src1=0 src2=0
	s_cbranch_vccnz .LBB31_39
; %bb.38:                               ;   in Loop: Header=BB31_21 Depth=1
	s_set_vgpr_msb 0x54                     ;  msbs: dst=1 src0=0 src1=1 src2=1
	global_load_u16 v30 /*v286*/, v132, s[4:5] offset:2 scale_offset
	s_wait_loadcnt 0x0
	v_fma_mix_f32 v12 /*v268*/, v237, v30 /*v286*/, v12 /*v268*/ op_sel_hi:[0,1,0]
.LBB31_39:                              ;   in Loop: Header=BB31_21 Depth=1
	s_set_vgpr_msb 0                        ;  msbs: dst=0 src0=0 src1=0 src2=0
	v_dot4_i32_iu8 v42, v42, v84, 0 neg_lo:[1,1,0]
	v_dot4_i32_iu8 v43, v43, v85, 0 neg_lo:[1,1,0]
	;; [unrolled: 1-line block ×4, first 2 shown]
	s_delay_alu instid0(VALU_DEP_4) | instskip(NEXT) | instid1(VALU_DEP_4)
	v_cvt_f32_i32_e32 v42, v42
	v_cvt_f32_i32_e32 v43, v43
	s_delay_alu instid0(VALU_DEP_4) | instskip(NEXT) | instid1(VALU_DEP_4)
	v_cvt_f32_i32_e32 v44, v44
	v_cvt_f32_i32_e32 v45, v45
	s_delay_alu instid0(VALU_DEP_3) | instskip(NEXT) | instid1(VALU_DEP_2)
	v_dual_fma_f32 v42, v16, v42, -v17 :: v_dual_fma_f32 v43, v16, v43, -v17
	v_dual_fma_f32 v44, v16, v44, -v17 :: v_dual_fma_f32 v45, v16, v45, -v17
	s_set_vgpr_msb 0x44                     ;  msbs: dst=1 src0=0 src1=1 src2=0
	s_delay_alu instid0(VALU_DEP_2)
	v_fma_f32 v30 /*v286*/, v42, v29 /*v285*/, 0
	s_set_vgpr_msb 0                        ;  msbs: dst=0 src0=0 src1=0 src2=0
	v_dot4_i32_iu8 v42, v46, v88, 0 neg_lo:[1,1,0]
	s_set_vgpr_msb 1                        ;  msbs: dst=0 src0=1 src1=0 src2=0
	v_dot4_i32_iu8 v46, v14 /*v270*/, v105, 0 neg_lo:[1,1,0]
	s_set_vgpr_msb 0x44                     ;  msbs: dst=1 src0=0 src1=1 src2=0
	v_fmac_f32_e32 v30 /*v286*/, v43, v29 /*v285*/
	s_set_vgpr_msb 0                        ;  msbs: dst=0 src0=0 src1=0 src2=0
	v_dot4_i32_iu8 v43, v47, v89, 0 neg_lo:[1,1,0]
	v_cvt_f32_i32_e32 v42, v42
	s_set_vgpr_msb 1                        ;  msbs: dst=0 src0=1 src1=0 src2=0
	v_dot4_i32_iu8 v47, v15 /*v271*/, v106, 0 neg_lo:[1,1,0]
	s_set_vgpr_msb 0x44                     ;  msbs: dst=1 src0=0 src1=1 src2=0
	v_fmac_f32_e32 v30 /*v286*/, v44, v29 /*v285*/
	s_set_vgpr_msb 0                        ;  msbs: dst=0 src0=0 src1=0 src2=0
	v_dot4_i32_iu8 v44, v133, v90, 0 neg_lo:[1,1,0]
	v_cvt_f32_i32_e32 v43, v43
	v_fma_f32 v42, v18, v42, -v19
	s_set_vgpr_msb 0x44                     ;  msbs: dst=1 src0=0 src1=1 src2=0
	v_fmac_f32_e32 v30 /*v286*/, v45, v29 /*v285*/
	s_set_vgpr_msb 0                        ;  msbs: dst=0 src0=0 src1=0 src2=0
	v_dot4_i32_iu8 v45, v227, v91, 0 neg_lo:[1,1,0]
	v_cvt_f32_i32_e32 v44, v44
	v_fma_f32 v43, v18, v43, -v19
	;; [unrolled: 6-line block ×8, first 2 shown]
	s_set_vgpr_msb 0x44                     ;  msbs: dst=1 src0=0 src1=1 src2=0
	v_fmac_f32_e32 v30 /*v286*/, v44, v27 /*v283*/
	s_set_vgpr_msb 1                        ;  msbs: dst=0 src0=1 src1=0 src2=0
	v_dot4_i32_iu8 v44, v6 /*v262*/, v98, 0 neg_lo:[1,1,0]
	s_set_vgpr_msb 0                        ;  msbs: dst=0 src0=0 src1=0 src2=0
	v_cvt_f32_i32_e32 v43, v43
	v_fma_f32 v42, v22, v42, -v23
	s_set_vgpr_msb 0x44                     ;  msbs: dst=1 src0=0 src1=1 src2=0
	v_fmac_f32_e32 v30 /*v286*/, v45, v27 /*v283*/
	s_set_vgpr_msb 1                        ;  msbs: dst=0 src0=1 src1=0 src2=0
	v_dot4_i32_iu8 v45, v7 /*v263*/, v99, 0 neg_lo:[1,1,0]
	s_set_vgpr_msb 0                        ;  msbs: dst=0 src0=0 src1=0 src2=0
	v_cvt_f32_i32_e32 v44, v44
	v_fma_f32 v43, v22, v43, -v23
	;; [unrolled: 7-line block ×8, first 2 shown]
	v_cvt_f32_i32_e32 v42, v47
	s_set_vgpr_msb 0x44                     ;  msbs: dst=1 src0=0 src1=1 src2=0
	v_fmac_f32_e32 v30 /*v286*/, v44, v22 /*v278*/
	s_set_vgpr_msb 0                        ;  msbs: dst=0 src0=0 src1=0 src2=0
	v_cvt_f32_i32_e32 v44, v46
	v_cvt_f32_i32_e32 v43, v43
	v_fma_f32 v46, v26, v133, -v212
	s_set_vgpr_msb 1                        ;  msbs: dst=0 src0=1 src1=0 src2=0
	v_dot4_i32_iu8 v47, v16 /*v272*/, v108, 0 neg_lo:[1,1,0]
	s_set_vgpr_msb 0x44                     ;  msbs: dst=1 src0=0 src1=1 src2=0
	v_fmac_f32_e32 v30 /*v286*/, v45, v22 /*v278*/
	s_set_vgpr_msb 1                        ;  msbs: dst=0 src0=1 src1=0 src2=0
	v_dot4_i32_iu8 v45, v19 /*v275*/, v109, 0 neg_lo:[1,1,0]
	s_set_vgpr_msb 0                        ;  msbs: dst=0 src0=0 src1=0 src2=0
	v_fma_f32 v133, v26, v44, -v212
	v_pk_fma_f32 v[42:43], v[26:27], v[42:43], v[212:213] neg_lo:[0,0,1] neg_hi:[0,0,1]
	v_cvt_f32_i32_e32 v44, v47
	s_set_vgpr_msb 64                       ;  msbs: dst=1 src0=0 src1=0 src2=0
	v_fmac_f32_e32 v30 /*v286*/, v46, v32
	s_set_vgpr_msb 0                        ;  msbs: dst=0 src0=0 src1=0 src2=0
	v_cvt_f32_i32_e32 v45, v45
	s_set_vgpr_msb 1                        ;  msbs: dst=0 src0=1 src1=0 src2=0
	v_dot4_i32_iu8 v46, v21 /*v277*/, v111, 0 neg_lo:[1,1,0]
	s_set_vgpr_msb 0                        ;  msbs: dst=0 src0=0 src1=0 src2=0
	v_pk_mul_f32 v[42:43], v[42:43], v[32:33]
	s_set_vgpr_msb 1                        ;  msbs: dst=0 src0=1 src1=0 src2=0
	v_dot4_i32_iu8 v47, v18 /*v274*/, v110, 0 neg_lo:[1,1,0]
	s_set_vgpr_msb 64                       ;  msbs: dst=1 src0=0 src1=0 src2=0
	v_fmac_f32_e32 v30 /*v286*/, v133, v32
	s_set_vgpr_msb 0                        ;  msbs: dst=0 src0=0 src1=0 src2=0
	v_pk_fma_f32 v[32:33], v[28:29], v[44:45], v[210:211] neg_lo:[0,0,1] neg_hi:[0,0,1]
	v_cvt_f32_i32_e32 v45, v46
	s_set_vgpr_msb 1                        ;  msbs: dst=0 src0=1 src1=0 src2=0
	v_dot4_i32_iu8 v133, v20 /*v276*/, v112, 0 neg_lo:[1,1,0]
	s_set_vgpr_msb 4                        ;  msbs: dst=0 src0=0 src1=1 src2=0
	v_cvt_f32_i32_e32 v44, v47
	v_add_f32_e32 v42, v42, v30 /*v286*/
	s_set_vgpr_msb 0                        ;  msbs: dst=0 src0=0 src1=0 src2=0
	v_pk_mul_f32 v[32:33], v[32:33], v[34:35]
	s_set_vgpr_msb 1                        ;  msbs: dst=0 src0=1 src1=0 src2=0
	v_dot4_i32_iu8 v47, v24 /*v280*/, v113, 0 neg_lo:[1,1,0]
	s_set_vgpr_msb 0                        ;  msbs: dst=0 src0=0 src1=0 src2=0
	v_add_f32_e32 v46, v42, v43
	v_pk_fma_f32 v[42:43], v[28:29], v[44:45], v[210:211] neg_lo:[0,0,1] neg_hi:[0,0,1]
	s_delay_alu instid0(VALU_DEP_3) | instskip(SKIP_1) | instid1(VALU_DEP_4)
	v_cvt_f32_i32_e32 v45, v47
	v_cvt_f32_i32_e32 v44, v133
	v_add_f32_e32 v32, v46, v32
	s_delay_alu instid0(VALU_DEP_4)
	v_pk_mul_f32 v[34:35], v[42:43], v[34:35]
	s_set_vgpr_msb 1                        ;  msbs: dst=0 src0=1 src1=0 src2=0
	v_dot4_i32_iu8 v43, v25 /*v281*/, v115, 0 neg_lo:[1,1,0]
	s_set_vgpr_msb 0                        ;  msbs: dst=0 src0=0 src1=0 src2=0
	v_add_f32_e32 v42, v32, v33
	v_pk_fma_f32 v[32:33], v[30:31], v[44:45], v[208:209] neg_lo:[0,0,1] neg_hi:[0,0,1]
	s_delay_alu instid0(VALU_DEP_3) | instskip(NEXT) | instid1(VALU_DEP_2)
	v_cvt_f32_i32_e32 v43, v43
	v_pk_mul_f32 v[32:33], v[32:33], v[36:37]
	s_delay_alu instid0(VALU_DEP_4) | instskip(SKIP_3) | instid1(VALU_DEP_2)
	v_add_f32_e32 v34, v34, v42
	s_set_vgpr_msb 1                        ;  msbs: dst=0 src0=1 src1=0 src2=0
	v_dot4_i32_iu8 v42, v23 /*v279*/, v114, 0 neg_lo:[1,1,0]
	s_set_vgpr_msb 0                        ;  msbs: dst=0 src0=0 src1=0 src2=0
	v_add_f32_e32 v34, v34, v35
	s_delay_alu instid0(VALU_DEP_2) | instskip(NEXT) | instid1(VALU_DEP_2)
	v_cvt_f32_i32_e32 v42, v42
	v_add_f32_e32 v32, v34, v32
	s_delay_alu instid0(VALU_DEP_2) | instskip(NEXT) | instid1(VALU_DEP_2)
	v_pk_fma_f32 v[34:35], v[30:31], v[42:43], v[208:209] neg_lo:[0,0,1] neg_hi:[0,0,1]
	v_add_f32_e32 v42, v32, v33
	s_delay_alu instid0(VALU_DEP_2) | instskip(NEXT) | instid1(VALU_DEP_1)
	v_pk_mul_f32 v[32:33], v[34:35], v[36:37]
	v_add_f32_e32 v32, v32, v42
	s_delay_alu instid0(VALU_DEP_1) | instskip(SKIP_3) | instid1(VALU_DEP_1)
	v_add_f32_e32 v32, v32, v33
	ds_bpermute_b32 v33, v241, v32
	s_wait_dscnt 0x0
	v_add_f32_e32 v32, v32, v33
                                        ; implicit-def: $vgpr33
	v_cmp_ngt_f32_e64 s15, 0x3f200000, |v32|
	s_and_saveexec_b32 s27, s15
	s_delay_alu instid0(SALU_CYCLE_1)
	s_xor_b32 s15, exec_lo, s27
	s_cbranch_execz .LBB31_41
; %bb.40:                               ;   in Loop: Header=BB31_21 Depth=1
	v_add_f32_e64 v33, |v32|, |v32|
	s_delay_alu instid0(VALU_DEP_1) | instskip(SKIP_1) | instid1(VALU_DEP_2)
	v_mul_f32_e32 v34, 0x3fb8aa3b, v33
	v_cmp_ngt_f32_e32 vcc_lo, 0xc2ce8ed0, v33
	v_rndne_f32_e32 v35, v34
	v_fma_f32 v36, 0x3fb8aa3b, v33, -v34
	s_delay_alu instid0(VALU_DEP_2) | instskip(NEXT) | instid1(VALU_DEP_2)
	v_sub_f32_e32 v34, v34, v35
	v_fmac_f32_e32 v36, 0x32a5705f, v33
	v_cvt_i32_f32_e32 v35, v35
	s_delay_alu instid0(VALU_DEP_2) | instskip(NEXT) | instid1(VALU_DEP_1)
	v_add_f32_e32 v34, v34, v36
	v_exp_f32_e32 v34, v34
	v_nop
	s_delay_alu instid0(TRANS32_DEP_1) | instskip(NEXT) | instid1(VALU_DEP_1)
	v_ldexp_f32 v34, v34, v35
	v_cndmask_b32_e32 v34, 0, v34, vcc_lo
	v_cmp_nlt_f32_e32 vcc_lo, 0x42b17218, v33
	s_delay_alu instid0(VALU_DEP_2) | instskip(NEXT) | instid1(VALU_DEP_1)
	v_cndmask_b32_e32 v33, 0x7f800000, v34, vcc_lo
	v_add_f32_e32 v33, 1.0, v33
	s_delay_alu instid0(VALU_DEP_1) | instskip(SKIP_1) | instid1(TRANS32_DEP_1)
	v_rcp_f32_e32 v33, v33
	v_nop
	v_fma_f32 v33, v33, -2.0, 1.0
.LBB31_41:                              ;   in Loop: Header=BB31_21 Depth=1
	s_and_not1_saveexec_b32 s15, s15
	s_cbranch_execz .LBB31_43
; %bb.42:                               ;   in Loop: Header=BB31_21 Depth=1
	v_mul_f32_e32 v33, v32, v32
	s_delay_alu instid0(VALU_DEP_1) | instskip(NEXT) | instid1(VALU_DEP_1)
	v_fmaak_f32 v34, s26, v33, 0x3ca908c9
	v_fmaak_f32 v34, v33, v34, 0xbd5c1c4e
	s_delay_alu instid0(VALU_DEP_1) | instskip(NEXT) | instid1(VALU_DEP_1)
	v_fmaak_f32 v34, v33, v34, 0x3e088382
	v_fmaak_f32 v34, v33, v34, 0xbeaaaa99
	s_delay_alu instid0(VALU_DEP_1) | instskip(NEXT) | instid1(VALU_DEP_1)
	v_mul_f32_e64 v34, |v32|, v34
	v_fma_f32 v33, v33, v34, |v32|
.LBB31_43:                              ;   in Loop: Header=BB31_21 Depth=1
	s_or_b32 exec_lo, exec_lo, s15
	s_delay_alu instid0(VALU_DEP_1) | instskip(SKIP_1) | instid1(VALU_DEP_1)
	v_bfi_b32 v32, 0x7fffffff, v33, v32
	s_and_not1_b32 vcc_lo, exec_lo, s24
	v_mul_f32_e32 v32, s37, v32
	s_cbranch_vccnz .LBB31_45
; %bb.44:                               ;   in Loop: Header=BB31_21 Depth=1
	v_lshl_add_u64 v[34:35], v[222:223], 1, s[4:5]
	global_load_u16 v33, v[34:35], off offset:2
	s_wait_loadcnt 0x0
	v_fma_mix_f32 v32, v237, v33, v32 op_sel_hi:[0,1,0]
.LBB31_45:                              ;   in Loop: Header=BB31_21 Depth=1
	v_add_nc_u64_e32 v[34:35], s[10:11], v[116:117]
	v_mul_hi_u32_u24_e32 v233, 22, v224
	v_mul_u32_u24_e32 v232, 22, v224
	v_mul_hi_u32_u24_e32 v231, 22, v220
	v_mul_u32_u24_e32 v230, 22, v220
	v_add_nc_u64_e32 v[36:37], s[10:11], v[118:119]
	v_add_nc_u64_e32 v[46:47], s[10:11], v[120:121]
	;; [unrolled: 1-line block ×3, first 2 shown]
	v_add_f32_e32 v33, 0x40051340, v40
	v_add_nc_u64_e32 v[34:35], v[34:35], v[230:231]
	s_set_vgpr_msb 64                       ;  msbs: dst=1 src0=0 src1=0 src2=0
	v_add_nc_u64_e32 v[22:23] /*v[278:279]*/, s[10:11], v[128:129]
	s_add_co_i32 s40, s14, s40
	s_set_vgpr_msb 0                        ;  msbs: dst=0 src0=0 src1=0 src2=0
	v_add_nc_u64_e32 v[42:43], v[36:37], v[232:233]
	v_add_nc_u64_e32 v[36:37], v[36:37], v[230:231]
	;; [unrolled: 1-line block ×3, first 2 shown]
	s_set_vgpr_msb 64                       ;  msbs: dst=1 src0=0 src1=0 src2=0
	v_add_nc_u64_e32 v[6:7] /*v[262:263]*/, v[46:47], v[232:233]
	v_add_nc_u64_e32 v[8:9] /*v[264:265]*/, v[34:35], v[190:191]
	s_set_vgpr_msb 0x41                     ;  msbs: dst=1 src0=1 src1=0 src2=0
	v_add_nc_u64_e32 v[26:27] /*v[282:283]*/, v[22:23] /*v[278:279]*/, v[232:233]
	s_add_nc_u64 s[12:13], s[12:13], s[8:9]
	s_set_vgpr_msb 0                        ;  msbs: dst=0 src0=0 src1=0 src2=0
	global_load_b32 v133, v[42:43], off offset:2
	s_set_vgpr_msb 64                       ;  msbs: dst=1 src0=0 src1=0 src2=0
	v_add_nc_u64_e32 v[10:11] /*v[266:267]*/, v[36:37], v[190:191]
	s_clause 0x2
	global_load_b32 v18 /*v274*/, v[228:229], off offset:6
	global_load_u16 v19 /*v275*/, v[34:35], off
	global_load_b32 v20 /*v276*/, v[44:45], off offset:2
	s_wait_xcnt 0x2
	s_set_vgpr_msb 0                        ;  msbs: dst=0 src0=0 src1=0 src2=0
	v_add_nc_u64_e32 v[228:229], v[42:43], v[188:189]
	s_set_vgpr_msb 64                       ;  msbs: dst=1 src0=0 src1=0 src2=0
	s_clause 0x5
	global_load_u16 v21 /*v277*/, v[44:45], off
	s_set_vgpr_msb 0x41                     ;  msbs: dst=1 src0=1 src1=0 src2=0
	global_load_b32 v28 /*v284*/, v[8:9] /*v[264:265]*/, off offset:6
	s_set_vgpr_msb 64                       ;  msbs: dst=1 src0=0 src1=0 src2=0
	global_load_u16 v29 /*v285*/, v[42:43], off
	global_load_b32 v30 /*v286*/, v[34:35], off offset:2
	s_wait_xcnt 0x1
	s_set_vgpr_msb 0                        ;  msbs: dst=0 src0=0 src1=0 src2=0
	v_add_nc_u64_e32 v[42:43], v[46:47], v[230:231]
	s_wait_xcnt 0x0
	v_add_nc_u64_e32 v[34:35], s[10:11], v[122:123]
	s_set_vgpr_msb 1                        ;  msbs: dst=0 src0=1 src1=0 src2=0
	v_add_nc_u64_e32 v[44:45], v[6:7] /*v[262:263]*/, v[188:189]
	s_add_nc_u64 s[4:5], s[4:5], s[6:7]
	s_set_vgpr_msb 64                       ;  msbs: dst=1 src0=0 src1=0 src2=0
	s_clause 0x5
	global_load_b32 v31 /*v287*/, v[228:229], off offset:6
	s_set_vgpr_msb 0x41                     ;  msbs: dst=1 src0=1 src1=0 src2=0
	global_load_b32 v32 /*v288*/, v[10:11] /*v[266:267]*/, off offset:6
	global_load_u16 v33 /*v289*/, v[6:7] /*v[262:263]*/, off
	s_set_vgpr_msb 64                       ;  msbs: dst=1 src0=0 src1=0 src2=0
	global_load_b32 v34 /*v290*/, v[36:37], off offset:2
	s_cmp_ge_i32 s40, s35
	s_wait_xcnt 0x3
	s_set_vgpr_msb 0                        ;  msbs: dst=0 src0=0 src1=0 src2=0
	v_add_nc_u64_e32 v[228:229], v[42:43], v[190:191]
	v_add_nc_u64_e32 v[46:47], v[34:35], v[232:233]
	s_set_vgpr_msb 64                       ;  msbs: dst=1 src0=0 src1=0 src2=0
	s_clause 0x8
	global_load_u16 v35 /*v291*/, v[36:37], off
	global_load_b32 v36 /*v292*/, v[44:45], off offset:6
	global_load_u16 v37 /*v293*/, v[42:43], off
	s_set_vgpr_msb 0x41                     ;  msbs: dst=1 src0=1 src1=0 src2=0
	global_load_b32 v38 /*v294*/, v[6:7] /*v[262:263]*/, off offset:2
	s_set_vgpr_msb 64                       ;  msbs: dst=1 src0=0 src1=0 src2=0
	global_load_b32 v39 /*v295*/, v[228:229], off offset:6
	global_load_u16 v40 /*v296*/, v[46:47], off
	global_load_b32 v41 /*v297*/, v[42:43], off offset:2
	s_wait_xcnt 0x6
	s_set_vgpr_msb 4                        ;  msbs: dst=0 src0=0 src1=1 src2=0
	v_add_f32_e32 v36, 0x40051340, v12 /*v268*/
	s_wait_xcnt 0x0
	s_set_vgpr_msb 0                        ;  msbs: dst=0 src0=0 src1=0 src2=0
	v_dual_add_f32 v37, 0x40051340, v41 :: v_dual_add_f32 v42, 0x40051340, v32
	v_add_nc_u64_e32 v[34:35], v[34:35], v[230:231]
	v_max3_num_f32 v33, v38, v33, v36
	s_delay_alu instid0(VALU_DEP_3) | instskip(SKIP_4) | instid1(VALU_DEP_1)
	v_max3_num_f32 v36, v39, v37, v42
	ds_bpermute_b32 v37, v242, v33
	ds_bpermute_b32 v42, v242, v36
	s_wait_dscnt 0x0
	v_dual_max_num_f32 v42, v42, v42 :: v_dual_max_num_f32 v37, v37, v37
	v_max_num_f32_e32 v36, v36, v42
	ds_bpermute_b32 v42, v243, v36
	s_wait_dscnt 0x0
	v_dual_max_num_f32 v33, v33, v37 :: v_dual_max_num_f32 v42, v42, v42
	ds_bpermute_b32 v37, v243, v33
	v_max_num_f32_e32 v36, v36, v42
	ds_bpermute_b32 v42, v244, v36
	s_wait_dscnt 0x1
	v_max_num_f32_e32 v37, v37, v37
	s_wait_dscnt 0x0
	s_delay_alu instid0(VALU_DEP_1)
	v_dual_max_num_f32 v33, v33, v37 :: v_dual_max_num_f32 v42, v42, v42
	ds_bpermute_b32 v37, v244, v33
	v_max_num_f32_e32 v45, v36, v42
	v_add_nc_u64_e32 v[42:43], v[34:35], v[190:191]
	ds_bpermute_b32 v228, v245, v45
	s_wait_dscnt 0x1
	v_max_num_f32_e32 v37, v37, v37
	s_delay_alu instid0(VALU_DEP_1)
	v_max_num_f32_e32 v44, v33, v37
	v_add_nc_u64_e32 v[36:37], v[46:47], v[188:189]
	s_set_vgpr_msb 64                       ;  msbs: dst=1 src0=0 src1=0 src2=0
	s_clause 0x4
	global_load_b32 v42 /*v298*/, v[36:37], off offset:6
	global_load_u16 v43 /*v299*/, v[34:35], off
	global_load_b32 v44 /*v300*/, v[46:47], off offset:2
	global_load_b32 v45 /*v301*/, v[42:43], off offset:6
	;; [unrolled: 1-line block ×3, first 2 shown]
	s_wait_xcnt 0x4
	s_set_vgpr_msb 0                        ;  msbs: dst=0 src0=0 src1=0 src2=0
	v_cndmask_b32_e64 v36, v226, v40, s1
	ds_bpermute_b32 v227, v245, v44
	s_wait_xcnt 0x1
	v_cndmask_b32_e64 v42, v32, v41, s1
	v_add_nc_u64_e32 v[32:33], s[10:11], v[124:125]
	s_wait_xcnt 0x0
	v_add_nc_u64_e32 v[34:35], s[10:11], v[126:127]
	s_set_vgpr_msb 64                       ;  msbs: dst=1 src0=0 src1=0 src2=0
	ds_load_b128 v[6:9] /*v[262:265]*/, v239
	ds_load_b128 v[14:17] /*v[270:273]*/, v239 offset:16
	s_wait_dscnt 0x3
	s_set_vgpr_msb 0                        ;  msbs: dst=0 src0=0 src1=0 src2=0
	v_max_num_f32_e32 v46, v228, v228
	s_set_vgpr_msb 64                       ;  msbs: dst=1 src0=0 src1=0 src2=0
	v_add_nc_u64_e32 v[24:25] /*v[280:281]*/, v[34:35], v[230:231]
	s_wait_dscnt 0x2
	s_set_vgpr_msb 0                        ;  msbs: dst=0 src0=0 src1=0 src2=0
	v_max_num_f32_e32 v40, v227, v227
	s_delay_alu instid0(VALU_DEP_1) | instskip(SKIP_1) | instid1(VALU_DEP_2)
	v_max_num_f32_e32 v228, v44, v40
	v_add_nc_u64_e32 v[40:41], v[34:35], v[232:233]
	v_dual_sub_f32 v44, v38, v228 :: v_dual_max_num_f32 v229, v45, v46
	s_delay_alu instid0(VALU_DEP_1) | instskip(NEXT) | instid1(VALU_DEP_2)
	v_cmp_ngt_f32_e32 vcc_lo, 0xc2ce8ed0, v44
	v_dual_sub_f32 v46, v39, v229 :: v_dual_sub_f32 v47, v42, v229
	s_delay_alu instid0(VALU_DEP_1) | instskip(SKIP_1) | instid1(VALU_DEP_1)
	v_dual_mul_f32 v226, 0x3fb8aa3b, v46 :: v_dual_mul_f32 v227, 0x3fb8aa3b, v47
	s_set_vgpr_msb 64                       ;  msbs: dst=1 src0=0 src1=0 src2=0
	v_fma_f32 v47 /*v303*/, 0x3fb8aa3b, v46, -v226
	v_rndne_f32_e32 v48 /*v304*/, v226
	s_delay_alu instid0(VALU_DEP_3) | instskip(SKIP_1) | instid1(VALU_DEP_4)
	v_fma_f32 v49 /*v305*/, 0x3fb8aa3b, v47, -v227
	v_rndne_f32_e32 v50 /*v306*/, v227
	v_fmac_f32_e32 v47 /*v303*/, 0x32a5705f, v46
	s_set_vgpr_msb 4                        ;  msbs: dst=0 src0=0 src1=1 src2=0
	v_sub_f32_e32 v226, v226, v48 /*v304*/
	s_set_vgpr_msb 64                       ;  msbs: dst=1 src0=0 src1=0 src2=0
	v_fmac_f32_e32 v49 /*v305*/, 0x32a5705f, v47
	s_set_vgpr_msb 4                        ;  msbs: dst=0 src0=0 src1=1 src2=0
	s_delay_alu instid0(VALU_DEP_2) | instskip(SKIP_3) | instid1(VALU_DEP_2)
	v_dual_sub_f32 v227, v227, v50 /*v306*/ :: v_dual_add_f32 v226, v226, v47 /*v303*/
	s_set_vgpr_msb 0x41                     ;  msbs: dst=1 src0=1 src1=0 src2=0
	v_cvt_i32_f32_e32 v47 /*v303*/, v48 /*v304*/
	s_set_vgpr_msb 4                        ;  msbs: dst=0 src0=0 src1=1 src2=0
	v_add_f32_e32 v227, v227, v49 /*v305*/
	s_set_vgpr_msb 0x41                     ;  msbs: dst=1 src0=1 src1=0 src2=0
	v_cvt_i32_f32_e32 v48 /*v304*/, v50 /*v306*/
	s_set_vgpr_msb 4                        ;  msbs: dst=0 src0=0 src1=1 src2=0
	v_exp_f32_e32 v226, v226
	v_exp_f32_e32 v227, v227
	s_delay_alu instid0(TRANS32_DEP_2) | instskip(NEXT) | instid1(TRANS32_DEP_1)
	v_ldexp_f32 v226, v226, v47 /*v303*/
	v_ldexp_f32 v227, v227, v48 /*v304*/
	s_set_vgpr_msb 1                        ;  msbs: dst=0 src0=1 src1=0 src2=0
	v_cndmask_b32_e64 v43, v12 /*v268*/, v36, s1
	s_set_vgpr_msb 0                        ;  msbs: dst=0 src0=0 src1=0 src2=0
	v_add_nc_u64_e32 v[36:37], v[32:33], v[232:233]
	v_add_nc_u64_e32 v[32:33], v[32:33], v[230:231]
	s_delay_alu instid0(VALU_DEP_3) | instskip(SKIP_1) | instid1(VALU_DEP_4)
	v_sub_f32_e32 v45, v43, v228
	v_mul_f32_e32 v42, 0x3fb8aa3b, v44
	v_add_nc_u64_e32 v[34:35], v[36:37], v[188:189]
	s_delay_alu instid0(VALU_DEP_4) | instskip(NEXT) | instid1(VALU_DEP_4)
	v_add_nc_u64_e32 v[38:39], v[32:33], v[190:191]
	v_mul_f32_e32 v43, 0x3fb8aa3b, v45
	s_set_vgpr_msb 64                       ;  msbs: dst=1 src0=0 src1=0 src2=0
	v_fma_f32 v10 /*v266*/, 0x3fb8aa3b, v44, -v42
	v_rndne_f32_e32 v11 /*v267*/, v42
	s_clause 0x7
	global_load_b32 v47 /*v303*/, v[40:41], off offset:2
	global_load_b32 v48 /*v304*/, v[34:35], off offset:6
	;; [unrolled: 1-line block ×3, first 2 shown]
	global_load_u16 v50 /*v306*/, v[40:41], off
	global_load_b32 v51 /*v307*/, v[32:33], off offset:2
	global_load_u16 v52 /*v308*/, v[32:33], off
	global_load_b32 v53 /*v309*/, v[36:37], off offset:2
	global_load_u16 v54 /*v310*/, v[36:37], off
	v_fma_f32 v12 /*v268*/, 0x3fb8aa3b, v45, -v43
	v_rndne_f32_e32 v13 /*v269*/, v43
	v_fmac_f32_e32 v10 /*v266*/, 0x32a5705f, v44
	s_delay_alu instid0(VALU_DEP_3) | instskip(SKIP_1) | instid1(VALU_DEP_3)
	v_fmac_f32_e32 v12 /*v268*/, 0x32a5705f, v45
	s_set_vgpr_msb 4                        ;  msbs: dst=0 src0=0 src1=1 src2=0
	v_dual_sub_f32 v43, v43, v13 /*v269*/ :: v_dual_sub_f32 v42, v42, v11 /*v267*/
	s_set_vgpr_msb 0x41                     ;  msbs: dst=1 src0=1 src1=0 src2=0
	v_cvt_i32_f32_e32 v11 /*v267*/, v11 /*v267*/
	s_set_vgpr_msb 4                        ;  msbs: dst=0 src0=0 src1=1 src2=0
	s_delay_alu instid0(VALU_DEP_2) | instskip(SKIP_3) | instid1(VALU_DEP_2)
	v_dual_add_f32 v43, v43, v12 /*v268*/ :: v_dual_add_f32 v42, v42, v10 /*v266*/
	s_set_vgpr_msb 0x41                     ;  msbs: dst=1 src0=1 src1=0 src2=0
	v_cvt_i32_f32_e32 v10 /*v266*/, v13 /*v269*/
	s_set_vgpr_msb 64                       ;  msbs: dst=1 src0=0 src1=0 src2=0
	v_exp_f32_e32 v13 /*v269*/, v43
	v_exp_f32_e32 v12 /*v268*/, v42
	v_nop
	s_set_vgpr_msb 0                        ;  msbs: dst=0 src0=0 src1=0 src2=0
	v_add_nc_u64_e32 v[42:43], v[40:41], v[188:189]
	s_set_vgpr_msb 0x45                     ;  msbs: dst=1 src0=1 src1=1 src2=0
	s_delay_alu instid0(TRANS32_DEP_2) | instskip(NEXT) | instid1(TRANS32_DEP_1)
	v_ldexp_f32 v10 /*v266*/, v13 /*v269*/, v10 /*v266*/
	v_ldexp_f32 v11 /*v267*/, v12 /*v268*/, v11 /*v267*/
	s_delay_alu instid0(VALU_DEP_1)
	v_cndmask_b32_e32 v11 /*v267*/, 0, v11 /*v267*/, vcc_lo
	s_set_vgpr_msb 0                        ;  msbs: dst=0 src0=0 src1=0 src2=0
	v_cmp_ngt_f32_e32 vcc_lo, 0xc2ce8ed0, v45
	s_set_vgpr_msb 0x44                     ;  msbs: dst=1 src0=0 src1=1 src2=0
	v_cndmask_b32_e32 v12 /*v268*/, 0, v10 /*v266*/, vcc_lo
	s_set_vgpr_msb 64                       ;  msbs: dst=1 src0=0 src1=0 src2=0
	v_cmp_ngt_f32_e32 vcc_lo, 0xc2ce8ed0, v46
	v_cndmask_b32_e32 v13 /*v269*/, 0, v226, vcc_lo
	v_cmp_ngt_f32_e32 vcc_lo, 0xc2ce8ed0, v47
	s_set_vgpr_msb 0                        ;  msbs: dst=0 src0=0 src1=0 src2=0
	v_cndmask_b32_e32 v227, 0, v227, vcc_lo
	v_cmp_nlt_f32_e32 vcc_lo, 0x42b17218, v44
	s_set_vgpr_msb 0x44                     ;  msbs: dst=1 src0=0 src1=1 src2=0
	v_cndmask_b32_e32 v10 /*v266*/, 0x7f800000, v11 /*v267*/, vcc_lo
	s_set_vgpr_msb 1                        ;  msbs: dst=0 src0=1 src1=0 src2=0
	v_cmp_nlt_f32_e32 vcc_lo, 0x42b17218, v45
	s_delay_alu instid0(VALU_DEP_2)
	v_cvt_f16_f32_e64 v45, v10 /*v266*/
	s_set_vgpr_msb 4                        ;  msbs: dst=0 src0=0 src1=1 src2=0
	v_cndmask_b32_e32 v226, 0x7f800000, v12 /*v268*/, vcc_lo
	s_set_vgpr_msb 0                        ;  msbs: dst=0 src0=0 src1=0 src2=0
	v_cmp_nlt_f32_e32 vcc_lo, 0x42b17218, v47
	s_wait_xcnt 0x2
	v_and_b32_e32 v32, 0xffff, v45
	v_cvt_f16_f32_e64 v44, v226
	v_cndmask_b32_e32 v227, 0x7f800000, v227, vcc_lo
	v_cmp_nlt_f32_e32 vcc_lo, 0x42b17218, v46
	s_set_vgpr_msb 64                       ;  msbs: dst=1 src0=0 src1=0 src2=0
	v_mul_u32_u24_e32 v59 /*v315*/, 0x10001, v32
	s_set_vgpr_msb 0                        ;  msbs: dst=0 src0=0 src1=0 src2=0
	v_cvt_f16_f32_e64 v46, v227
	s_set_vgpr_msb 0x44                     ;  msbs: dst=1 src0=0 src1=1 src2=0
	v_cndmask_b32_e32 v11 /*v267*/, 0x7f800000, v13 /*v269*/, vcc_lo
	s_set_vgpr_msb 0x41                     ;  msbs: dst=1 src0=1 src1=0 src2=0
	v_add_nc_u64_e32 v[12:13] /*v[268:269]*/, v[24:25] /*v[280:281]*/, v[190:191]
	s_set_vgpr_msb 0                        ;  msbs: dst=0 src0=0 src1=0 src2=0
	ds_store_b16 v238, v44
	ds_store_b16 v238, v46 offset:256
	s_wait_dscnt 0x3
	s_set_vgpr_msb 0x45                     ;  msbs: dst=1 src0=1 src1=1 src2=0
	v_pk_mul_f16 v6 /*v262*/, v6 /*v262*/, v59 /*v315*/
	s_set_vgpr_msb 1                        ;  msbs: dst=0 src0=1 src1=0 src2=0
	v_cvt_f16_f32_e64 v47, v11 /*v267*/
	s_set_vgpr_msb 4                        ;  msbs: dst=0 src0=0 src1=1 src2=0
	v_pk_fma_f32 v[50:51], v[50:51], v[10:11] /*v[266:267]*/, v[226:227]
	s_set_vgpr_msb 0x45                     ;  msbs: dst=1 src0=1 src1=1 src2=0
	v_pk_mul_f16 v7 /*v263*/, v7 /*v263*/, v59 /*v315*/
	v_pk_mul_f16 v8 /*v264*/, v8 /*v264*/, v59 /*v315*/
	;; [unrolled: 1-line block ×3, first 2 shown]
	s_set_vgpr_msb 0                        ;  msbs: dst=0 src0=0 src1=0 src2=0
	v_and_b32_e32 v33, 0xffff, v47
	ds_load_b128 v[44:47], v246
	s_set_vgpr_msb 64                       ;  msbs: dst=1 src0=0 src1=0 src2=0
	s_clause 0x4
	global_load_b32 v55 /*v311*/, v[42:43], off offset:6
	s_set_vgpr_msb 0x41                     ;  msbs: dst=1 src0=1 src1=0 src2=0
	global_load_b32 v56 /*v312*/, v[12:13] /*v[268:269]*/, off offset:6
	global_load_u16 v57 /*v313*/, v[26:27] /*v[282:283]*/, off
	global_load_b32 v58 /*v314*/, v[24:25] /*v[280:281]*/, off offset:2
	s_wait_xcnt 0x3
	s_set_vgpr_msb 0                        ;  msbs: dst=0 src0=0 src1=0 src2=0
	ds_load_b128 v[40:43], v246 offset:256
	v_mul_u32_u24_e32 v227, 0x10001, v33
	ds_load_b128 v[36:39], v246 offset:16
	ds_load_b128 v[32:35], v246 offset:272
	s_wait_loadcnt 0x1f
	s_set_vgpr_msb 0x44                     ;  msbs: dst=1 src0=0 src1=1 src2=0
	v_mul_u32_u24_e32 v21 /*v277*/, 0x10001, v21 /*v277*/
	s_wait_dscnt 0x6
	s_set_vgpr_msb 0x41                     ;  msbs: dst=1 src0=1 src1=0 src2=0
	v_pk_mul_f16 v10 /*v266*/, v14 /*v270*/, v227
	s_wait_xcnt 0x2
	v_pk_mul_f16 v12 /*v268*/, v16 /*v272*/, v227
	v_pk_mul_f16 v13 /*v269*/, v17 /*v273*/, v227
	s_set_vgpr_msb 1                        ;  msbs: dst=0 src0=1 src1=0 src2=0
	v_pk_mul_f16 v227, v15 /*v271*/, v227
	s_wait_loadcnt 0x1c
	s_set_vgpr_msb 0x44                     ;  msbs: dst=1 src0=0 src1=1 src2=0
	v_dual_lshrrev_b32 v17 /*v273*/, v254, v20 /*v276*/ :: v_dual_lshrrev_b32 v68 /*v324*/, v254, v30 /*v286*/
	s_set_vgpr_msb 0x41                     ;  msbs: dst=1 src0=1 src1=0 src2=0
	v_lshrrev_b32_e32 v15 /*v271*/, v4 /*v260*/, v133
	s_set_vgpr_msb 0x45                     ;  msbs: dst=1 src0=1 src1=1 src2=0
	v_lshrrev_b32_e32 v67 /*v323*/, v4 /*v260*/, v20 /*v276*/
	v_dual_ashrrev_i32 v28 /*v284*/, v2 /*v258*/, v28 /*v284*/ :: v_dual_lshrrev_b32 v69 /*v325*/, v3 /*v259*/, v30 /*v286*/
	v_dual_lshrrev_b32 v70 /*v326*/, v4 /*v260*/, v30 /*v286*/ :: v_dual_lshrrev_b32 v30 /*v286*/, v5 /*v261*/, v30 /*v286*/
	s_wait_dscnt 0x3
	s_set_vgpr_msb 64                       ;  msbs: dst=1 src0=0 src1=0 src2=0
	v_lshrrev_b32_e32 v11 /*v267*/, 16, v44
	s_wait_dscnt 0x2
	v_dual_lshrrev_b32 v14 /*v270*/, 16, v40 :: v_dual_lshrrev_b32 v59 /*v315*/, 16, v45
	v_lshrrev_b32_e32 v61 /*v317*/, 16, v47
	v_lshrrev_b32_e32 v64 /*v320*/, 16, v43
	s_set_vgpr_msb 0                        ;  msbs: dst=0 src0=0 src1=0 src2=0
	v_and_b32_e32 v45, 0xffff, v45
	s_set_vgpr_msb 0x44                     ;  msbs: dst=1 src0=0 src1=1 src2=0
	v_mul_u32_u24_e32 v16 /*v272*/, 0x10001, v11 /*v267*/
	v_mul_u32_u24_e32 v65 /*v321*/, 0x10001, v14 /*v270*/
	s_set_vgpr_msb 64                       ;  msbs: dst=1 src0=0 src1=0 src2=0
	v_lshrrev_b32_e32 v11 /*v267*/, v254, v133
	s_set_vgpr_msb 0x41                     ;  msbs: dst=1 src0=1 src1=0 src2=0
	v_lshrrev_b32_e32 v14 /*v270*/, v3 /*v259*/, v133
	s_set_vgpr_msb 1                        ;  msbs: dst=0 src0=1 src1=0 src2=0
	v_lshrrev_b32_e32 v133, v5 /*v261*/, v133
	s_set_vgpr_msb 64                       ;  msbs: dst=1 src0=0 src1=0 src2=0
	v_mul_u32_u24_e32 v66 /*v322*/, 0x10001, v45
	s_wait_loadcnt 0x1a
	s_set_vgpr_msb 0x45                     ;  msbs: dst=1 src0=1 src1=1 src2=0
	v_dual_ashrrev_i32 v31 /*v287*/, v2 /*v258*/, v31 /*v287*/ :: v_dual_ashrrev_i32 v32 /*v288*/, v2 /*v258*/, v32 /*v288*/
	s_set_vgpr_msb 4                        ;  msbs: dst=0 src0=0 src1=1 src2=0
	v_lshlrev_b32_e32 v45, 4, v11 /*v267*/
	s_set_vgpr_msb 0x45                     ;  msbs: dst=1 src0=1 src1=1 src2=0
	v_dual_lshlrev_b32 v11 /*v267*/, 12, v14 /*v270*/ :: v_dual_lshlrev_b32 v14 /*v270*/, 20, v15 /*v271*/
	v_dual_ashrrev_i32 v15 /*v271*/, v2 /*v258*/, v18 /*v274*/ :: v_dual_lshrrev_b32 v18 /*v274*/, v3 /*v259*/, v20 /*v276*/
	v_lshrrev_b32_e32 v20 /*v276*/, v5 /*v261*/, v20 /*v276*/
	s_set_vgpr_msb 0                        ;  msbs: dst=0 src0=0 src1=0 src2=0
	v_lshlrev_b32_e32 v133, 28, v133
	s_wait_loadcnt 0x11
	s_set_vgpr_msb 0x44                     ;  msbs: dst=1 src0=0 src1=1 src2=0
	v_dual_lshrrev_b32 v71 /*v327*/, v254, v34 /*v290*/ :: v_dual_lshrrev_b32 v77 /*v333*/, v254, v41 /*v297*/
	s_set_vgpr_msb 0x45                     ;  msbs: dst=1 src0=1 src1=1 src2=0
	v_dual_lshrrev_b32 v72 /*v328*/, v3 /*v259*/, v34 /*v290*/ :: v_dual_lshrrev_b32 v73 /*v329*/, v4 /*v260*/, v34 /*v290*/
	v_dual_lshrrev_b32 v34 /*v290*/, v5 /*v261*/, v34 /*v290*/ :: v_dual_ashrrev_i32 v36 /*v292*/, v2 /*v258*/, v36 /*v292*/
	s_set_vgpr_msb 0x44                     ;  msbs: dst=1 src0=0 src1=1 src2=0
	v_dual_lshrrev_b32 v74 /*v330*/, v254, v38 /*v294*/ :: v_dual_lshlrev_b32 v17 /*v273*/, 4, v17 /*v273*/
	s_set_vgpr_msb 0x45                     ;  msbs: dst=1 src0=1 src1=1 src2=0
	v_dual_lshrrev_b32 v78 /*v334*/, v3 /*v259*/, v41 /*v297*/ :: v_dual_lshlrev_b32 v18 /*v274*/, 12, v18 /*v274*/
	v_dual_lshlrev_b32 v67 /*v323*/, 20, v67 /*v323*/ :: v_dual_lshlrev_b32 v20 /*v276*/, 28, v20 /*v276*/
	v_dual_lshlrev_b32 v70 /*v326*/, 20, v70 /*v326*/ :: v_dual_lshlrev_b32 v71 /*v327*/, 4, v71 /*v327*/
	;; [unrolled: 1-line block ×3, first 2 shown]
	s_set_vgpr_msb 0                        ;  msbs: dst=0 src0=0 src1=0 src2=0
	v_and_b32_e32 v45, 16, v45
	s_set_vgpr_msb 0x44                     ;  msbs: dst=1 src0=0 src1=1 src2=0
	v_and_b32_e32 v11 /*v267*/, 0x1000, v11 /*v267*/
	v_and_b32_e32 v14 /*v270*/, 0x100000, v14 /*v270*/
	s_set_vgpr_msb 0                        ;  msbs: dst=0 src0=0 src1=0 src2=0
	v_and_b32_e32 v133, 0x10000000, v133
	s_set_vgpr_msb 0x45                     ;  msbs: dst=1 src0=1 src1=1 src2=0
	v_and_b32_e32 v15 /*v271*/, 0xf0f0f0f, v15 /*v271*/
	v_and_b32_e32 v28 /*v284*/, 0xf0f0f0f, v28 /*v284*/
	;; [unrolled: 1-line block ×3, first 2 shown]
	v_dual_lshlrev_b32 v73 /*v329*/, 20, v73 /*v329*/ :: v_dual_lshlrev_b32 v34 /*v290*/, 28, v34 /*v290*/
	v_and_b32_e32 v17 /*v273*/, 16, v17 /*v273*/
	v_and_b32_e32 v18 /*v274*/, 0x1000, v18 /*v274*/
	;; [unrolled: 1-line block ×6, first 2 shown]
	v_dual_lshrrev_b32 v75 /*v331*/, v3 /*v259*/, v38 /*v294*/ :: v_dual_lshrrev_b32 v76 /*v332*/, v4 /*v260*/, v38 /*v294*/
	v_dual_lshrrev_b32 v38 /*v294*/, v5 /*v261*/, v38 /*v294*/ :: v_dual_ashrrev_i32 v39 /*v295*/, v2 /*v258*/, v39 /*v295*/
	v_dual_lshlrev_b32 v68 /*v324*/, 4, v68 /*v324*/ :: v_dual_lshlrev_b32 v69 /*v325*/, 12, v69 /*v325*/
	v_and_b32_e32 v32 /*v288*/, 0xf0f0f0f, v32 /*v288*/
	s_set_vgpr_msb 20                       ;  msbs: dst=0 src0=0 src1=1 src2=1
	v_or3_b32 v45, v45, v31 /*v287*/, v11 /*v267*/
	s_set_vgpr_msb 5                        ;  msbs: dst=0 src0=1 src1=1 src2=0
	v_or3_b32 v133, v31 /*v287*/, v14 /*v270*/, v133
	s_set_vgpr_msb 0x55                     ;  msbs: dst=1 src0=1 src1=1 src2=1
	v_and_b32_e32 v14 /*v270*/, 0x1000, v72 /*v328*/
	v_and_b32_e32 v31 /*v287*/, 0x100000, v73 /*v329*/
	;; [unrolled: 1-line block ×3, first 2 shown]
	v_or3_b32 v17 /*v273*/, v17 /*v273*/, v15 /*v271*/, v18 /*v274*/
	v_or3_b32 v15 /*v271*/, v15 /*v271*/, v67 /*v323*/, v20 /*v276*/
	;; [unrolled: 1-line block ×3, first 2 shown]
	v_dual_lshlrev_b32 v76 /*v332*/, 20, v76 /*v332*/ :: v_dual_bitop2_b32 v11 /*v267*/, 16, v71 /*v327*/ bitop3:0x40
	v_lshlrev_b32_e32 v38 /*v294*/, 28, v38 /*v294*/
	v_and_b32_e32 v69 /*v325*/, 0x1000, v69 /*v325*/
	s_delay_alu instid0(VALU_DEP_4) | instskip(NEXT) | instid1(VALU_DEP_4)
	v_lshrrev_b32_e32 v20 /*v276*/, 16, v20 /*v276*/
	v_or3_b32 v11 /*v267*/, v11 /*v267*/, v32 /*v288*/, v14 /*v270*/
	v_or3_b32 v14 /*v270*/, v32 /*v288*/, v31 /*v287*/, v34 /*v290*/
	v_and_b32_e32 v68 /*v324*/, 16, v68 /*v324*/
	v_and_b32_e32 v36 /*v292*/, 0xf0f0f0f, v36 /*v292*/
	v_dual_lshlrev_b32 v74 /*v330*/, 4, v74 /*v330*/ :: v_dual_lshlrev_b32 v75 /*v331*/, 12, v75 /*v331*/
	v_and_b32_e32 v73 /*v329*/, 0x100000, v76 /*v332*/
	v_and_b32_e32 v38 /*v294*/, 0x10000000, v38 /*v294*/
	v_lshrrev_b32_e32 v14 /*v270*/, 16, v14 /*v270*/
	v_or3_b32 v18 /*v274*/, v68 /*v324*/, v28 /*v284*/, v69 /*v325*/
	v_and_b32_e32 v72 /*v328*/, 0x1000, v75 /*v331*/
	s_set_vgpr_msb 0                        ;  msbs: dst=0 src0=0 src1=0 src2=0
	v_lshrrev_b32_e32 v133, 16, v133
	s_set_vgpr_msb 64                       ;  msbs: dst=1 src0=0 src1=0 src2=0
	v_lshlrev_b16 v28 /*v284*/, 8, v45
	s_set_vgpr_msb 0x55                     ;  msbs: dst=1 src0=1 src1=1 src2=1
	v_or3_b32 v31 /*v287*/, v36 /*v292*/, v73 /*v329*/, v38 /*v294*/
	v_dual_lshrrev_b32 v15 /*v271*/, 16, v15 /*v271*/ :: v_dual_bitop2_b32 v71 /*v327*/, 16, v74 /*v330*/ bitop3:0x40
	v_lshlrev_b16 v32 /*v288*/, 8, v17 /*v273*/
	v_lshlrev_b16 v34 /*v290*/, 8, v18 /*v274*/
	v_add_nc_u16 v28 /*v284*/, 0xf000, v28 /*v284*/
	v_lshlrev_b16 v38 /*v294*/, 8, v11 /*v267*/
	v_lshrrev_b32_e32 v31 /*v287*/, 16, v31 /*v287*/
	v_or3_b32 v30 /*v286*/, v71 /*v327*/, v36 /*v292*/, v72 /*v328*/
	s_set_vgpr_msb 64                       ;  msbs: dst=1 src0=0 src1=0 src2=0
	v_lshlrev_b16 v36 /*v292*/, 8, v133
	s_set_vgpr_msb 0                        ;  msbs: dst=0 src0=0 src1=0 src2=0
	v_and_b32_e32 v133, 0x1f00, v133
	s_set_vgpr_msb 0x44                     ;  msbs: dst=1 src0=0 src1=1 src2=0
	v_add_nc_u16 v32 /*v288*/, 0xf000, v32 /*v288*/
	v_lshlrev_b16 v68 /*v324*/, 8, v15 /*v271*/
	v_and_b32_e32 v15 /*v271*/, 0x1f00, v15 /*v271*/
	v_add_nc_u16 v34 /*v290*/, 0xf000, v34 /*v290*/
	v_dual_lshlrev_b32 v77 /*v333*/, 4, v77 /*v333*/ :: v_dual_lshlrev_b32 v78 /*v334*/, 12, v78 /*v334*/
	v_lshlrev_b16 v67 /*v323*/, 8, v30 /*v286*/
	v_lshlrev_b16 v69 /*v325*/, 8, v20 /*v276*/
	v_and_b32_e32 v20 /*v276*/, 0x1f00, v20 /*v276*/
	v_lshrrev_b16 v28 /*v284*/, 8, v28 /*v284*/
	v_add_nc_u16 v36 /*v292*/, 0xf000, v36 /*v292*/
	s_set_vgpr_msb 0                        ;  msbs: dst=0 src0=0 src1=0 src2=0
	v_add_nc_u16 v133, 0xf000, v133
	s_set_vgpr_msb 0x44                     ;  msbs: dst=1 src0=0 src1=1 src2=0
	v_add_nc_u16 v38 /*v294*/, 0xf000, v38 /*v294*/
	v_lshlrev_b16 v70 /*v326*/, 8, v14 /*v270*/
	v_and_b32_e32 v14 /*v270*/, 0x1f00, v14 /*v270*/
	v_lshrrev_b16 v32 /*v288*/, 8, v32 /*v288*/
	v_add_nc_u16 v15 /*v271*/, 0xf000, v15 /*v271*/
	v_lshrrev_b16 v34 /*v290*/, 8, v34 /*v290*/
	v_and_b32_e32 v74 /*v330*/, 16, v77 /*v333*/
	v_add_nc_u16 v67 /*v323*/, 0xf000, v67 /*v323*/
	v_add_nc_u16 v68 /*v324*/, 0xf000, v68 /*v324*/
	;; [unrolled: 1-line block ×3, first 2 shown]
	s_set_vgpr_msb 4                        ;  msbs: dst=0 src0=0 src1=1 src2=0
	v_bitop3_b16 v45, v45, v28 /*v284*/, 0x1f00 bitop3:0xec
	s_set_vgpr_msb 0                        ;  msbs: dst=0 src0=0 src1=0 src2=0
	v_lshrrev_b32_e32 v133, 8, v133
	s_set_vgpr_msb 0x45                     ;  msbs: dst=1 src0=1 src1=1 src2=0
	v_ashrrev_i16 v28 /*v284*/, 8, v36 /*v292*/
	v_lshrrev_b16 v36 /*v292*/, 8, v38 /*v294*/
	v_add_nc_u16 v14 /*v270*/, 0xf000, v14 /*v270*/
	v_bitop3_b16 v17 /*v273*/, v17 /*v273*/, v32 /*v288*/, 0x1f00 bitop3:0xec
	v_lshrrev_b32_e32 v15 /*v271*/, 8, v15 /*v271*/
	v_bitop3_b16 v18 /*v274*/, v18 /*v274*/, v34 /*v290*/, 0x1f00 bitop3:0xec
	v_add_nc_u16 v69 /*v325*/, 0xf000, v69 /*v325*/
	v_add_nc_u16 v38 /*v294*/, 0xf000, v70 /*v326*/
	v_lshrrev_b16 v67 /*v323*/, 8, v67 /*v323*/
	v_ashrrev_i16 v32 /*v288*/, 8, v68 /*v324*/
	v_dual_lshrrev_b32 v20 /*v276*/, 8, v20 /*v276*/ :: v_dual_lshrrev_b32 v14 /*v270*/, 8, v14 /*v270*/
	s_set_vgpr_msb 0                        ;  msbs: dst=0 src0=0 src1=0 src2=0
	v_add_nc_u16 v45, 0xf000, v45
	v_bfe_i32 v133, v133, 0, 8
	s_set_vgpr_msb 0x45                     ;  msbs: dst=1 src0=1 src1=1 src2=0
	v_bitop3_b16 v11 /*v267*/, v11 /*v267*/, v36 /*v292*/, 0x1f00 bitop3:0xec
	v_add_nc_u16 v17 /*v273*/, 0xf000, v17 /*v273*/
	v_bfe_i32 v15 /*v271*/, v15 /*v271*/, 0, 8
	v_add_nc_u16 v18 /*v274*/, 0xf000, v18 /*v274*/
	v_ashrrev_i16 v34 /*v290*/, 8, v69 /*v325*/
	v_cvt_f16_i16_e64 v28 /*v284*/, v28 /*v284*/
	v_ashrrev_i16 v36 /*v292*/, 8, v38 /*v294*/
	v_bitop3_b16 v30 /*v286*/, v30 /*v286*/, v67 /*v323*/, 0x1f00 bitop3:0xec
	v_cvt_f16_i16_e64 v32 /*v288*/, v32 /*v288*/
	v_bfe_i32 v20 /*v276*/, v20 /*v276*/, 0, 8
	s_set_vgpr_msb 64                       ;  msbs: dst=1 src0=0 src1=0 src2=0
	v_lshrrev_b32_e32 v38 /*v294*/, 8, v45
	s_set_vgpr_msb 0                        ;  msbs: dst=0 src0=0 src1=0 src2=0
	v_cvt_f16_i16_e64 v133, v133
	s_set_vgpr_msb 0x44                     ;  msbs: dst=1 src0=0 src1=1 src2=0
	v_add_nc_u16 v11 /*v267*/, 0xf000, v11 /*v267*/
	s_set_vgpr_msb 0x41                     ;  msbs: dst=1 src0=1 src1=0 src2=0
	v_bfe_i32 v14 /*v270*/, v14 /*v270*/, 0, 8
	s_set_vgpr_msb 0x44                     ;  msbs: dst=1 src0=0 src1=1 src2=0
	v_dual_lshrrev_b32 v67 /*v323*/, 8, v17 /*v273*/ :: v_dual_lshrrev_b32 v68 /*v324*/, 8, v18 /*v274*/
	s_set_vgpr_msb 0x41                     ;  msbs: dst=1 src0=1 src1=0 src2=0
	v_cvt_f16_i16_e64 v15 /*v271*/, v15 /*v271*/
	s_set_vgpr_msb 0                        ;  msbs: dst=0 src0=0 src1=0 src2=0
	v_and_b32_e32 v40, 0xffff, v40
	s_set_vgpr_msb 0x41                     ;  msbs: dst=1 src0=1 src1=0 src2=0
	v_cvt_f16_i16_e64 v34 /*v290*/, v34 /*v290*/
	s_set_vgpr_msb 0                        ;  msbs: dst=0 src0=0 src1=0 src2=0
	v_bfe_i32 v45, v45, 0, 8
	s_set_vgpr_msb 0x41                     ;  msbs: dst=1 src0=1 src1=0 src2=0
	v_cvt_f16_i16_e64 v36 /*v292*/, v36 /*v292*/
	s_set_vgpr_msb 0x44                     ;  msbs: dst=1 src0=0 src1=1 src2=0
	v_add_nc_u16 v30 /*v286*/, 0xf000, v30 /*v286*/
	s_set_vgpr_msb 0x41                     ;  msbs: dst=1 src0=1 src1=0 src2=0
	v_bfe_i32 v17 /*v273*/, v17 /*v273*/, 0, 8
	v_bfe_i32 v18 /*v274*/, v18 /*v274*/, 0, 8
	v_cvt_f16_i16_e64 v20 /*v276*/, v20 /*v276*/
	v_bfe_i32 v38 /*v294*/, v38 /*v294*/, 0, 8
	s_set_vgpr_msb 1                        ;  msbs: dst=0 src0=1 src1=0 src2=0
	v_pack_b32_f16 v133, v28 /*v284*/, v133
	s_set_vgpr_msb 0x44                     ;  msbs: dst=1 src0=0 src1=1 src2=0
	v_dual_lshrrev_b32 v28 /*v284*/, 8, v11 /*v267*/ :: v_dual_lshrrev_b32 v69 /*v325*/, 8, v30 /*v286*/
	s_set_vgpr_msb 0x45                     ;  msbs: dst=1 src0=1 src1=1 src2=0
	v_bfe_i32 v11 /*v267*/, v11 /*v267*/, 0, 8
	v_cvt_f16_i16_e64 v14 /*v270*/, v14 /*v270*/
	v_bfe_i32 v67 /*v323*/, v67 /*v323*/, 0, 8
	v_pack_b32_f16 v15 /*v271*/, v32 /*v288*/, v15 /*v271*/
	v_bfe_i32 v32 /*v288*/, v68 /*v324*/, 0, 8
	s_set_vgpr_msb 0                        ;  msbs: dst=0 src0=0 src1=0 src2=0
	v_and_b32_e32 v44, 0xffff, v44
	v_mul_u32_u24_e32 v40, 0x10001, v40
	s_set_vgpr_msb 0x44                     ;  msbs: dst=1 src0=0 src1=1 src2=0
	v_mul_u32_u24_e32 v35 /*v291*/, 0x10001, v35 /*v291*/
	s_set_vgpr_msb 0                        ;  msbs: dst=0 src0=0 src1=0 src2=0
	v_cvt_f16_i16_e32 v45, v45
	s_set_vgpr_msb 0x45                     ;  msbs: dst=1 src0=1 src1=1 src2=0
	v_cvt_f16_i16_e64 v17 /*v273*/, v17 /*v273*/
	v_cvt_f16_i16_e64 v18 /*v274*/, v18 /*v274*/
	v_pack_b32_f16 v20 /*v276*/, v34 /*v290*/, v20 /*v276*/
	v_cvt_f16_i16_e64 v34 /*v290*/, v38 /*v294*/
	v_bfe_i32 v28 /*v284*/, v28 /*v284*/, 0, 8
	v_cvt_f16_i16_e64 v38 /*v294*/, v11 /*v267*/
	v_pack_b32_f16 v11 /*v267*/, v36 /*v292*/, v14 /*v270*/
	v_cvt_f16_i16_e64 v14 /*v270*/, v67 /*v323*/
	v_pk_mul_f16 v15 /*v271*/, v15 /*v271*/, v21 /*v277*/
	v_cvt_f16_i16_e64 v32 /*v288*/, v32 /*v288*/
	s_set_vgpr_msb 0                        ;  msbs: dst=0 src0=0 src1=0 src2=0
	v_mul_u32_u24_e32 v44, 0x10001, v44
	s_set_vgpr_msb 0x44                     ;  msbs: dst=1 src0=0 src1=1 src2=0
	v_mul_u32_u24_e32 v19 /*v275*/, 0x10001, v19 /*v275*/
	v_mul_u32_u24_e32 v29 /*v285*/, 0x10001, v29 /*v285*/
	s_set_vgpr_msb 4                        ;  msbs: dst=0 src0=0 src1=1 src2=0
	v_pack_b32_f16 v45, v45, v34 /*v290*/
	s_set_vgpr_msb 0x45                     ;  msbs: dst=1 src0=1 src1=1 src2=0
	v_cvt_f16_i16_e64 v28 /*v284*/, v28 /*v284*/
	v_pk_mul_f16 v34 /*v290*/, v11 /*v267*/, v35 /*v291*/
	v_pack_b32_f16 v14 /*v270*/, v17 /*v273*/, v14 /*v270*/
	s_set_vgpr_msb 0x41                     ;  msbs: dst=1 src0=1 src1=0 src2=0
	v_pk_fma_f16 v11 /*v267*/, v15 /*v271*/, v40, v227
	s_set_vgpr_msb 5                        ;  msbs: dst=0 src0=1 src1=1 src2=0
	v_pack_b32_f16 v227, v18 /*v274*/, v32 /*v288*/
	s_set_vgpr_msb 4                        ;  msbs: dst=0 src0=0 src1=1 src2=0
	v_pk_mul_f16 v133, v133, v29 /*v285*/
	s_set_vgpr_msb 0x45                     ;  msbs: dst=1 src0=1 src1=1 src2=0
	v_pk_mul_f16 v20 /*v276*/, v20 /*v276*/, v19 /*v275*/
	s_set_vgpr_msb 0x51                     ;  msbs: dst=1 src0=1 src1=0 src2=1
	v_pk_fma_f16 v7 /*v263*/, v15 /*v271*/, v44, v7 /*v263*/
	s_set_vgpr_msb 0x45                     ;  msbs: dst=1 src0=1 src1=1 src2=0
	v_pack_b32_f16 v17 /*v273*/, v38 /*v294*/, v28 /*v284*/
	v_pk_mul_f16 v14 /*v270*/, v14 /*v270*/, v21 /*v277*/
	s_set_vgpr_msb 4                        ;  msbs: dst=0 src0=0 src1=1 src2=0
	v_pk_mul_f16 v227, v227, v19 /*v275*/
	s_set_vgpr_msb 0x44                     ;  msbs: dst=1 src0=0 src1=1 src2=0
	v_and_b32_e32 v39 /*v295*/, 0xf0f0f0f, v39 /*v295*/
	v_and_b32_e32 v75 /*v331*/, 0x1000, v78 /*v334*/
	ds_store_b64 v239, v[12:13] /*v[268:269]*/ offset:24
	v_lshlrev_b16 v71 /*v327*/, 8, v31 /*v287*/
	v_and_b32_e32 v31 /*v287*/, 0x1f00, v31 /*v287*/
	s_set_vgpr_msb 0x51                     ;  msbs: dst=1 src0=1 src1=0 src2=1
	v_pk_fma_f16 v9 /*v265*/, v20 /*v276*/, v44, v9 /*v265*/
	s_set_vgpr_msb 4                        ;  msbs: dst=0 src0=0 src1=1 src2=0
	v_pk_mul_f16 v45, v45, v29 /*v285*/
	s_set_vgpr_msb 0x54                     ;  msbs: dst=1 src0=0 src1=1 src2=1
	v_pk_fma_f16 v15 /*v271*/, v133, v16 /*v272*/, v7 /*v263*/
	v_pk_fma_f16 v19 /*v275*/, v133, v65 /*v321*/, v11 /*v267*/
	s_set_vgpr_msb 5                        ;  msbs: dst=0 src0=1 src1=1 src2=0
	v_pk_mul_f16 v133, v17 /*v273*/, v35 /*v291*/
	s_set_vgpr_msb 0x51                     ;  msbs: dst=1 src0=1 src1=0 src2=1
	v_pk_fma_f16 v6 /*v262*/, v14 /*v270*/, v44, v6 /*v262*/
	s_set_vgpr_msb 0x50                     ;  msbs: dst=1 src0=0 src1=0 src2=1
	v_pk_fma_f16 v8 /*v264*/, v227, v44, v8 /*v264*/
	v_pk_fma_f16 v12 /*v268*/, v227, v40, v12 /*v268*/
	s_set_vgpr_msb 0x51                     ;  msbs: dst=1 src0=1 src1=0 src2=1
	v_pk_fma_f16 v13 /*v269*/, v20 /*v276*/, v40, v13 /*v269*/
	v_pk_fma_f16 v10 /*v266*/, v14 /*v270*/, v40, v10 /*v266*/
	s_set_vgpr_msb 21                       ;  msbs: dst=0 src0=1 src1=1 src2=1
	v_or3_b32 v44, v74 /*v330*/, v39 /*v295*/, v75 /*v331*/
	s_set_vgpr_msb 0x55                     ;  msbs: dst=1 src0=1 src1=1 src2=1
	v_pk_fma_f16 v17 /*v273*/, v34 /*v290*/, v16 /*v272*/, v9 /*v265*/
	s_set_vgpr_msb 0x54                     ;  msbs: dst=1 src0=0 src1=1 src2=1
	v_pk_fma_f16 v14 /*v270*/, v45, v16 /*v272*/, v6 /*v262*/
	v_pk_fma_f16 v16 /*v272*/, v133, v16 /*v272*/, v8 /*v264*/
	;; [unrolled: 1-line block ×3, first 2 shown]
	s_set_vgpr_msb 4                        ;  msbs: dst=0 src0=0 src1=1 src2=0
	v_add_nc_u16 v133, 0xf000, v31 /*v287*/
	s_set_vgpr_msb 0x55                     ;  msbs: dst=1 src0=1 src1=1 src2=1
	v_pk_fma_f16 v21 /*v277*/, v34 /*v290*/, v65 /*v321*/, v13 /*v269*/
	s_set_vgpr_msb 0x54                     ;  msbs: dst=1 src0=0 src1=1 src2=1
	v_pk_fma_f16 v18 /*v274*/, v45, v65 /*v321*/, v10 /*v266*/
	ds_store_b128 v239, v[6:9] /*v[262:265]*/
	ds_store_b128 v239, v[10:13] /*v[266:269]*/ offset:16
	ds_store_b128 v239, v[14:17] /*v[270:273]*/
	ds_store_b128 v239, v[18:21] /*v[274:277]*/ offset:16
	s_set_vgpr_msb 64                       ;  msbs: dst=1 src0=0 src1=0 src2=0
	v_lshlrev_b16 v6 /*v262*/, 8, v44
	s_set_vgpr_msb 4                        ;  msbs: dst=0 src0=0 src1=1 src2=0
	v_add_nc_u16 v227, 0xf000, v71 /*v327*/
	s_set_vgpr_msb 1                        ;  msbs: dst=0 src0=1 src1=0 src2=0
	v_lshrrev_b32_e32 v133, 8, v133
	v_bfe_i32 v40, v30 /*v286*/, 0, 8
	v_bfe_i32 v45, v69 /*v325*/, 0, 8
	s_set_vgpr_msb 0x45                     ;  msbs: dst=1 src0=1 src1=1 src2=0
	v_dual_lshrrev_b32 v7 /*v263*/, v4 /*v260*/, v41 /*v297*/ :: v_dual_lshrrev_b32 v8 /*v264*/, v5 /*v261*/, v41 /*v297*/
	v_add_nc_u16 v6 /*v262*/, 0xf000, v6 /*v262*/
	s_set_vgpr_msb 0                        ;  msbs: dst=0 src0=0 src1=0 src2=0
	v_ashrrev_i16 v227, 8, v227
	v_bfe_i32 v133, v133, 0, 8
	v_cvt_f16_i16_e32 v40, v40
	v_cvt_f16_i16_e32 v45, v45
	s_set_vgpr_msb 0x44                     ;  msbs: dst=1 src0=0 src1=1 src2=0
	v_dual_lshlrev_b32 v7 /*v263*/, 20, v7 /*v263*/ :: v_dual_lshlrev_b32 v8 /*v264*/, 28, v8 /*v264*/
	v_lshrrev_b16 v6 /*v262*/, 8, v6 /*v262*/
	s_set_vgpr_msb 0                        ;  msbs: dst=0 src0=0 src1=0 src2=0
	v_cvt_f16_i16_e64 v227, v227
	v_cvt_f16_i16_e64 v133, v133
	s_set_vgpr_msb 64                       ;  msbs: dst=1 src0=0 src1=0 src2=0
	v_dual_lshrrev_b32 v62 /*v318*/, 16, v41 :: v_dual_lshrrev_b32 v63 /*v319*/, 16, v42
	s_set_vgpr_msb 0                        ;  msbs: dst=0 src0=0 src1=0 src2=0
	v_and_b32_e32 v41, 0xffff, v41
	s_set_vgpr_msb 0x44                     ;  msbs: dst=1 src0=0 src1=1 src2=0
	v_and_b32_e32 v7 /*v263*/, 0x100000, v7 /*v263*/
	v_and_b32_e32 v8 /*v264*/, 0x10000000, v8 /*v264*/
	s_set_vgpr_msb 4                        ;  msbs: dst=0 src0=0 src1=1 src2=0
	v_bitop3_b16 v44, v44, v6 /*v262*/, 0x1f00 bitop3:0xec
	s_set_vgpr_msb 0x44                     ;  msbs: dst=1 src0=0 src1=1 src2=0
	v_mul_u32_u24_e32 v6 /*v262*/, 0x10001, v33 /*v289*/
	s_set_vgpr_msb 0                        ;  msbs: dst=0 src0=0 src1=0 src2=0
	v_pack_b32_f16 v40, v40, v45
	v_pack_b32_f16 v45, v227, v133
	s_set_vgpr_msb 21                       ;  msbs: dst=0 src0=1 src1=1 src2=1
	v_or3_b32 v133, v39 /*v295*/, v7 /*v263*/, v8 /*v264*/
	s_set_vgpr_msb 64                       ;  msbs: dst=1 src0=0 src1=0 src2=0
	v_mul_u32_u24_e32 v28 /*v284*/, 0x10001, v41
	s_set_vgpr_msb 0                        ;  msbs: dst=0 src0=0 src1=0 src2=0
	v_add_nc_u16 v227, 0xf000, v44
	s_set_vgpr_msb 0x44                     ;  msbs: dst=1 src0=0 src1=1 src2=0
	v_pk_mul_f16 v7 /*v263*/, v40, v6 /*v262*/
	s_set_vgpr_msb 1                        ;  msbs: dst=0 src0=1 src1=0 src2=0
	v_add_nc_u64_e32 v[40:41], v[26:27] /*v[282:283]*/, v[188:189]
	s_set_vgpr_msb 0x44                     ;  msbs: dst=1 src0=0 src1=1 src2=0
	v_pk_mul_f16 v11 /*v267*/, v45, v6 /*v262*/
	s_set_vgpr_msb 1                        ;  msbs: dst=0 src0=1 src1=0 src2=0
	v_add_nc_u64_e32 v[44:45], v[22:23] /*v[278:279]*/, v[230:231]
	s_set_vgpr_msb 64                       ;  msbs: dst=1 src0=0 src1=0 src2=0
	s_clause 0x4
	global_load_b32 v29 /*v285*/, v[40:41], off offset:6
	global_load_u16 v30 /*v286*/, v[44:45], off
	s_set_vgpr_msb 0x41                     ;  msbs: dst=1 src0=1 src1=0 src2=0
	global_load_b32 v31 /*v287*/, v[26:27] /*v[282:283]*/, off offset:2
	global_load_u16 v32 /*v288*/, v[24:25] /*v[280:281]*/, off
	v_lshrrev_b32_e32 v8 /*v264*/, 8, v227
	s_set_vgpr_msb 0                        ;  msbs: dst=0 src0=0 src1=0 src2=0
	v_bfe_i32 v227, v227, 0, 8
	v_lshrrev_b32_e32 v133, 16, v133
	s_set_vgpr_msb 0x55                     ;  msbs: dst=1 src0=1 src1=1 src2=1
	v_pk_fma_f16 v10 /*v266*/, v7 /*v263*/, v28 /*v284*/, v18 /*v274*/
	v_pk_fma_f16 v6 /*v262*/, v7 /*v263*/, v66 /*v322*/, v14 /*v270*/
	v_bfe_i32 v8 /*v264*/, v8 /*v264*/, 0, 8
	s_wait_xcnt 0x3
	s_set_vgpr_msb 0                        ;  msbs: dst=0 src0=0 src1=0 src2=0
	v_cvt_f16_i16_e64 v40, v227
	s_set_vgpr_msb 64                       ;  msbs: dst=1 src0=0 src1=0 src2=0
	v_lshlrev_b16 v9 /*v265*/, 8, v133
	s_wait_loadcnt 0x12
	s_set_vgpr_msb 0x45                     ;  msbs: dst=1 src0=1 src1=1 src2=0
	v_lshrrev_b32_e32 v34 /*v290*/, v5 /*v261*/, v44 /*v300*/
	s_set_vgpr_msb 0x44                     ;  msbs: dst=1 src0=0 src1=1 src2=0
	v_lshrrev_b32_e32 v7 /*v263*/, v254, v44 /*v300*/
	s_set_vgpr_msb 1                        ;  msbs: dst=0 src0=1 src1=0 src2=0
	v_cvt_f16_i16_e64 v41, v8 /*v264*/
	s_set_vgpr_msb 0x45                     ;  msbs: dst=1 src0=1 src1=1 src2=0
	v_lshrrev_b32_e32 v8 /*v264*/, v3 /*v259*/, v44 /*v300*/
	s_set_vgpr_msb 4                        ;  msbs: dst=0 src0=0 src1=1 src2=0
	v_add_nc_u16 v227, 0xf000, v9 /*v265*/
	s_set_vgpr_msb 0x45                     ;  msbs: dst=1 src0=1 src1=1 src2=0
	v_ashrrev_i32_e32 v9 /*v265*/, v2 /*v258*/, v42 /*v298*/
	s_set_vgpr_msb 0                        ;  msbs: dst=0 src0=0 src1=0 src2=0
	v_and_b32_e32 v133, 0x1f00, v133
	s_set_vgpr_msb 64                       ;  msbs: dst=1 src0=0 src1=0 src2=0
	v_pack_b32_f16 v18 /*v274*/, v40, v41
	s_set_vgpr_msb 0                        ;  msbs: dst=0 src0=0 src1=0 src2=0
	v_add_nc_u64_e32 v[40:41], s[10:11], v[130:131]
	s_set_vgpr_msb 0x44                     ;  msbs: dst=1 src0=0 src1=1 src2=0
	v_dual_lshlrev_b32 v7 /*v263*/, 4, v7 /*v263*/ :: v_dual_lshlrev_b32 v12 /*v268*/, 12, v8 /*v264*/
	s_wait_xcnt 0x1
	v_and_b32_e32 v26 /*v282*/, 0xf0f0f0f, v9 /*v265*/
	s_set_vgpr_msb 0                        ;  msbs: dst=0 src0=0 src1=0 src2=0
	v_add_nc_u16 v133, 0xf000, v133
	s_set_vgpr_msb 0x45                     ;  msbs: dst=1 src0=1 src1=1 src2=0
	v_dual_lshrrev_b32 v33 /*v289*/, v4 /*v260*/, v44 /*v300*/ :: v_dual_bitop2_b32 v7 /*v263*/, 16, v7 /*v263*/ bitop3:0x40
	s_set_vgpr_msb 64                       ;  msbs: dst=1 src0=0 src1=0 src2=0
	v_add_nc_u64_e32 v[8:9] /*v[264:265]*/, v[40:41], v[232:233]
	s_set_vgpr_msb 0                        ;  msbs: dst=0 src0=0 src1=0 src2=0
	v_add_nc_u64_e32 v[40:41], v[40:41], v[230:231]
	s_set_vgpr_msb 0x44                     ;  msbs: dst=1 src0=0 src1=1 src2=0
	v_and_b32_e32 v27 /*v283*/, 0x1000, v12 /*v268*/
	s_set_vgpr_msb 64                       ;  msbs: dst=1 src0=0 src1=0 src2=0
	v_add_nc_u64_e32 v[12:13] /*v[268:269]*/, v[44:45], v[190:191]
	s_set_vgpr_msb 0                        ;  msbs: dst=0 src0=0 src1=0 src2=0
	v_lshrrev_b32_e32 v133, 8, v133
	s_set_vgpr_msb 0x44                     ;  msbs: dst=1 src0=0 src1=1 src2=0
	v_mul_u32_u24_e32 v14 /*v270*/, 0x10001, v37 /*v293*/
	s_set_vgpr_msb 0                        ;  msbs: dst=0 src0=0 src1=0 src2=0
	v_ashrrev_i16 v227, 8, v227
	s_set_vgpr_msb 0x41                     ;  msbs: dst=1 src0=1 src1=0 src2=0
	v_add_nc_u64_e32 v[22:23] /*v[278:279]*/, v[8:9] /*v[264:265]*/, v[188:189]
	s_wait_xcnt 0x0
	s_set_vgpr_msb 64                       ;  msbs: dst=1 src0=0 src1=0 src2=0
	v_add_nc_u64_e32 v[24:25] /*v[280:281]*/, v[40:41], v[190:191]
	s_set_vgpr_msb 0x55                     ;  msbs: dst=1 src0=1 src1=1 src2=1
	v_or3_b32 v27 /*v283*/, v7 /*v263*/, v26 /*v282*/, v27 /*v283*/
	v_dual_lshlrev_b32 v7 /*v263*/, 20, v33 /*v289*/ :: v_dual_lshlrev_b32 v33 /*v289*/, 28, v34 /*v290*/
	s_clause 0xa
	global_load_b32 v34 /*v290*/, v[12:13] /*v[268:269]*/, off offset:6
	global_load_b32 v35 /*v291*/, v[22:23] /*v[278:279]*/, off offset:6
	;; [unrolled: 1-line block ×3, first 2 shown]
	s_set_vgpr_msb 64                       ;  msbs: dst=1 src0=0 src1=0 src2=0
	global_load_b32 v37 /*v293*/, v[40:41], off offset:2
	global_load_u16 v38 /*v294*/, v[40:41], off
	s_set_vgpr_msb 0x41                     ;  msbs: dst=1 src0=1 src1=0 src2=0
	global_load_b32 v39 /*v295*/, v[8:9] /*v[264:265]*/, off offset:2
	global_load_u16 v41 /*v297*/, v[8:9] /*v[264:265]*/, off
	s_set_vgpr_msb 64                       ;  msbs: dst=1 src0=0 src1=0 src2=0
	global_load_b32 v42 /*v298*/, v[44:45], off offset:2
	s_set_vgpr_msb 4                        ;  msbs: dst=0 src0=0 src1=1 src2=0
	v_bfe_i32 v133, v133, 0, 8
	s_wait_xcnt 0x3
	v_lshlrev_b16 v40, 8, v27 /*v283*/
	v_cvt_f16_i16_e64 v227, v227
	s_wait_xcnt 0x0
	v_and_b32_e32 v44, 0x100000, v7 /*v263*/
	v_and_b32_e32 v45, 0x10000000, v33 /*v289*/
	v_cvt_f16_i16_e64 v41, v133
	s_set_vgpr_msb 0                        ;  msbs: dst=0 src0=0 src1=0 src2=0
	v_add_nc_u16 v40, 0xf000, v40
	s_set_vgpr_msb 5                        ;  msbs: dst=0 src0=1 src1=1 src2=0
	v_pk_mul_f16 v133, v18 /*v274*/, v14 /*v270*/
	s_set_vgpr_msb 0x55                     ;  msbs: dst=1 src0=1 src1=1 src2=1
	v_pk_fma_f16 v7 /*v263*/, v11 /*v267*/, v66 /*v322*/, v15 /*v271*/
	s_set_vgpr_msb 1                        ;  msbs: dst=0 src0=1 src1=0 src2=0
	v_or3_b32 v44, v26 /*v282*/, v44, v45
	s_set_vgpr_msb 0                        ;  msbs: dst=0 src0=0 src1=0 src2=0
	v_pack_b32_f16 v41, v227, v41
	v_lshrrev_b16 v40, 8, v40
	s_wait_loadcnt 0x18
	s_set_vgpr_msb 4                        ;  msbs: dst=0 src0=0 src1=1 src2=0
	v_lshrrev_b32_e32 v227, v254, v46 /*v302*/
	s_set_vgpr_msb 0x54                     ;  msbs: dst=1 src0=0 src1=1 src2=1
	v_pk_fma_f16 v8 /*v264*/, v133, v66 /*v322*/, v16 /*v272*/
	s_set_vgpr_msb 0                        ;  msbs: dst=0 src0=0 src1=0 src2=0
	v_lshrrev_b32_e32 v44, 16, v44
	s_set_vgpr_msb 4                        ;  msbs: dst=0 src0=0 src1=1 src2=0
	v_pk_mul_f16 v41, v41, v14 /*v270*/
	s_set_vgpr_msb 1                        ;  msbs: dst=0 src0=1 src1=0 src2=0
	v_bitop3_b16 v40, v27 /*v283*/, v40, 0x1f00 bitop3:0xec
	s_set_vgpr_msb 0x45                     ;  msbs: dst=1 src0=1 src1=1 src2=0
	v_dual_lshrrev_b32 v14 /*v270*/, v3 /*v259*/, v46 /*v302*/ :: v_dual_ashrrev_i32 v15 /*v271*/, v2 /*v258*/, v45 /*v301*/
	s_set_vgpr_msb 0                        ;  msbs: dst=0 src0=0 src1=0 src2=0
	v_lshlrev_b32_e32 v227, 4, v227
	s_set_vgpr_msb 0x54                     ;  msbs: dst=1 src0=0 src1=1 src2=1
	v_pk_fma_f16 v9 /*v265*/, v41, v66 /*v322*/, v17 /*v273*/
	v_pk_fma_f16 v13 /*v269*/, v41, v28 /*v284*/, v21 /*v277*/
	s_set_vgpr_msb 0                        ;  msbs: dst=0 src0=0 src1=0 src2=0
	v_lshlrev_b16 v41, 8, v44
	v_and_b32_e32 v44, 0x1f00, v44
	v_add_nc_u16 v40, 0xf000, v40
	s_set_vgpr_msb 0x45                     ;  msbs: dst=1 src0=1 src1=1 src2=0
	v_dual_lshrrev_b32 v16 /*v272*/, v4 /*v260*/, v46 /*v302*/ :: v_dual_lshrrev_b32 v17 /*v273*/, v5 /*v261*/, v46 /*v302*/
	v_lshlrev_b32_e32 v14 /*v270*/, 12, v14 /*v270*/
	s_set_vgpr_msb 0                        ;  msbs: dst=0 src0=0 src1=0 src2=0
	v_add_nc_u16 v44, 0xf000, v44
	v_lshrrev_b32_e32 v45, 8, v40
	s_set_vgpr_msb 0x44                     ;  msbs: dst=1 src0=0 src1=1 src2=0
	v_and_b32_e32 v15 /*v271*/, 0xf0f0f0f, v15 /*v271*/
	s_set_vgpr_msb 0                        ;  msbs: dst=0 src0=0 src1=0 src2=0
	v_and_b32_e32 v227, 16, v227
	s_set_vgpr_msb 0x44                     ;  msbs: dst=1 src0=0 src1=1 src2=0
	v_lshlrev_b32_e32 v16 /*v272*/, 20, v16 /*v272*/
	v_and_b32_e32 v14 /*v270*/, 0x1000, v14 /*v270*/
	s_set_vgpr_msb 0                        ;  msbs: dst=0 src0=0 src1=0 src2=0
	v_add_nc_u16 v41, 0xf000, v41
	v_bfe_i32 v40, v40, 0, 8
	v_bfe_i32 v45, v45, 0, 8
	v_lshrrev_b32_e32 v44, 8, v44
	s_set_vgpr_msb 20                       ;  msbs: dst=0 src0=0 src1=1 src2=1
	v_or3_b32 v227, v227, v15 /*v271*/, v14 /*v270*/
	s_set_vgpr_msb 0                        ;  msbs: dst=0 src0=0 src1=0 src2=0
	v_ashrrev_i16 v41, 8, v41
	v_cvt_f16_i16_e32 v40, v40
	v_cvt_f16_i16_e32 v45, v45
	s_set_vgpr_msb 0x44                     ;  msbs: dst=1 src0=0 src1=1 src2=0
	v_lshlrev_b32_e32 v14 /*v270*/, 28, v17 /*v273*/
	s_set_vgpr_msb 0                        ;  msbs: dst=0 src0=0 src1=0 src2=0
	v_bfe_i32 v44, v44, 0, 8
	s_set_vgpr_msb 64                       ;  msbs: dst=1 src0=0 src1=0 src2=0
	v_lshlrev_b16 v17 /*v273*/, 8, v227
	s_set_vgpr_msb 0x54                     ;  msbs: dst=1 src0=0 src1=1 src2=1
	v_pk_fma_f16 v12 /*v268*/, v133, v28 /*v284*/, v20 /*v276*/
	s_set_vgpr_msb 4                        ;  msbs: dst=0 src0=0 src1=1 src2=0
	v_mul_u32_u24_e32 v133, 0x10001, v40 /*v296*/
	v_cvt_f16_i16_e32 v41, v41
	s_set_vgpr_msb 0x44                     ;  msbs: dst=1 src0=0 src1=1 src2=0
	v_and_b32_e32 v16 /*v272*/, 0x100000, v16 /*v272*/
	v_and_b32_e32 v14 /*v270*/, 0x10000000, v14 /*v270*/
	s_set_vgpr_msb 0                        ;  msbs: dst=0 src0=0 src1=0 src2=0
	v_cvt_f16_i16_e32 v44, v44
	v_pack_b32_f16 v40, v40, v45
	s_set_vgpr_msb 0x44                     ;  msbs: dst=1 src0=0 src1=1 src2=0
	v_add_nc_u16 v17 /*v273*/, 0xf000, v17 /*v273*/
	s_set_vgpr_msb 4                        ;  msbs: dst=0 src0=0 src1=1 src2=0
	v_mul_u32_u24_e32 v45, 0x10001, v59 /*v315*/
	s_set_vgpr_msb 0x55                     ;  msbs: dst=1 src0=1 src1=1 src2=1
	v_or3_b32 v14 /*v270*/, v15 /*v271*/, v16 /*v272*/, v14 /*v270*/
	s_set_vgpr_msb 0                        ;  msbs: dst=0 src0=0 src1=0 src2=0
	v_pack_b32_f16 v41, v41, v44
	v_pk_mul_f16 v40, v40, v133
	s_set_vgpr_msb 4                        ;  msbs: dst=0 src0=0 src1=1 src2=0
	v_mul_u32_u24_e32 v44, 0x10001, v62 /*v318*/
	s_set_vgpr_msb 0x55                     ;  msbs: dst=1 src0=1 src1=1 src2=1
	v_lshrrev_b16 v15 /*v271*/, 8, v17 /*v273*/
	v_pk_fma_f16 v11 /*v267*/, v11 /*v267*/, v28 /*v284*/, v19 /*v275*/
	s_set_vgpr_msb 4                        ;  msbs: dst=0 src0=0 src1=1 src2=0
	ds_store_b128 v239, v[6:9] /*v[262:265]*/
	ds_store_b128 v239, v[10:13] /*v[266:269]*/ offset:16
	s_set_vgpr_msb 0x50                     ;  msbs: dst=1 src0=0 src1=0 src2=1
	v_pk_fma_f16 v6 /*v262*/, v40, v45, v6 /*v262*/
	v_pk_fma_f16 v10 /*v266*/, v40, v44, v10 /*v266*/
	s_set_vgpr_msb 4                        ;  msbs: dst=0 src0=0 src1=1 src2=0
	v_bitop3_b16 v40, v227, v15 /*v271*/, 0x1f00 bitop3:0xec
	s_wait_loadcnt 0x11
	s_set_vgpr_msb 0x45                     ;  msbs: dst=1 src0=1 src1=1 src2=0
	v_dual_lshrrev_b32 v14 /*v270*/, 16, v14 /*v270*/ :: v_dual_lshrrev_b32 v18 /*v274*/, v5 /*v261*/, v53 /*v309*/
	s_set_vgpr_msb 0                        ;  msbs: dst=0 src0=0 src1=0 src2=0
	v_pk_mul_f16 v41, v41, v133
	s_set_vgpr_msb 0x45                     ;  msbs: dst=1 src0=1 src1=1 src2=0
	v_ashrrev_i32_e32 v17 /*v273*/, v2 /*v258*/, v48 /*v304*/
	s_set_vgpr_msb 0                        ;  msbs: dst=0 src0=0 src1=0 src2=0
	v_add_nc_u16 v40, 0xf000, v40
	s_set_vgpr_msb 4                        ;  msbs: dst=0 src0=0 src1=1 src2=0
	v_lshlrev_b16 v133, 8, v14 /*v270*/
	v_and_b32_e32 v227, 0x1f00, v14 /*v270*/
	s_set_vgpr_msb 0x50                     ;  msbs: dst=1 src0=0 src1=0 src2=1
	v_pk_fma_f16 v7 /*v263*/, v41, v45, v7 /*v263*/
	v_pk_fma_f16 v11 /*v267*/, v41, v44, v11 /*v267*/
	v_lshrrev_b32_e32 v15 /*v271*/, 8, v40
	s_set_vgpr_msb 0                        ;  msbs: dst=0 src0=0 src1=0 src2=0
	v_bfe_i32 v40, v40, 0, 8
	v_add_nc_u16 v41, 0xf000, v133
	v_add_nc_u16 v133, 0xf000, v227
	s_set_vgpr_msb 4                        ;  msbs: dst=0 src0=0 src1=1 src2=0
	v_lshrrev_b32_e32 v227, v254, v53 /*v309*/
	s_set_vgpr_msb 0x45                     ;  msbs: dst=1 src0=1 src1=1 src2=0
	v_bfe_i32 v15 /*v271*/, v15 /*v271*/, 0, 8
	v_lshrrev_b32_e32 v14 /*v270*/, v3 /*v259*/, v53 /*v309*/
	s_set_vgpr_msb 0                        ;  msbs: dst=0 src0=0 src1=0 src2=0
	v_cvt_f16_i16_e32 v40, v40
	s_set_vgpr_msb 0x44                     ;  msbs: dst=1 src0=0 src1=1 src2=0
	v_and_b32_e32 v17 /*v273*/, 0xf0f0f0f, v17 /*v273*/
	s_set_vgpr_msb 0                        ;  msbs: dst=0 src0=0 src1=0 src2=0
	v_lshlrev_b32_e32 v227, 4, v227
	s_set_vgpr_msb 0x41                     ;  msbs: dst=1 src0=1 src1=0 src2=0
	v_cvt_f16_i16_e64 v15 /*v271*/, v15 /*v271*/
	s_set_vgpr_msb 0                        ;  msbs: dst=0 src0=0 src1=0 src2=0
	v_lshrrev_b32_e32 v133, 8, v133
	v_ashrrev_i16 v41, 8, v41
	s_set_vgpr_msb 0x44                     ;  msbs: dst=1 src0=0 src1=1 src2=0
	v_mul_u32_u24_e32 v16 /*v272*/, 0x10001, v43 /*v299*/
	s_set_vgpr_msb 0                        ;  msbs: dst=0 src0=0 src1=0 src2=0
	v_and_b32_e32 v227, 16, v227
	s_set_vgpr_msb 4                        ;  msbs: dst=0 src0=0 src1=1 src2=0
	v_pack_b32_f16 v40, v40, v15 /*v271*/
	s_set_vgpr_msb 0x44                     ;  msbs: dst=1 src0=0 src1=1 src2=0
	v_lshlrev_b32_e32 v15 /*v271*/, 28, v18 /*v274*/
	v_lshlrev_b32_e32 v14 /*v270*/, 12, v14 /*v270*/
	s_set_vgpr_msb 4                        ;  msbs: dst=0 src0=0 src1=1 src2=0
	v_bfe_i32 v133, v133, 0, 8
	v_cvt_f16_i16_e32 v41, v41
	v_pk_mul_f16 v40, v40, v16 /*v272*/
	s_set_vgpr_msb 64                       ;  msbs: dst=1 src0=0 src1=0 src2=0
	v_lshrrev_b32_e32 v60 /*v316*/, 16, v46
	s_set_vgpr_msb 0x44                     ;  msbs: dst=1 src0=0 src1=1 src2=0
	v_and_b32_e32 v14 /*v270*/, 0x1000, v14 /*v270*/
	s_set_vgpr_msb 0                        ;  msbs: dst=0 src0=0 src1=0 src2=0
	v_cvt_f16_i16_e64 v133, v133
	v_and_b32_e32 v42, 0xffff, v42
	s_set_vgpr_msb 0x50                     ;  msbs: dst=1 src0=0 src1=0 src2=1
	v_pk_fma_f16 v8 /*v264*/, v40, v45, v8 /*v264*/
	v_pk_fma_f16 v12 /*v268*/, v40, v44, v12 /*v268*/
	s_set_vgpr_msb 20                       ;  msbs: dst=0 src0=0 src1=1 src2=1
	v_or3_b32 v227, v227, v17 /*v273*/, v14 /*v270*/
	s_set_vgpr_msb 0x45                     ;  msbs: dst=1 src0=1 src1=1 src2=0
	v_lshrrev_b32_e32 v14 /*v270*/, v4 /*v260*/, v53 /*v309*/
	s_set_vgpr_msb 0                        ;  msbs: dst=0 src0=0 src1=0 src2=0
	v_pack_b32_f16 v41, v41, v133
	v_mul_u32_u24_e32 v42, 0x10001, v42
	v_and_b32_e32 v43, 0xffff, v43
	s_set_vgpr_msb 64                       ;  msbs: dst=1 src0=0 src1=0 src2=0
	v_lshlrev_b16 v19 /*v275*/, 8, v227
	s_set_vgpr_msb 0x44                     ;  msbs: dst=1 src0=0 src1=1 src2=0
	v_lshlrev_b32_e32 v14 /*v270*/, 20, v14 /*v270*/
	s_set_vgpr_msb 4                        ;  msbs: dst=0 src0=0 src1=1 src2=0
	v_pk_mul_f16 v41, v41, v16 /*v272*/
	s_set_vgpr_msb 0x44                     ;  msbs: dst=1 src0=0 src1=1 src2=0
	v_add_nc_u16 v18 /*v274*/, 0xf000, v19 /*v275*/
	s_set_vgpr_msb 4                        ;  msbs: dst=0 src0=0 src1=1 src2=0
	v_and_b32_e32 v133, 0x100000, v14 /*v270*/
	s_set_vgpr_msb 0x44                     ;  msbs: dst=1 src0=0 src1=1 src2=0
	v_and_b32_e32 v14 /*v270*/, 0x10000000, v15 /*v271*/
	s_set_vgpr_msb 0x50                     ;  msbs: dst=1 src0=0 src1=0 src2=1
	v_pk_fma_f16 v13 /*v269*/, v41, v44, v13 /*v269*/
	v_pk_fma_f16 v9 /*v265*/, v41, v45, v9 /*v265*/
	s_set_vgpr_msb 0x44                     ;  msbs: dst=1 src0=0 src1=1 src2=0
	v_lshrrev_b16 v15 /*v271*/, 8, v18 /*v274*/
	s_set_vgpr_msb 17                       ;  msbs: dst=0 src0=1 src1=0 src2=1
	v_and_b32_e32 v41, 0xffff, v46
	v_or3_b32 v40, v17 /*v273*/, v133, v14 /*v270*/
	s_set_vgpr_msb 0x45                     ;  msbs: dst=1 src0=1 src1=1 src2=0
	v_ashrrev_i32_e32 v14 /*v270*/, v2 /*v258*/, v49 /*v305*/
	s_set_vgpr_msb 4                        ;  msbs: dst=0 src0=0 src1=1 src2=0
	ds_store_b128 v239, v[6:9] /*v[262:265]*/
	ds_store_b128 v239, v[10:13] /*v[266:269]*/ offset:16
	v_bitop3_b16 v133, v227, v15 /*v271*/, 0x1f00 bitop3:0xec
	s_set_vgpr_msb 5                        ;  msbs: dst=0 src0=1 src1=1 src2=0
	v_lshrrev_b32_e32 v227, v3 /*v259*/, v51 /*v307*/
	s_set_vgpr_msb 0                        ;  msbs: dst=0 src0=0 src1=0 src2=0
	v_lshrrev_b32_e32 v40, 16, v40
	v_mul_u32_u24_e32 v46, 0x10001, v41
	s_set_vgpr_msb 0x44                     ;  msbs: dst=1 src0=0 src1=1 src2=0
	v_and_b32_e32 v14 /*v270*/, 0xf0f0f0f, v14 /*v270*/
	s_set_vgpr_msb 0                        ;  msbs: dst=0 src0=0 src1=0 src2=0
	v_add_nc_u16 v44, 0xf000, v133
	s_set_vgpr_msb 4                        ;  msbs: dst=0 src0=0 src1=1 src2=0
	v_lshrrev_b32_e32 v133, v254, v51 /*v307*/
	s_set_vgpr_msb 0                        ;  msbs: dst=0 src0=0 src1=0 src2=0
	v_lshlrev_b16 v41, 8, v40
	v_and_b32_e32 v40, 0x1f00, v40
	v_dual_lshlrev_b32 v227, 12, v227 :: v_dual_lshrrev_b32 v45, 8, v44
	v_bfe_i32 v44, v44, 0, 8
	v_lshlrev_b32_e32 v133, 4, v133
	s_delay_alu instid0(VALU_DEP_4) | instskip(NEXT) | instid1(VALU_DEP_4)
	v_add_nc_u16 v40, 0xf000, v40
	v_and_b32_e32 v227, 0x1000, v227
	v_bfe_i32 v45, v45, 0, 8
	v_cvt_f16_i16_e32 v44, v44
	s_delay_alu instid0(VALU_DEP_4) | instskip(SKIP_1) | instid1(VALU_DEP_4)
	v_dual_lshrrev_b32 v40, 8, v40 :: v_dual_bitop2_b32 v133, 16, v133 bitop3:0x40
	v_add_nc_u16 v41, 0xf000, v41
	v_cvt_f16_i16_e32 v45, v45
	s_wait_loadcnt 0x10
	s_set_vgpr_msb 0x44                     ;  msbs: dst=1 src0=0 src1=1 src2=0
	v_mul_u32_u24_e32 v15 /*v271*/, 0x10001, v54 /*v310*/
	s_set_vgpr_msb 0                        ;  msbs: dst=0 src0=0 src1=0 src2=0
	v_bfe_i32 v40, v40, 0, 8
	v_ashrrev_i16 v41, 8, v41
	v_pack_b32_f16 v44, v44, v45
	s_set_vgpr_msb 4                        ;  msbs: dst=0 src0=0 src1=1 src2=0
	v_or3_b32 v45, v133, v14 /*v270*/, v227
	s_set_vgpr_msb 5                        ;  msbs: dst=0 src0=1 src1=1 src2=0
	v_dual_lshrrev_b32 v133, v4 /*v260*/, v51 /*v307*/ :: v_dual_lshrrev_b32 v227, v5 /*v261*/, v51 /*v307*/
	s_set_vgpr_msb 0                        ;  msbs: dst=0 src0=0 src1=0 src2=0
	v_cvt_f16_i16_e32 v41, v41
	v_cvt_f16_i16_e32 v40, v40
	s_set_vgpr_msb 64                       ;  msbs: dst=1 src0=0 src1=0 src2=0
	v_lshlrev_b16 v16 /*v272*/, 8, v45
	s_set_vgpr_msb 0                        ;  msbs: dst=0 src0=0 src1=0 src2=0
	v_dual_lshlrev_b32 v133, 20, v133 :: v_dual_lshlrev_b32 v227, 28, v227
	s_set_vgpr_msb 0x44                     ;  msbs: dst=1 src0=0 src1=1 src2=0
	v_pk_mul_f16 v17 /*v273*/, v44, v15 /*v271*/
	s_set_vgpr_msb 0                        ;  msbs: dst=0 src0=0 src1=0 src2=0
	v_pack_b32_f16 v44, v41, v40
	s_set_vgpr_msb 0x44                     ;  msbs: dst=1 src0=0 src1=1 src2=0
	v_add_nc_u16 v16 /*v272*/, 0xf000, v16 /*v272*/
	s_set_vgpr_msb 0                        ;  msbs: dst=0 src0=0 src1=0 src2=0
	v_add_nc_u64_e32 v[40:41], s[10:11], v[136:137]
	v_and_b32_e32 v133, 0x100000, v133
	v_and_b32_e32 v227, 0x10000000, v227
	s_set_vgpr_msb 0x51                     ;  msbs: dst=1 src0=1 src1=0 src2=1
	v_pk_fma_f16 v6 /*v262*/, v17 /*v273*/, v46, v6 /*v262*/
	s_set_vgpr_msb 0x44                     ;  msbs: dst=1 src0=0 src1=1 src2=0
	v_lshrrev_b16 v16 /*v272*/, 8, v16 /*v272*/
	s_set_vgpr_msb 0x51                     ;  msbs: dst=1 src0=1 src1=0 src2=1
	v_pk_fma_f16 v10 /*v266*/, v17 /*v273*/, v42, v10 /*v266*/
	s_set_vgpr_msb 1                        ;  msbs: dst=0 src0=1 src1=0 src2=0
	v_or3_b32 v133, v14 /*v270*/, v133, v227
	s_set_vgpr_msb 4                        ;  msbs: dst=0 src0=0 src1=1 src2=0
	v_pk_mul_f16 v227, v44, v15 /*v271*/
	v_bitop3_b16 v45, v45, v16 /*v272*/, 0x1f00 bitop3:0xec
	s_set_vgpr_msb 64                       ;  msbs: dst=1 src0=0 src1=0 src2=0
	v_add_nc_u64_e32 v[14:15] /*v[270:271]*/, s[10:11], v[142:143]
	s_set_vgpr_msb 0                        ;  msbs: dst=0 src0=0 src1=0 src2=0
	v_lshrrev_b32_e32 v133, 16, v133
	s_set_vgpr_msb 0x50                     ;  msbs: dst=1 src0=0 src1=0 src2=1
	v_pk_fma_f16 v7 /*v263*/, v227, v46, v7 /*v263*/
	v_add_nc_u16 v22 /*v278*/, 0xf000, v45
	s_set_vgpr_msb 0                        ;  msbs: dst=0 src0=0 src1=0 src2=0
	v_add_nc_u64_e32 v[44:45], v[40:41], v[232:233]
	v_add_nc_u64_e32 v[40:41], v[40:41], v[230:231]
	s_set_vgpr_msb 0x41                     ;  msbs: dst=1 src0=1 src1=0 src2=0
	v_add_nc_u64_e32 v[20:21] /*v[276:277]*/, v[14:15] /*v[270:271]*/, v[232:233]
	v_lshlrev_b16 v23 /*v279*/, 8, v133
	s_set_vgpr_msb 0x44                     ;  msbs: dst=1 src0=0 src1=1 src2=0
	v_lshrrev_b32_e32 v24 /*v280*/, 8, v22 /*v278*/
	s_set_vgpr_msb 0                        ;  msbs: dst=0 src0=0 src1=0 src2=0
	v_and_b32_e32 v133, 0x1f00, v133
	s_set_vgpr_msb 0x41                     ;  msbs: dst=1 src0=1 src1=0 src2=0
	v_bfe_i32 v22 /*v278*/, v22 /*v278*/, 0, 8
	s_set_vgpr_msb 64                       ;  msbs: dst=1 src0=0 src1=0 src2=0
	v_add_nc_u64_e32 v[16:17] /*v[272:273]*/, v[44:45], v[188:189]
	v_add_nc_u64_e32 v[18:19] /*v[274:275]*/, v[40:41], v[190:191]
	s_set_vgpr_msb 0x41                     ;  msbs: dst=1 src0=1 src1=0 src2=0
	s_clause 0x6
	global_load_b32 v25 /*v281*/, v[16:17] /*v[272:273]*/, off offset:6
	global_load_b32 v26 /*v282*/, v[18:19] /*v[274:275]*/, off offset:6
	global_load_u16 v27 /*v283*/, v[20:21] /*v[276:277]*/, off
	s_set_vgpr_msb 64                       ;  msbs: dst=1 src0=0 src1=0 src2=0
	global_load_b32 v28 /*v284*/, v[40:41], off offset:2
	global_load_u16 v33 /*v289*/, v[40:41], off
	global_load_b32 v40 /*v296*/, v[44:45], off offset:2
	s_set_vgpr_msb 0x41                     ;  msbs: dst=1 src0=1 src1=0 src2=0
	v_bfe_i32 v24 /*v280*/, v24 /*v280*/, 0, 8
	s_set_vgpr_msb 1                        ;  msbs: dst=0 src0=1 src1=0 src2=0
	v_add_nc_u16 v133, 0xf000, v133
	s_wait_xcnt 0x1
	v_cvt_f16_i16_e64 v40, v22 /*v278*/
	s_set_vgpr_msb 4                        ;  msbs: dst=0 src0=0 src1=1 src2=0
	v_lshrrev_b32_e32 v41, v254, v47 /*v303*/
	s_set_vgpr_msb 0x45                     ;  msbs: dst=1 src0=1 src1=1 src2=0
	v_lshrrev_b32_e32 v17 /*v273*/, v3 /*v259*/, v47 /*v303*/
	v_cvt_f16_i16_e64 v16 /*v272*/, v24 /*v280*/
	v_add_nc_u16 v23 /*v279*/, 0xf000, v23 /*v279*/
	s_wait_loadcnt 0x15
	v_ashrrev_i32_e32 v19 /*v275*/, v2 /*v258*/, v55 /*v311*/
	s_set_vgpr_msb 0                        ;  msbs: dst=0 src0=0 src1=0 src2=0
	v_lshlrev_b32_e32 v41, 4, v41
	v_lshrrev_b32_e32 v133, 8, v133
	s_set_vgpr_msb 4                        ;  msbs: dst=0 src0=0 src1=1 src2=0
	v_pack_b32_f16 v40, v40, v16 /*v272*/
	s_set_vgpr_msb 0x45                     ;  msbs: dst=1 src0=1 src1=1 src2=0
	v_dual_lshlrev_b32 v16 /*v272*/, 12, v17 /*v273*/ :: v_dual_lshrrev_b32 v22 /*v278*/, v5 /*v261*/, v47 /*v303*/
	v_and_b32_e32 v17 /*v273*/, 0xf0f0f0f, v19 /*v275*/
	s_set_vgpr_msb 0                        ;  msbs: dst=0 src0=0 src1=0 src2=0
	v_and_b32_e32 v41, 16, v41
	s_set_vgpr_msb 0x45                     ;  msbs: dst=1 src0=1 src1=1 src2=0
	v_lshrrev_b32_e32 v19 /*v275*/, v4 /*v260*/, v47 /*v303*/
	v_and_b32_e32 v16 /*v272*/, 0x1000, v16 /*v272*/
	v_ashrrev_i16 v23 /*v279*/, 8, v23 /*v279*/
	s_set_vgpr_msb 0                        ;  msbs: dst=0 src0=0 src1=0 src2=0
	v_bfe_i32 v133, v133, 0, 8
	s_set_vgpr_msb 0x44                     ;  msbs: dst=1 src0=0 src1=1 src2=0
	v_mul_u32_u24_e32 v18 /*v274*/, 0x10001, v52 /*v308*/
	v_lshlrev_b32_e32 v19 /*v275*/, 20, v19 /*v275*/
	s_set_vgpr_msb 20                       ;  msbs: dst=0 src0=0 src1=1 src2=1
	v_or3_b32 v41, v41, v17 /*v273*/, v16 /*v272*/
	s_set_vgpr_msb 0x44                     ;  msbs: dst=1 src0=0 src1=1 src2=0
	v_lshlrev_b32_e32 v16 /*v272*/, 28, v22 /*v278*/
	s_set_vgpr_msb 0x41                     ;  msbs: dst=1 src0=1 src1=0 src2=0
	v_cvt_f16_i16_e64 v22 /*v278*/, v23 /*v279*/
	s_set_vgpr_msb 4                        ;  msbs: dst=0 src0=0 src1=1 src2=0
	v_cvt_f16_i16_e64 v133, v133
	v_pk_mul_f16 v40, v40, v18 /*v274*/
	s_set_vgpr_msb 0x50                     ;  msbs: dst=1 src0=0 src1=0 src2=1
	v_lshlrev_b16 v23 /*v279*/, 8, v41
	v_pk_fma_f16 v11 /*v267*/, v227, v42, v11 /*v267*/
	s_set_vgpr_msb 0x44                     ;  msbs: dst=1 src0=0 src1=1 src2=0
	v_and_b32_e32 v19 /*v275*/, 0x100000, v19 /*v275*/
	s_set_vgpr_msb 1                        ;  msbs: dst=0 src0=1 src1=0 src2=0
	v_pack_b32_f16 v133, v22 /*v278*/, v133
	s_set_vgpr_msb 0x50                     ;  msbs: dst=1 src0=0 src1=0 src2=1
	v_pk_fma_f16 v8 /*v264*/, v40, v46, v8 /*v264*/
	s_set_vgpr_msb 0x44                     ;  msbs: dst=1 src0=0 src1=1 src2=0
	v_add_nc_u16 v22 /*v278*/, 0xf000, v23 /*v279*/
	s_set_vgpr_msb 0x50                     ;  msbs: dst=1 src0=0 src1=0 src2=1
	v_pk_fma_f16 v12 /*v268*/, v40, v42, v12 /*v268*/
	s_set_vgpr_msb 0x44                     ;  msbs: dst=1 src0=0 src1=1 src2=0
	v_and_b32_e32 v16 /*v272*/, 0x10000000, v16 /*v272*/
	s_set_vgpr_msb 4                        ;  msbs: dst=0 src0=0 src1=1 src2=0
	v_pk_mul_f16 v133, v133, v18 /*v274*/
	v_lshrrev_b16 v227, 8, v22 /*v278*/
	s_set_vgpr_msb 0x55                     ;  msbs: dst=1 src0=1 src1=1 src2=1
	v_or3_b32 v16 /*v272*/, v17 /*v273*/, v19 /*v275*/, v16 /*v272*/
	s_set_vgpr_msb 0x50                     ;  msbs: dst=1 src0=0 src1=0 src2=1
	v_pk_fma_f16 v9 /*v265*/, v133, v46, v9 /*v265*/
	v_pk_fma_f16 v13 /*v269*/, v133, v42, v13 /*v269*/
	s_set_vgpr_msb 4                        ;  msbs: dst=0 src0=0 src1=1 src2=0
	ds_store_b128 v239, v[6:9] /*v[262:265]*/
	ds_store_b128 v239, v[10:13] /*v[266:269]*/ offset:16
	s_set_vgpr_msb 0                        ;  msbs: dst=0 src0=0 src1=0 src2=0
	v_bitop3_b16 v40, v41, v227, 0x1f00 bitop3:0xec
	s_wait_loadcnt 0x12
	s_set_vgpr_msb 4                        ;  msbs: dst=0 src0=0 src1=1 src2=0
	v_lshrrev_b32_e32 v133, v254, v58 /*v314*/
	s_set_vgpr_msb 5                        ;  msbs: dst=0 src0=1 src1=1 src2=0
	v_lshrrev_b32_e32 v227, v3 /*v259*/, v58 /*v314*/
	s_set_vgpr_msb 0x41                     ;  msbs: dst=1 src0=1 src1=0 src2=0
	s_clause 0x2
	global_load_b32 v22 /*v278*/, v[20:21] /*v[276:277]*/, off offset:2
	s_set_vgpr_msb 64                       ;  msbs: dst=1 src0=0 src1=0 src2=0
	global_load_u16 v23 /*v279*/, v[44:45], off
	s_wait_xcnt 0x0
	s_set_vgpr_msb 5                        ;  msbs: dst=0 src0=1 src1=1 src2=0
	v_dual_lshrrev_b32 v44, v4 /*v260*/, v58 /*v314*/ :: v_dual_lshrrev_b32 v45, v5 /*v261*/, v58 /*v314*/
	s_set_vgpr_msb 0x45                     ;  msbs: dst=1 src0=1 src1=1 src2=0
	v_ashrrev_i32_e32 v17 /*v273*/, v2 /*v258*/, v56 /*v312*/
	s_set_vgpr_msb 0                        ;  msbs: dst=0 src0=0 src1=0 src2=0
	v_dual_lshlrev_b32 v133, 4, v133 :: v_dual_lshlrev_b32 v227, 12, v227
	v_dual_lshlrev_b32 v44, 20, v44 :: v_dual_lshlrev_b32 v45, 28, v45
	s_set_vgpr_msb 0x44                     ;  msbs: dst=1 src0=0 src1=1 src2=0
	v_lshrrev_b32_e32 v16 /*v272*/, 16, v16 /*v272*/
	s_set_vgpr_msb 0                        ;  msbs: dst=0 src0=0 src1=0 src2=0
	v_and_b32_e32 v133, 16, v133
	v_and_b32_e32 v227, 0x1000, v227
	;; [unrolled: 1-line block ×4, first 2 shown]
	v_add_nc_u16 v40, 0xf000, v40
	s_set_vgpr_msb 4                        ;  msbs: dst=0 src0=0 src1=1 src2=0
	v_mul_u32_u24_e32 v46, 0x10001, v50 /*v306*/
	s_wait_loadcnt 0x13
	s_set_vgpr_msb 0x45                     ;  msbs: dst=1 src0=1 src1=1 src2=0
	v_ashrrev_i32_e32 v19 /*v275*/, v2 /*v258*/, v29 /*v285*/
	v_and_b32_e32 v17 /*v273*/, 0xf0f0f0f, v17 /*v273*/
	s_wait_loadcnt 0x12
	v_mul_u32_u24_e32 v30 /*v286*/, 0x10001, v30 /*v286*/
	s_set_vgpr_msb 4                        ;  msbs: dst=0 src0=0 src1=1 src2=0
	s_delay_alu instid0(VALU_DEP_2)
	v_or3_b32 v133, v133, v17 /*v273*/, v227
	s_set_vgpr_msb 1                        ;  msbs: dst=0 src0=1 src1=0 src2=0
	v_or3_b32 v44, v17 /*v273*/, v44, v45
	s_wait_loadcnt 0x11
	s_set_vgpr_msb 0x45                     ;  msbs: dst=1 src0=1 src1=1 src2=0
	v_lshrrev_b32_e32 v17 /*v273*/, v3 /*v259*/, v31 /*v287*/
	s_set_vgpr_msb 4                        ;  msbs: dst=0 src0=0 src1=1 src2=0
	v_and_b32_e32 v42, 0x1f00, v16 /*v272*/
	v_lshlrev_b16 v41, 8, v16 /*v272*/
	s_set_vgpr_msb 64                       ;  msbs: dst=1 src0=0 src1=0 src2=0
	v_lshrrev_b32_e32 v16 /*v272*/, 8, v40
	s_set_vgpr_msb 0                        ;  msbs: dst=0 src0=0 src1=0 src2=0
	v_bfe_i32 v40, v40, 0, 8
	s_set_vgpr_msb 0x44                     ;  msbs: dst=1 src0=0 src1=1 src2=0
	v_lshlrev_b32_e32 v17 /*v273*/, 12, v17 /*v273*/
	s_set_vgpr_msb 0                        ;  msbs: dst=0 src0=0 src1=0 src2=0
	v_add_nc_u16 v42, 0xf000, v42
	v_add_nc_u16 v41, 0xf000, v41
	s_set_vgpr_msb 0x41                     ;  msbs: dst=1 src0=1 src1=0 src2=0
	v_bfe_i32 v16 /*v272*/, v16 /*v272*/, 0, 8
	s_set_vgpr_msb 0                        ;  msbs: dst=0 src0=0 src1=0 src2=0
	v_cvt_f16_i16_e32 v40, v40
	v_lshrrev_b32_e32 v42, 8, v42
	v_ashrrev_i16 v41, 8, v41
	s_set_vgpr_msb 1                        ;  msbs: dst=0 src0=1 src1=0 src2=0
	v_cvt_f16_i16_e64 v227, v16 /*v272*/
	s_set_vgpr_msb 64                       ;  msbs: dst=1 src0=0 src1=0 src2=0
	v_lshlrev_b16 v16 /*v272*/, 8, v133
	s_set_vgpr_msb 0                        ;  msbs: dst=0 src0=0 src1=0 src2=0
	v_bfe_i32 v42, v42, 0, 8
	v_cvt_f16_i16_e32 v41, v41
	v_pack_b32_f16 v40, v40, v227
	s_set_vgpr_msb 0x44                     ;  msbs: dst=1 src0=0 src1=1 src2=0
	v_add_nc_u16 v16 /*v272*/, 0xf000, v16 /*v272*/
	s_set_vgpr_msb 4                        ;  msbs: dst=0 src0=0 src1=1 src2=0
	v_mul_u32_u24_e32 v227, 0x10001, v60 /*v316*/
	v_cvt_f16_i16_e32 v42, v42
	s_set_vgpr_msb 0                        ;  msbs: dst=0 src0=0 src1=0 src2=0
	v_pk_mul_f16 v40, v40, v46
	s_set_vgpr_msb 4                        ;  msbs: dst=0 src0=0 src1=1 src2=0
	v_lshrrev_b16 v45, 8, v16 /*v272*/
	s_set_vgpr_msb 16                       ;  msbs: dst=0 src0=0 src1=0 src2=1
	v_pack_b32_f16 v41, v41, v42
	v_lshrrev_b32_e32 v42, 16, v44
	v_pk_fma_f16 v44, v40, v227, v6 /*v262*/
	v_bitop3_b16 v45, v133, v45, 0x1f00 bitop3:0xec
	s_set_vgpr_msb 4                        ;  msbs: dst=0 src0=0 src1=1 src2=0
	v_mul_u32_u24_e32 v133, 0x10001, v63 /*v319*/
	s_set_vgpr_msb 0                        ;  msbs: dst=0 src0=0 src1=0 src2=0
	v_pk_mul_f16 v41, v41, v46
	v_and_b32_e32 v46, 0x1f00, v42
	s_set_vgpr_msb 0x50                     ;  msbs: dst=1 src0=0 src1=0 src2=1
	v_add_nc_u16 v16 /*v272*/, 0xf000, v45
	v_pk_fma_f16 v6 /*v262*/, v40, v133, v10 /*v266*/
	s_set_vgpr_msb 16                       ;  msbs: dst=0 src0=0 src1=0 src2=1
	v_lshlrev_b16 v40, 8, v42
	v_add_nc_u16 v42, 0xf000, v46
	v_pk_fma_f16 v45, v41, v227, v7 /*v263*/
	s_set_vgpr_msb 0x50                     ;  msbs: dst=1 src0=0 src1=0 src2=1
	v_pk_fma_f16 v7 /*v263*/, v41, v133, v11 /*v267*/
	s_set_vgpr_msb 1                        ;  msbs: dst=0 src0=1 src1=0 src2=0
	v_bfe_i32 v41, v16 /*v272*/, 0, 8
	v_add_nc_u16 v40, 0xf000, v40
	v_lshrrev_b32_e32 v42, 8, v42
	s_set_vgpr_msb 4                        ;  msbs: dst=0 src0=0 src1=1 src2=0
	v_lshrrev_b32_e32 v46, 8, v16 /*v272*/
	s_wait_loadcnt 0x10
	s_set_vgpr_msb 0x44                     ;  msbs: dst=1 src0=0 src1=1 src2=0
	v_mul_u32_u24_e32 v10 /*v266*/, 0x10001, v32 /*v288*/
	v_cvt_f16_i16_e64 v11 /*v267*/, v41
	s_set_vgpr_msb 0                        ;  msbs: dst=0 src0=0 src1=0 src2=0
	v_ashrrev_i16 v40, 8, v40
	v_bfe_i32 v41, v42, 0, 8
	s_set_vgpr_msb 64                       ;  msbs: dst=1 src0=0 src1=0 src2=0
	s_delay_alu instid0(VALU_DEP_2) | instskip(NEXT) | instid1(VALU_DEP_2)
	v_cvt_f16_i16_e64 v16 /*v272*/, v40
	v_cvt_f16_i16_e64 v18 /*v274*/, v41
	s_set_vgpr_msb 1                        ;  msbs: dst=0 src0=1 src1=0 src2=0
	v_add_nc_u64_e32 v[40:41], v[20:21] /*v[276:277]*/, v[188:189]
	s_wait_loadcnt 0x8
	s_set_vgpr_msb 0x45                     ;  msbs: dst=1 src0=1 src1=1 src2=0
	v_dual_lshrrev_b32 v20 /*v276*/, v4 /*v260*/, v42 /*v298*/ :: v_dual_lshrrev_b32 v21 /*v277*/, v5 /*v261*/, v42 /*v298*/
	s_delay_alu instid0(VALU_DEP_1)
	v_dual_lshlrev_b32 v20 /*v276*/, 20, v20 /*v276*/ :: v_dual_lshlrev_b32 v21 /*v277*/, 28, v21 /*v277*/
	s_set_vgpr_msb 64                       ;  msbs: dst=1 src0=0 src1=0 src2=0
	global_load_b32 v24 /*v280*/, v[40:41], off offset:6
	s_wait_xcnt 0x0
	s_set_vgpr_msb 5                        ;  msbs: dst=0 src0=1 src1=1 src2=0
	v_lshrrev_b32_e32 v41, v4 /*v260*/, v31 /*v287*/
	s_set_vgpr_msb 0                        ;  msbs: dst=0 src0=0 src1=0 src2=0
	v_bfe_i32 v46, v46, 0, 8
	s_set_vgpr_msb 0x44                     ;  msbs: dst=1 src0=0 src1=1 src2=0
	v_and_b32_e32 v20 /*v276*/, 0x100000, v20 /*v276*/
	s_set_vgpr_msb 4                        ;  msbs: dst=0 src0=0 src1=1 src2=0
	s_delay_alu instid0(VALU_DEP_2) | instskip(SKIP_2) | instid1(VALU_DEP_2)
	v_cvt_f16_i16_e32 v42, v46
	v_lshrrev_b32_e32 v46, v254, v31 /*v287*/
	s_set_vgpr_msb 1                        ;  msbs: dst=0 src0=1 src1=0 src2=0
	v_pack_b32_f16 v42, v11 /*v267*/, v42
	s_delay_alu instid0(VALU_DEP_2)
	v_lshlrev_b32_e32 v46, 4, v46
	s_set_vgpr_msb 0x45                     ;  msbs: dst=1 src0=1 src1=1 src2=0
	v_pack_b32_f16 v11 /*v267*/, v16 /*v272*/, v18 /*v274*/
	v_and_b32_e32 v16 /*v272*/, 0xf0f0f0f, v19 /*v275*/
	v_ashrrev_i32_e32 v18 /*v274*/, v2 /*v258*/, v34 /*v290*/
	v_and_b32_e32 v17 /*v273*/, 0x1000, v17 /*v273*/
	s_set_vgpr_msb 0                        ;  msbs: dst=0 src0=0 src1=0 src2=0
	v_and_b32_e32 v46, 16, v46
	s_set_vgpr_msb 4                        ;  msbs: dst=0 src0=0 src1=1 src2=0
	v_pk_mul_f16 v40, v42, v10 /*v266*/
	s_set_vgpr_msb 5                        ;  msbs: dst=0 src0=1 src1=1 src2=0
	v_lshrrev_b32_e32 v42, v5 /*v261*/, v31 /*v287*/
	s_set_vgpr_msb 0x45                     ;  msbs: dst=1 src0=1 src1=1 src2=0
	v_pk_mul_f16 v10 /*v266*/, v11 /*v267*/, v10 /*v266*/
	v_and_b32_e32 v18 /*v274*/, 0xf0f0f0f, v18 /*v274*/
	s_set_vgpr_msb 0x54                     ;  msbs: dst=1 src0=0 src1=1 src2=1
	v_or3_b32 v17 /*v273*/, v46, v16 /*v272*/, v17 /*v273*/
	s_set_vgpr_msb 16                       ;  msbs: dst=0 src0=0 src1=0 src2=1
	v_pk_fma_f16 v46, v40, v227, v8 /*v264*/
	s_set_vgpr_msb 0x50                     ;  msbs: dst=1 src0=0 src1=0 src2=1
	v_pk_fma_f16 v8 /*v264*/, v40, v133, v12 /*v268*/
	s_set_vgpr_msb 17                       ;  msbs: dst=0 src0=1 src1=0 src2=1
	v_and_b32_e32 v40, 0xffff, v47
	v_pk_fma_f16 v47, v10 /*v266*/, v227, v9 /*v265*/
	s_set_vgpr_msb 0x44                     ;  msbs: dst=1 src0=0 src1=1 src2=0
	v_lshlrev_b16 v11 /*v267*/, 8, v17 /*v273*/
	s_set_vgpr_msb 5                        ;  msbs: dst=0 src0=1 src1=1 src2=0
	v_lshrrev_b32_e32 v227, v3 /*v259*/, v42 /*v298*/
	s_set_vgpr_msb 0                        ;  msbs: dst=0 src0=0 src1=0 src2=0
	v_dual_lshlrev_b32 v41, 20, v41 :: v_dual_lshlrev_b32 v42, 28, v42
	s_set_vgpr_msb 0x51                     ;  msbs: dst=1 src0=1 src1=0 src2=1
	v_pk_fma_f16 v9 /*v265*/, v10 /*v266*/, v133, v13 /*v269*/
	s_set_vgpr_msb 0x44                     ;  msbs: dst=1 src0=0 src1=1 src2=0
	v_add_nc_u16 v11 /*v267*/, 0xf000, v11 /*v267*/
	s_set_vgpr_msb 0x41                     ;  msbs: dst=1 src0=1 src1=0 src2=0
	v_add_nc_u64_e32 v[12:13] /*v[268:269]*/, v[14:15] /*v[270:271]*/, v[230:231]
	s_set_vgpr_msb 0                        ;  msbs: dst=0 src0=0 src1=0 src2=0
	v_and_b32_e32 v41, 0x100000, v41
	v_and_b32_e32 v42, 0x10000000, v42
	s_set_vgpr_msb 64                       ;  msbs: dst=1 src0=0 src1=0 src2=0
	v_add_nc_u64_e32 v[14:15] /*v[270:271]*/, s[10:11], v[148:149]
	s_set_vgpr_msb 0                        ;  msbs: dst=0 src0=0 src1=0 src2=0
	v_mul_u32_u24_e32 v133, 0x10001, v40
	v_lshlrev_b32_e32 v227, 12, v227
	s_set_vgpr_msb 64                       ;  msbs: dst=1 src0=0 src1=0 src2=0
	v_mul_u32_u24_e32 v34 /*v290*/, 0x10001, v43
	s_set_vgpr_msb 1                        ;  msbs: dst=0 src0=1 src1=0 src2=0
	v_or3_b32 v40, v16 /*v272*/, v41, v42
	s_set_vgpr_msb 4                        ;  msbs: dst=0 src0=0 src1=1 src2=0
	v_lshrrev_b16 v41, 8, v11 /*v267*/
	v_lshrrev_b32_e32 v42, v254, v42 /*v298*/
	s_set_vgpr_msb 0                        ;  msbs: dst=0 src0=0 src1=0 src2=0
	v_and_b32_e32 v227, 0x1000, v227
	s_set_vgpr_msb 0x41                     ;  msbs: dst=1 src0=1 src1=0 src2=0
	v_lshrrev_b32_e32 v10 /*v266*/, 16, v40
	v_bitop3_b16 v11 /*v267*/, v17 /*v273*/, v41, 0x1f00 bitop3:0xec
	s_set_vgpr_msb 1                        ;  msbs: dst=0 src0=1 src1=0 src2=0
	v_add_nc_u64_e32 v[40:41], v[12:13] /*v[268:269]*/, v[190:191]
	s_set_vgpr_msb 0x41                     ;  msbs: dst=1 src0=1 src1=0 src2=0
	v_add_nc_u64_e32 v[16:17] /*v[272:273]*/, v[14:15] /*v[270:271]*/, v[232:233]
	s_set_vgpr_msb 0                        ;  msbs: dst=0 src0=0 src1=0 src2=0
	v_lshlrev_b32_e32 v42, 4, v42
	s_set_vgpr_msb 64                       ;  msbs: dst=1 src0=0 src1=0 src2=0
	s_clause 0x3
	global_load_b32 v29 /*v285*/, v[40:41], off offset:6
	s_set_vgpr_msb 0x41                     ;  msbs: dst=1 src0=1 src1=0 src2=0
	global_load_u16 v31 /*v287*/, v[16:17] /*v[272:273]*/, off
	global_load_b32 v32 /*v288*/, v[12:13] /*v[268:269]*/, off offset:2
	s_wait_xcnt 0x2
	s_set_vgpr_msb 4                        ;  msbs: dst=0 src0=0 src1=1 src2=0
	v_and_b32_e32 v41, 0x1f00, v10 /*v266*/
	s_set_vgpr_msb 0x44                     ;  msbs: dst=1 src0=0 src1=1 src2=0
	v_add_nc_u16 v11 /*v267*/, 0xf000, v11 /*v267*/
	v_lshlrev_b16 v19 /*v275*/, 8, v10 /*v266*/
	s_set_vgpr_msb 0x41                     ;  msbs: dst=1 src0=1 src1=0 src2=0
	v_add_nc_u64_e32 v[14:15] /*v[270:271]*/, v[14:15] /*v[270:271]*/, v[230:231]
	s_set_vgpr_msb 0                        ;  msbs: dst=0 src0=0 src1=0 src2=0
	v_add_nc_u16 v41, 0xf000, v41
	v_and_b32_e32 v42, 16, v42
	s_set_vgpr_msb 4                        ;  msbs: dst=0 src0=0 src1=1 src2=0
	v_lshrrev_b32_e32 v40, 8, v11 /*v267*/
	s_set_vgpr_msb 0x41                     ;  msbs: dst=1 src0=1 src1=0 src2=0
	v_bfe_i32 v10 /*v266*/, v11 /*v267*/, 0, 8
	s_set_vgpr_msb 0                        ;  msbs: dst=0 src0=0 src1=0 src2=0
	v_lshrrev_b32_e32 v41, 8, v41
	s_set_vgpr_msb 4                        ;  msbs: dst=0 src0=0 src1=1 src2=0
	v_or3_b32 v42, v42, v18 /*v274*/, v227
	v_add_nc_u16 v227, 0xf000, v19 /*v275*/
	v_bfe_i32 v40, v40, 0, 8
	s_set_vgpr_msb 0x41                     ;  msbs: dst=1 src0=1 src1=0 src2=0
	v_cvt_f16_i16_e64 v10 /*v266*/, v10 /*v266*/
	s_set_vgpr_msb 0                        ;  msbs: dst=0 src0=0 src1=0 src2=0
	v_bfe_i32 v41, v41, 0, 8
	s_set_vgpr_msb 64                       ;  msbs: dst=1 src0=0 src1=0 src2=0
	v_lshlrev_b16 v11 /*v267*/, 8, v42
	s_set_vgpr_msb 0                        ;  msbs: dst=0 src0=0 src1=0 src2=0
	v_ashrrev_i16 v227, 8, v227
	v_cvt_f16_i16_e32 v40, v40
	s_set_vgpr_msb 0x44                     ;  msbs: dst=1 src0=0 src1=1 src2=0
	v_mul_u32_u24_e32 v19 /*v275*/, 0x10001, v57 /*v313*/
	s_set_vgpr_msb 0                        ;  msbs: dst=0 src0=0 src1=0 src2=0
	v_cvt_f16_i16_e32 v41, v41
	s_set_vgpr_msb 0x44                     ;  msbs: dst=1 src0=0 src1=1 src2=0
	v_add_nc_u16 v11 /*v267*/, 0xf000, v11 /*v267*/
	s_set_vgpr_msb 0                        ;  msbs: dst=0 src0=0 src1=0 src2=0
	v_cvt_f16_i16_e64 v227, v227
	s_set_vgpr_msb 1                        ;  msbs: dst=0 src0=1 src1=0 src2=0
	v_pack_b32_f16 v40, v10 /*v266*/, v40
	s_set_vgpr_msb 0x44                     ;  msbs: dst=1 src0=0 src1=1 src2=0
	v_lshrrev_b16 v11 /*v267*/, 8, v11 /*v267*/
	s_set_vgpr_msb 0                        ;  msbs: dst=0 src0=0 src1=0 src2=0
	v_pack_b32_f16 v41, v227, v41
	s_set_vgpr_msb 4                        ;  msbs: dst=0 src0=0 src1=1 src2=0
	v_pk_mul_f16 v227, v40, v19 /*v275*/
	v_bitop3_b16 v42, v42, v11 /*v267*/, 0x1f00 bitop3:0xec
	s_set_vgpr_msb 0x44                     ;  msbs: dst=1 src0=0 src1=1 src2=0
	v_and_b32_e32 v11 /*v267*/, 0x10000000, v21 /*v277*/
	s_set_vgpr_msb 0                        ;  msbs: dst=0 src0=0 src1=0 src2=0
	v_pk_fma_f16 v40, v227, v133, v44
	v_add_nc_u16 v42, 0xf000, v42
	s_set_vgpr_msb 0x55                     ;  msbs: dst=1 src0=1 src1=1 src2=1
	v_or3_b32 v10 /*v266*/, v18 /*v274*/, v20 /*v276*/, v11 /*v267*/
	s_set_vgpr_msb 0x54                     ;  msbs: dst=1 src0=0 src1=1 src2=1
	v_pk_mul_f16 v18 /*v274*/, v41, v19 /*v275*/
	s_delay_alu instid0(VALU_DEP_2) | instskip(SKIP_2) | instid1(VALU_DEP_3)
	v_lshrrev_b32_e32 v11 /*v267*/, 16, v10 /*v266*/
	v_pk_fma_f16 v10 /*v266*/, v227, v34 /*v290*/, v6 /*v262*/
	s_set_vgpr_msb 1                        ;  msbs: dst=0 src0=1 src1=0 src2=0
	v_pk_fma_f16 v41, v18 /*v274*/, v133, v45
	s_set_vgpr_msb 0x44                     ;  msbs: dst=1 src0=0 src1=1 src2=0
	v_and_b32_e32 v19 /*v275*/, 0x1f00, v11 /*v267*/
	s_set_vgpr_msb 4                        ;  msbs: dst=0 src0=0 src1=1 src2=0
	s_delay_alu instid0(VALU_DEP_1)
	v_add_nc_u16 v227, 0xf000, v19 /*v275*/
	s_set_vgpr_msb 0                        ;  msbs: dst=0 src0=0 src1=0 src2=0
	v_lshrrev_b32_e32 v43, 8, v42
	v_bfe_i32 v42, v42, 0, 8
	s_set_vgpr_msb 0x55                     ;  msbs: dst=1 src0=1 src1=1 src2=1
	v_lshlrev_b16 v19 /*v275*/, 8, v11 /*v267*/
	v_pk_fma_f16 v11 /*v267*/, v18 /*v274*/, v34 /*v290*/, v7 /*v263*/
	s_set_vgpr_msb 0                        ;  msbs: dst=0 src0=0 src1=0 src2=0
	v_lshrrev_b32_e32 v227, 8, v227
	v_bfe_i32 v43, v43, 0, 8
	v_cvt_f16_i16_e32 v42, v42
	s_set_vgpr_msb 0x44                     ;  msbs: dst=1 src0=0 src1=1 src2=0
	v_add_nc_u16 v19 /*v275*/, 0xf000, v19 /*v275*/
	s_set_vgpr_msb 0                        ;  msbs: dst=0 src0=0 src1=0 src2=0
	v_bfe_i32 v227, v227, 0, 8
	v_cvt_f16_i16_e32 v43, v43
	s_delay_alu instid0(VALU_DEP_2) | instskip(SKIP_1) | instid1(VALU_DEP_2)
	v_cvt_f16_i16_e64 v227, v227
	s_set_vgpr_msb 64                       ;  msbs: dst=1 src0=0 src1=0 src2=0
	v_pack_b32_f16 v18 /*v274*/, v42, v43
	s_set_vgpr_msb 1                        ;  msbs: dst=0 src0=1 src1=0 src2=0
	v_add_nc_u64_e32 v[42:43], v[16:17] /*v[272:273]*/, v[188:189]
	s_set_vgpr_msb 64                       ;  msbs: dst=1 src0=0 src1=0 src2=0
	s_clause 0x4
	global_load_b32 v43 /*v299*/, v[42:43], off offset:6
	s_set_vgpr_msb 0x45                     ;  msbs: dst=1 src0=1 src1=1 src2=0
	global_load_u16 v44 /*v300*/, v[14:15] /*v[270:271]*/, off
	global_load_b32 v45 /*v301*/, v[16:17] /*v[272:273]*/, off offset:2
	global_load_u16 v46 /*v302*/, v[12:13] /*v[268:269]*/, off
	v_pk_mul_f16 v42 /*v298*/, v18 /*v274*/, v30 /*v286*/
	v_ashrrev_i16 v18 /*v274*/, 8, v19 /*v275*/
	s_set_vgpr_msb 0x44                     ;  msbs: dst=1 src0=0 src1=1 src2=0
	v_lshrrev_b32_e32 v19 /*v275*/, v254, v39 /*v295*/
	s_wait_xcnt 0x3
	s_set_vgpr_msb 0                        ;  msbs: dst=0 src0=0 src1=0 src2=0
	v_add_nc_u64_e32 v[42:43], s[10:11], v[152:153]
	s_wait_xcnt 0x1
	s_set_vgpr_msb 0x41                     ;  msbs: dst=1 src0=1 src1=0 src2=0
	v_cvt_f16_i16_e64 v16 /*v272*/, v18 /*v274*/
	s_wait_xcnt 0x0
	s_set_vgpr_msb 0x45                     ;  msbs: dst=1 src0=1 src1=1 src2=0
	v_lshlrev_b32_e32 v13 /*v269*/, 4, v19 /*v275*/
	v_lshrrev_b32_e32 v19 /*v275*/, v4 /*v260*/, v39 /*v295*/
	s_set_vgpr_msb 1                        ;  msbs: dst=0 src0=1 src1=0 src2=0
	v_pack_b32_f16 v227, v16 /*v272*/, v227
	s_set_vgpr_msb 0x45                     ;  msbs: dst=1 src0=1 src1=1 src2=0
	s_delay_alu instid0(VALU_DEP_2)
	v_lshlrev_b32_e32 v47 /*v303*/, 20, v19 /*v275*/
	v_dual_lshrrev_b32 v20 /*v276*/, v3 /*v259*/, v39 /*v295*/ :: v_dual_bitop2_b32 v18 /*v274*/, 16, v13 /*v269*/ bitop3:0x40
	v_ashrrev_i32_e32 v12 /*v268*/, v2 /*v258*/, v35 /*v291*/
	s_set_vgpr_msb 4                        ;  msbs: dst=0 src0=0 src1=1 src2=0
	v_pk_mul_f16 v227, v227, v30 /*v286*/
	s_set_vgpr_msb 0x45                     ;  msbs: dst=1 src0=1 src1=1 src2=0
	v_and_b32_e32 v30 /*v286*/, 0x100000, v47 /*v303*/
	v_dual_lshlrev_b32 v17 /*v273*/, 12, v20 /*v276*/ :: v_dual_lshrrev_b32 v20 /*v276*/, v5 /*v261*/, v39 /*v295*/
	v_and_b32_e32 v35 /*v291*/, 0xf0f0f0f, v12 /*v268*/
	s_set_vgpr_msb 64                       ;  msbs: dst=1 src0=0 src1=0 src2=0
	v_add_nc_u64_e32 v[12:13] /*v[268:269]*/, v[42:43], v[232:233]
	s_set_vgpr_msb 0                        ;  msbs: dst=0 src0=0 src1=0 src2=0
	v_add_nc_u64_e32 v[42:43], v[42:43], v[230:231]
	s_set_vgpr_msb 0x55                     ;  msbs: dst=1 src0=1 src1=1 src2=1
	v_and_b32_e32 v17 /*v273*/, 0x1000, v17 /*v273*/
	v_lshlrev_b32_e32 v48 /*v304*/, 28, v20 /*v276*/
	s_delay_alu instid0(VALU_DEP_2)
	v_or3_b32 v39 /*v295*/, v18 /*v274*/, v35 /*v291*/, v17 /*v273*/
	s_set_vgpr_msb 0x41                     ;  msbs: dst=1 src0=1 src1=0 src2=0
	v_add_nc_u64_e32 v[16:17] /*v[272:273]*/, v[14:15] /*v[270:271]*/, v[190:191]
	v_add_nc_u64_e32 v[18:19] /*v[274:275]*/, v[12:13] /*v[268:269]*/, v[188:189]
	s_set_vgpr_msb 64                       ;  msbs: dst=1 src0=0 src1=0 src2=0
	v_add_nc_u64_e32 v[20:21] /*v[276:277]*/, v[42:43], v[190:191]
	s_set_vgpr_msb 0x44                     ;  msbs: dst=1 src0=0 src1=1 src2=0
	v_and_b32_e32 v47 /*v303*/, 0x10000000, v48 /*v304*/
	v_lshlrev_b16 v48 /*v304*/, 8, v39 /*v295*/
	s_set_vgpr_msb 0x41                     ;  msbs: dst=1 src0=1 src1=0 src2=0
	s_clause 0x9
	global_load_b32 v49 /*v305*/, v[16:17] /*v[272:273]*/, off offset:6
	global_load_b32 v50 /*v306*/, v[18:19] /*v[274:275]*/, off offset:6
	;; [unrolled: 1-line block ×3, first 2 shown]
	s_set_vgpr_msb 64                       ;  msbs: dst=1 src0=0 src1=0 src2=0
	global_load_b32 v52 /*v308*/, v[42:43], off offset:2
	global_load_u16 v53 /*v309*/, v[42:43], off
	s_set_vgpr_msb 0x41                     ;  msbs: dst=1 src0=1 src1=0 src2=0
	global_load_b32 v54 /*v310*/, v[12:13] /*v[268:269]*/, off offset:2
	global_load_u16 v55 /*v311*/, v[12:13] /*v[268:269]*/, off
	global_load_b32 v56 /*v312*/, v[14:15] /*v[270:271]*/, off offset:2
	s_wait_xcnt 0x3
	s_set_vgpr_msb 1                        ;  msbs: dst=0 src0=1 src1=0 src2=0
	v_pk_fma_f16 v42, v42 /*v298*/, v133, v46
	s_wait_xcnt 0x1
	s_set_vgpr_msb 0x44                     ;  msbs: dst=1 src0=0 src1=1 src2=0
	v_add_nc_u16 v13 /*v269*/, 0xf000, v48 /*v304*/
	s_set_vgpr_msb 0                        ;  msbs: dst=0 src0=0 src1=0 src2=0
	v_pk_fma_f16 v43, v227, v133, v47
	s_set_vgpr_msb 21                       ;  msbs: dst=0 src0=1 src1=1 src2=1
	v_or3_b32 v133, v35 /*v291*/, v30 /*v286*/, v47 /*v303*/
	s_set_vgpr_msb 0                        ;  msbs: dst=0 src0=0 src1=0 src2=0
	ds_store_b128 v239, v[44:47]
	s_set_vgpr_msb 4                        ;  msbs: dst=0 src0=0 src1=1 src2=0
	ds_store_b128 v239, v[6:9] /*v[262:265]*/ offset:16
	v_lshrrev_b32_e32 v46, v254, v37 /*v293*/
	s_wait_xcnt 0x0
	s_set_vgpr_msb 0x44                     ;  msbs: dst=1 src0=0 src1=1 src2=0
	v_lshrrev_b16 v14 /*v270*/, 8, v13 /*v269*/
	s_set_vgpr_msb 5                        ;  msbs: dst=0 src0=1 src1=1 src2=0
	v_lshrrev_b32_e32 v47, v3 /*v259*/, v37 /*v293*/
	s_set_vgpr_msb 0x54                     ;  msbs: dst=1 src0=0 src1=1 src2=1
	v_pk_fma_f16 v13 /*v269*/, v227, v34 /*v290*/, v9 /*v265*/
	s_set_vgpr_msb 0                        ;  msbs: dst=0 src0=0 src1=0 src2=0
	v_dual_lshrrev_b32 v44, 16, v133 :: v_dual_lshlrev_b32 v46, 4, v46
	s_set_vgpr_msb 5                        ;  msbs: dst=0 src0=1 src1=1 src2=0
	v_bitop3_b16 v45, v39 /*v295*/, v14 /*v270*/, 0x1f00 bitop3:0xec
	v_ashrrev_i32_e32 v227, v2 /*v258*/, v36 /*v292*/
	s_set_vgpr_msb 0                        ;  msbs: dst=0 src0=0 src1=0 src2=0
	v_lshlrev_b32_e32 v47, 12, v47
	s_set_vgpr_msb 0x55                     ;  msbs: dst=1 src0=1 src1=1 src2=1
	v_pk_fma_f16 v12 /*v268*/, v42 /*v298*/, v34 /*v290*/, v8 /*v264*/
	s_set_vgpr_msb 0                        ;  msbs: dst=0 src0=0 src1=0 src2=0
	v_and_b32_e32 v46, 16, v46
	v_add_nc_u16 v45, 0xf000, v45
	v_and_b32_e32 v227, 0xf0f0f0f, v227
	v_and_b32_e32 v47, 0x1000, v47
	v_lshlrev_b16 v133, 8, v44
	v_and_b32_e32 v44, 0x1f00, v44
	s_set_vgpr_msb 64                       ;  msbs: dst=1 src0=0 src1=0 src2=0
	v_lshrrev_b32_e32 v6 /*v262*/, 8, v45
	s_set_vgpr_msb 0                        ;  msbs: dst=0 src0=0 src1=0 src2=0
	v_bfe_i32 v45, v45, 0, 8
	v_or3_b32 v46, v46, v227, v47
	s_wait_loadcnt 0x17
	s_set_vgpr_msb 0x45                     ;  msbs: dst=1 src0=1 src1=1 src2=0
	v_ashrrev_i32_e32 v14 /*v270*/, v2 /*v258*/, v25 /*v281*/
	s_set_vgpr_msb 1                        ;  msbs: dst=0 src0=1 src1=0 src2=0
	v_add_nc_u16 v44, 0xf000, v44
	v_bfe_i32 v47, v6 /*v262*/, 0, 8
	s_set_vgpr_msb 0x45                     ;  msbs: dst=1 src0=1 src1=1 src2=0
	v_dual_lshrrev_b32 v6 /*v262*/, v4 /*v260*/, v37 /*v293*/ :: v_dual_lshrrev_b32 v8 /*v264*/, v5 /*v261*/, v37 /*v293*/
	s_set_vgpr_msb 0                        ;  msbs: dst=0 src0=0 src1=0 src2=0
	v_cvt_f16_i16_e32 v45, v45
	v_add_nc_u16 v133, 0xf000, v133
	v_cvt_f16_i16_e32 v47, v47
	s_set_vgpr_msb 0x44                     ;  msbs: dst=1 src0=0 src1=1 src2=0
	v_dual_lshlrev_b32 v6 /*v262*/, 20, v6 /*v262*/ :: v_dual_lshlrev_b32 v8 /*v264*/, 28, v8 /*v264*/
	s_set_vgpr_msb 64                       ;  msbs: dst=1 src0=0 src1=0 src2=0
	v_lshlrev_b16 v9 /*v265*/, 8, v46
	s_set_vgpr_msb 0                        ;  msbs: dst=0 src0=0 src1=0 src2=0
	v_ashrrev_i16 v133, 8, v133
	v_pack_b32_f16 v45, v45, v47
	s_set_vgpr_msb 0x44                     ;  msbs: dst=1 src0=0 src1=1 src2=0
	v_and_b32_e32 v6 /*v262*/, 0x100000, v6 /*v262*/
	v_and_b32_e32 v8 /*v264*/, 0x10000000, v8 /*v264*/
	v_add_nc_u16 v9 /*v265*/, 0xf000, v9 /*v265*/
	s_set_vgpr_msb 0                        ;  msbs: dst=0 src0=0 src1=0 src2=0
	v_cvt_f16_i16_e64 v133, v133
	s_set_vgpr_msb 0x44                     ;  msbs: dst=1 src0=0 src1=1 src2=0
	v_mul_u32_u24_e32 v7 /*v263*/, 0x10001, v41 /*v297*/
	s_set_vgpr_msb 0                        ;  msbs: dst=0 src0=0 src1=0 src2=0
	ds_store_b128 v239, v[40:43]
	s_set_vgpr_msb 20                       ;  msbs: dst=0 src0=0 src1=1 src2=1
	ds_store_b128 v239, v[10:13] /*v[266:269]*/ offset:16
	v_or3_b32 v47, v227, v6 /*v262*/, v8 /*v264*/
	s_set_vgpr_msb 0                        ;  msbs: dst=0 src0=0 src1=0 src2=0
	v_lshrrev_b32_e32 v44, 8, v44
	s_set_vgpr_msb 0x44                     ;  msbs: dst=1 src0=0 src1=1 src2=0
	v_lshrrev_b16 v9 /*v265*/, 8, v9 /*v265*/
	s_set_vgpr_msb 4                        ;  msbs: dst=0 src0=0 src1=1 src2=0
	v_mul_u32_u24_e32 v227, 0x10001, v61 /*v317*/
	v_pk_mul_f16 v45, v45, v7 /*v263*/
	s_set_vgpr_msb 0                        ;  msbs: dst=0 src0=0 src1=0 src2=0
	v_lshrrev_b32_e32 v47, 16, v47
	v_bfe_i32 v44, v44, 0, 8
	s_set_vgpr_msb 4                        ;  msbs: dst=0 src0=0 src1=1 src2=0
	v_bitop3_b16 v46, v46, v9 /*v265*/, 0x1f00 bitop3:0xec
	s_wait_dscnt 0x10
	s_set_vgpr_msb 64                       ;  msbs: dst=1 src0=0 src1=0 src2=0
	v_lshrrev_b32_e32 v18 /*v274*/, 16, v36
	s_set_vgpr_msb 0                        ;  msbs: dst=0 src0=0 src1=0 src2=0
	v_pk_fma_f16 v40, v45, v227, v40
	s_set_vgpr_msb 0x44                     ;  msbs: dst=1 src0=0 src1=1 src2=0
	v_and_b32_e32 v14 /*v270*/, 0xf0f0f0f, v14 /*v270*/
	s_set_vgpr_msb 0                        ;  msbs: dst=0 src0=0 src1=0 src2=0
	v_cvt_f16_i16_e32 v44, v44
	v_add_nc_u16 v46, 0xf000, v46
	v_and_b32_e32 v36, 0xffff, v36
	s_wait_dscnt 0xf
	s_set_vgpr_msb 64                       ;  msbs: dst=1 src0=0 src1=0 src2=0
	v_dual_lshrrev_b32 v21 /*v277*/, 16, v32 :: v_dual_lshrrev_b32 v25 /*v281*/, 16, v33
	s_set_vgpr_msb 0                        ;  msbs: dst=0 src0=0 src1=0 src2=0
	v_pack_b32_f16 v44, v133, v44
	s_set_vgpr_msb 4                        ;  msbs: dst=0 src0=0 src1=1 src2=0
	v_mul_u32_u24_e32 v133, 0x10001, v64 /*v320*/
	s_set_vgpr_msb 64                       ;  msbs: dst=1 src0=0 src1=0 src2=0
	v_lshrrev_b32_e32 v8 /*v264*/, 8, v46
	s_set_vgpr_msb 0                        ;  msbs: dst=0 src0=0 src1=0 src2=0
	v_and_b32_e32 v32, 0xffff, v32
	v_mul_u32_u24_e32 v36, 0x10001, v36
	s_set_vgpr_msb 0x44                     ;  msbs: dst=1 src0=0 src1=1 src2=0
	v_pk_mul_f16 v6 /*v262*/, v44, v7 /*v263*/
	s_set_vgpr_msb 64                       ;  msbs: dst=1 src0=0 src1=0 src2=0
	v_and_b32_e32 v7 /*v263*/, 0x1f00, v47
	s_set_vgpr_msb 16                       ;  msbs: dst=0 src0=0 src1=0 src2=1
	v_lshlrev_b16 v47, 8, v47
	v_pk_fma_f16 v44, v45, v133, v10 /*v266*/
	v_bfe_i32 v45, v46, 0, 8
	s_wait_loadcnt 0x12
	s_set_vgpr_msb 0x45                     ;  msbs: dst=1 src0=1 src1=1 src2=0
	v_lshrrev_b32_e32 v10 /*v266*/, v3 /*v259*/, v40 /*v296*/
	s_set_vgpr_msb 4                        ;  msbs: dst=0 src0=0 src1=1 src2=0
	v_add_nc_u16 v46, 0xf000, v7 /*v263*/
	s_set_vgpr_msb 0                        ;  msbs: dst=0 src0=0 src1=0 src2=0
	v_add_nc_u16 v47, 0xf000, v47
	s_set_vgpr_msb 0x41                     ;  msbs: dst=1 src0=1 src1=0 src2=0
	v_bfe_i32 v7 /*v263*/, v8 /*v264*/, 0, 8
	s_set_vgpr_msb 0x44                     ;  msbs: dst=1 src0=0 src1=1 src2=0
	v_dual_lshrrev_b32 v9 /*v265*/, v254, v40 /*v296*/ :: v_dual_lshlrev_b32 v10 /*v266*/, 12, v10 /*v266*/
	s_set_vgpr_msb 0                        ;  msbs: dst=0 src0=0 src1=0 src2=0
	v_lshrrev_b32_e32 v46, 8, v46
	v_ashrrev_i16 v47, 8, v47
	v_cvt_f16_i16_e32 v45, v45
	s_set_vgpr_msb 0x41                     ;  msbs: dst=1 src0=1 src1=0 src2=0
	v_cvt_f16_i16_e64 v7 /*v263*/, v7 /*v263*/
	s_set_vgpr_msb 0x44                     ;  msbs: dst=1 src0=0 src1=1 src2=0
	v_lshlrev_b32_e32 v9 /*v265*/, 4, v9 /*v265*/
	s_set_vgpr_msb 0                        ;  msbs: dst=0 src0=0 src1=0 src2=0
	v_bfe_i32 v46, v46, 0, 8
	v_cvt_f16_i16_e32 v47, v47
	s_set_vgpr_msb 0x44                     ;  msbs: dst=1 src0=0 src1=1 src2=0
	v_mul_u32_u24_e32 v8 /*v264*/, 0x10001, v38 /*v294*/
	v_and_b32_e32 v10 /*v266*/, 0x1000, v10 /*v266*/
	v_and_b32_e32 v9 /*v265*/, 16, v9 /*v265*/
	s_set_vgpr_msb 0                        ;  msbs: dst=0 src0=0 src1=0 src2=0
	v_cvt_f16_i16_e32 v46, v46
	s_set_vgpr_msb 0x44                     ;  msbs: dst=1 src0=0 src1=1 src2=0
	v_pack_b32_f16 v7 /*v263*/, v45, v7 /*v263*/
	s_set_vgpr_msb 1                        ;  msbs: dst=0 src0=1 src1=0 src2=0
	v_pk_fma_f16 v41, v6 /*v262*/, v227, v41
	s_set_vgpr_msb 17                       ;  msbs: dst=0 src0=1 src1=0 src2=1
	v_pk_fma_f16 v45, v6 /*v262*/, v133, v11 /*v267*/
	s_set_vgpr_msb 0x45                     ;  msbs: dst=1 src0=1 src1=1 src2=0
	v_ashrrev_i32_e32 v11 /*v267*/, v2 /*v258*/, v26 /*v282*/
	s_set_vgpr_msb 0                        ;  msbs: dst=0 src0=0 src1=0 src2=0
	v_pack_b32_f16 v46, v47, v46
	s_set_vgpr_msb 5                        ;  msbs: dst=0 src0=1 src1=1 src2=0
	v_pk_mul_f16 v47, v7 /*v263*/, v8 /*v264*/
	s_set_vgpr_msb 0                        ;  msbs: dst=0 src0=0 src1=0 src2=0
	v_mul_u32_u24_e32 v32, 0x10001, v32
	v_and_b32_e32 v33, 0xffff, v33
	s_set_vgpr_msb 64                       ;  msbs: dst=1 src0=0 src1=0 src2=0
	v_dual_lshrrev_b32 v19 /*v275*/, 16, v38 :: v_dual_lshrrev_b32 v20 /*v276*/, 16, v39
	s_set_vgpr_msb 0x44                     ;  msbs: dst=1 src0=0 src1=1 src2=0
	v_pk_mul_f16 v7 /*v263*/, v46, v8 /*v264*/
	s_set_vgpr_msb 0x55                     ;  msbs: dst=1 src0=1 src1=1 src2=1
	v_lshrrev_b32_e32 v8 /*v264*/, v4 /*v260*/, v40 /*v296*/
	v_or3_b32 v6 /*v262*/, v9 /*v265*/, v14 /*v270*/, v10 /*v266*/
	s_set_vgpr_msb 0                        ;  msbs: dst=0 src0=0 src1=0 src2=0
	v_pk_fma_f16 v42, v47, v227, v42
	s_set_vgpr_msb 16                       ;  msbs: dst=0 src0=0 src1=0 src2=1
	v_pk_fma_f16 v46, v47, v133, v12 /*v268*/
	s_set_vgpr_msb 1                        ;  msbs: dst=0 src0=1 src1=0 src2=0
	v_pk_fma_f16 v43, v7 /*v263*/, v227, v43
	s_set_vgpr_msb 17                       ;  msbs: dst=0 src0=1 src1=0 src2=1
	v_pk_fma_f16 v47, v7 /*v263*/, v133, v13 /*v269*/
	s_set_vgpr_msb 0x45                     ;  msbs: dst=1 src0=1 src1=1 src2=0
	v_lshlrev_b16 v10 /*v266*/, 8, v6 /*v262*/
	v_lshrrev_b32_e32 v13 /*v269*/, v5 /*v261*/, v28 /*v284*/
	s_wait_loadcnt 0x10
	v_mul_u32_u24_e32 v12 /*v268*/, 0x10001, v23 /*v279*/
	s_set_vgpr_msb 64                       ;  msbs: dst=1 src0=0 src1=0 src2=0
	ds_store_b128 v239, v[40:43]
	ds_store_b128 v239, v[44:47] offset:16
	v_lshrrev_b32_e32 v30 /*v286*/, 16, v34
	s_set_vgpr_msb 0x44                     ;  msbs: dst=1 src0=0 src1=1 src2=0
	v_add_nc_u16 v10 /*v266*/, 0xf000, v10 /*v266*/
	s_set_vgpr_msb 0                        ;  msbs: dst=0 src0=0 src1=0 src2=0
	v_and_b32_e32 v34, 0xffff, v34
	s_set_vgpr_msb 0x45                     ;  msbs: dst=1 src0=1 src1=1 src2=0
	s_delay_alu instid0(VALU_DEP_2)
	v_lshrrev_b16 v7 /*v263*/, 8, v10 /*v266*/
	v_lshrrev_b32_e32 v10 /*v266*/, v3 /*v259*/, v28 /*v284*/
	s_set_vgpr_msb 0                        ;  msbs: dst=0 src0=0 src1=0 src2=0
	v_mul_u32_u24_e32 v34, 0x10001, v34
	s_set_vgpr_msb 0x45                     ;  msbs: dst=1 src0=1 src1=1 src2=0
	v_bitop3_b16 v6 /*v262*/, v6 /*v262*/, v7 /*v263*/, 0x1f00 bitop3:0xec
	v_lshlrev_b32_e32 v10 /*v266*/, 12, v10 /*v266*/
	s_delay_alu instid0(VALU_DEP_2) | instskip(SKIP_2) | instid1(VALU_DEP_4)
	v_add_nc_u16 v6 /*v262*/, 0xf000, v6 /*v262*/
	v_lshrrev_b32_e32 v9 /*v265*/, v5 /*v261*/, v40 /*v296*/
	v_lshlrev_b32_e32 v8 /*v264*/, 20, v8 /*v264*/
	v_and_b32_e32 v10 /*v266*/, 0x1000, v10 /*v266*/
	s_set_vgpr_msb 4                        ;  msbs: dst=0 src0=0 src1=1 src2=0
	s_delay_alu instid0(VALU_DEP_2) | instskip(SKIP_4) | instid1(VALU_DEP_2)
	v_and_b32_e32 v133, 0x100000, v8 /*v264*/
	s_set_vgpr_msb 0x44                     ;  msbs: dst=1 src0=0 src1=1 src2=0
	v_dual_lshrrev_b32 v8 /*v264*/, 8, v6 /*v262*/ :: v_dual_lshlrev_b32 v9 /*v265*/, 28, v9 /*v265*/
	s_set_vgpr_msb 0x41                     ;  msbs: dst=1 src0=1 src1=0 src2=0
	v_bfe_i32 v6 /*v262*/, v6 /*v262*/, 0, 8
	v_bfe_i32 v8 /*v264*/, v8 /*v264*/, 0, 8
	s_set_vgpr_msb 4                        ;  msbs: dst=0 src0=0 src1=1 src2=0
	v_and_b32_e32 v227, 0x10000000, v9 /*v265*/
	s_set_vgpr_msb 0x44                     ;  msbs: dst=1 src0=0 src1=1 src2=0
	v_lshrrev_b32_e32 v9 /*v265*/, v254, v28 /*v284*/
	s_set_vgpr_msb 0x41                     ;  msbs: dst=1 src0=1 src1=0 src2=0
	v_cvt_f16_i16_e64 v6 /*v262*/, v6 /*v262*/
	v_cvt_f16_i16_e64 v8 /*v264*/, v8 /*v264*/
	s_set_vgpr_msb 1                        ;  msbs: dst=0 src0=1 src1=0 src2=0
	v_or3_b32 v133, v14 /*v270*/, v133, v227
	s_set_vgpr_msb 0x44                     ;  msbs: dst=1 src0=0 src1=1 src2=0
	v_lshlrev_b32_e32 v9 /*v265*/, 4, v9 /*v265*/
	s_set_vgpr_msb 0                        ;  msbs: dst=0 src0=0 src1=0 src2=0
	v_lshrrev_b32_e32 v227, 16, v37
	s_set_vgpr_msb 0x45                     ;  msbs: dst=1 src0=1 src1=1 src2=0
	v_pack_b32_f16 v6 /*v262*/, v6 /*v262*/, v8 /*v264*/
	s_set_vgpr_msb 0                        ;  msbs: dst=0 src0=0 src1=0 src2=0
	v_lshrrev_b32_e32 v133, 16, v133
	s_set_vgpr_msb 0x45                     ;  msbs: dst=1 src0=1 src1=1 src2=0
	v_and_b32_e32 v8 /*v264*/, 0xf0f0f0f, v11 /*v267*/
	v_dual_lshrrev_b32 v11 /*v267*/, v4 /*v260*/, v28 /*v284*/ :: v_dual_bitop2_b32 v9 /*v265*/, 16, v9 /*v265*/ bitop3:0x40
	v_pk_mul_f16 v14 /*v270*/, v6 /*v262*/, v12 /*v268*/
	s_set_vgpr_msb 64                       ;  msbs: dst=1 src0=0 src1=0 src2=0
	v_lshlrev_b16 v7 /*v263*/, 8, v133
	s_set_vgpr_msb 0                        ;  msbs: dst=0 src0=0 src1=0 src2=0
	v_and_b32_e32 v133, 0x1f00, v133
	s_set_vgpr_msb 0x55                     ;  msbs: dst=1 src0=1 src1=1 src2=1
	v_or3_b32 v9 /*v265*/, v9 /*v265*/, v8 /*v264*/, v10 /*v266*/
	v_dual_lshlrev_b32 v10 /*v266*/, 20, v11 /*v267*/ :: v_dual_lshlrev_b32 v11 /*v267*/, 28, v13 /*v269*/
	s_set_vgpr_msb 0                        ;  msbs: dst=0 src0=0 src1=0 src2=0
	v_add_nc_u16 v133, 0xf000, v133
	s_set_vgpr_msb 0x44                     ;  msbs: dst=1 src0=0 src1=1 src2=0
	v_add_nc_u16 v7 /*v263*/, 0xf000, v7 /*v263*/
	v_lshlrev_b16 v13 /*v269*/, 8, v9 /*v265*/
	v_and_b32_e32 v10 /*v266*/, 0x100000, v10 /*v266*/
	v_and_b32_e32 v11 /*v267*/, 0x10000000, v11 /*v267*/
	s_set_vgpr_msb 0                        ;  msbs: dst=0 src0=0 src1=0 src2=0
	v_lshrrev_b32_e32 v133, 8, v133
	s_set_vgpr_msb 0x44                     ;  msbs: dst=1 src0=0 src1=1 src2=0
	v_ashrrev_i16 v7 /*v263*/, 8, v7 /*v263*/
	v_add_nc_u16 v13 /*v269*/, 0xf000, v13 /*v269*/
	s_set_vgpr_msb 1                        ;  msbs: dst=0 src0=1 src1=0 src2=0
	v_pk_fma_f16 v40, v14 /*v270*/, v36, v40
	s_set_vgpr_msb 0x55                     ;  msbs: dst=1 src0=1 src1=1 src2=1
	v_or3_b32 v8 /*v264*/, v8 /*v264*/, v10 /*v266*/, v11 /*v267*/
	s_set_vgpr_msb 0                        ;  msbs: dst=0 src0=0 src1=0 src2=0
	v_bfe_i32 v133, v133, 0, 8
	s_set_vgpr_msb 0x41                     ;  msbs: dst=1 src0=1 src1=0 src2=0
	v_cvt_f16_i16_e64 v7 /*v263*/, v7 /*v263*/
	s_set_vgpr_msb 0x44                     ;  msbs: dst=1 src0=0 src1=1 src2=0
	v_lshrrev_b16 v10 /*v266*/, 8, v13 /*v269*/
	s_set_vgpr_msb 1                        ;  msbs: dst=0 src0=1 src1=0 src2=0
	v_pk_fma_f16 v44, v14 /*v270*/, v32, v44
	s_set_vgpr_msb 0                        ;  msbs: dst=0 src0=0 src1=0 src2=0
	v_cvt_f16_i16_e64 v133, v133
	s_set_vgpr_msb 0x45                     ;  msbs: dst=1 src0=1 src1=1 src2=0
	v_bitop3_b16 v13 /*v269*/, v9 /*v265*/, v10 /*v266*/, 0x1f00 bitop3:0xec
	s_set_vgpr_msb 64                       ;  msbs: dst=1 src0=0 src1=0 src2=0
	v_add_nc_u64_e32 v[10:11] /*v[266:267]*/, s[10:11], v[160:161]
	s_set_vgpr_msb 1                        ;  msbs: dst=0 src0=1 src1=0 src2=0
	v_pack_b32_f16 v133, v7 /*v263*/, v133
	s_set_vgpr_msb 64                       ;  msbs: dst=1 src0=0 src1=0 src2=0
	v_add_nc_u64_e32 v[6:7] /*v[262:263]*/, s[10:11], v[156:157]
	s_set_vgpr_msb 0x44                     ;  msbs: dst=1 src0=0 src1=1 src2=0
	v_add_nc_u16 v23 /*v279*/, 0xf000, v13 /*v269*/
	s_set_vgpr_msb 4                        ;  msbs: dst=0 src0=0 src1=1 src2=0
	v_pk_mul_f16 v133, v133, v12 /*v268*/
	s_set_vgpr_msb 0x44                     ;  msbs: dst=1 src0=0 src1=1 src2=0
	s_delay_alu instid0(VALU_DEP_2)
	v_dual_lshrrev_b32 v12 /*v268*/, 16, v8 /*v264*/ :: v_dual_lshrrev_b32 v34 /*v290*/, 8, v23 /*v279*/
	s_set_vgpr_msb 0x41                     ;  msbs: dst=1 src0=1 src1=0 src2=0
	v_add_nc_u64_e32 v[8:9] /*v[264:265]*/, v[6:7] /*v[262:263]*/, v[232:233]
	v_add_nc_u64_e32 v[6:7] /*v[262:263]*/, v[6:7] /*v[262:263]*/, v[230:231]
	;; [unrolled: 1-line block ×3, first 2 shown]
	s_set_vgpr_msb 0x44                     ;  msbs: dst=1 src0=0 src1=1 src2=0
	v_lshlrev_b16 v26 /*v282*/, 8, v12 /*v268*/
	v_and_b32_e32 v28 /*v284*/, 0x1f00, v12 /*v268*/
	s_set_vgpr_msb 0                        ;  msbs: dst=0 src0=0 src1=0 src2=0
	v_pk_fma_f16 v45, v133, v32, v45
	v_pk_fma_f16 v41, v133, v36, v41
	s_set_vgpr_msb 0x41                     ;  msbs: dst=1 src0=1 src1=0 src2=0
	v_add_nc_u64_e32 v[12:13] /*v[268:269]*/, v[8:9] /*v[264:265]*/, v[188:189]
	v_add_nc_u64_e32 v[14:15] /*v[270:271]*/, v[6:7] /*v[262:263]*/, v[190:191]
	s_set_vgpr_msb 0x44                     ;  msbs: dst=1 src0=0 src1=1 src2=0
	v_add_nc_u16 v28 /*v284*/, 0xf000, v28 /*v284*/
	s_set_vgpr_msb 0x41                     ;  msbs: dst=1 src0=1 src1=0 src2=0
	s_clause 0x5
	global_load_b32 v35 /*v291*/, v[12:13] /*v[268:269]*/, off offset:6
	global_load_b32 v36 /*v292*/, v[14:15] /*v[270:271]*/, off offset:6
	global_load_u16 v37 /*v293*/, v[16:17] /*v[272:273]*/, off
	global_load_b32 v38 /*v294*/, v[6:7] /*v[262:263]*/, off offset:2
	global_load_u16 v39 /*v295*/, v[6:7] /*v[262:263]*/, off
	global_load_b32 v40 /*v296*/, v[8:9] /*v[264:265]*/, off offset:2
	s_wait_xcnt 0x5
	s_set_vgpr_msb 0x44                     ;  msbs: dst=1 src0=0 src1=1 src2=0
	v_lshrrev_b32_e32 v13 /*v269*/, v254, v22 /*v278*/
	s_wait_loadcnt 0x15
	s_wait_xcnt 0x4
	s_set_vgpr_msb 0x55                     ;  msbs: dst=1 src0=1 src1=1 src2=1
	v_dual_lshrrev_b32 v14 /*v270*/, v3 /*v259*/, v22 /*v278*/ :: v_dual_ashrrev_i32 v15 /*v271*/, v2 /*v258*/, v24 /*v280*/
	s_wait_xcnt 0x1
	v_bfe_i32 v6 /*v262*/, v23 /*v279*/, 0, 8
	v_dual_lshrrev_b32 v23 /*v279*/, 8, v28 /*v284*/ :: v_dual_lshlrev_b32 v13 /*v269*/, 4, v13 /*v269*/
	s_delay_alu instid0(VALU_DEP_3)
	v_lshlrev_b32_e32 v14 /*v270*/, 12, v14 /*v270*/
	v_add_nc_u16 v26 /*v282*/, 0xf000, v26 /*v282*/
	v_bfe_i32 v7 /*v263*/, v34 /*v290*/, 0, 8
	v_and_b32_e32 v15 /*v271*/, 0xf0f0f0f, v15 /*v271*/
	v_and_b32_e32 v13 /*v269*/, 16, v13 /*v269*/
	v_and_b32_e32 v14 /*v270*/, 0x1000, v14 /*v270*/
	v_cvt_f16_i16_e64 v6 /*v262*/, v6 /*v262*/
	v_cvt_f16_i16_e64 v7 /*v263*/, v7 /*v263*/
	v_ashrrev_i16 v24 /*v280*/, 8, v26 /*v282*/
	v_lshrrev_b32_e32 v26 /*v282*/, v4 /*v260*/, v22 /*v278*/
	v_bfe_i32 v23 /*v279*/, v23 /*v279*/, 0, 8
	v_or3_b32 v13 /*v269*/, v13 /*v269*/, v15 /*v271*/, v14 /*v270*/
	v_pack_b32_f16 v6 /*v262*/, v6 /*v262*/, v7 /*v263*/
	v_cvt_f16_i16_e64 v24 /*v280*/, v24 /*v280*/
	v_mul_u32_u24_e32 v12 /*v268*/, 0x10001, v33 /*v289*/
	v_cvt_f16_i16_e64 v23 /*v279*/, v23 /*v279*/
	v_lshlrev_b16 v7 /*v263*/, 8, v13 /*v269*/
	v_lshrrev_b32_e32 v22 /*v278*/, v5 /*v261*/, v22 /*v278*/
	v_lshlrev_b32_e32 v14 /*v270*/, 20, v26 /*v282*/
	v_pk_mul_f16 v6 /*v262*/, v6 /*v262*/, v12 /*v268*/
	v_pack_b32_f16 v23 /*v279*/, v24 /*v280*/, v23 /*v279*/
	v_add_nc_u16 v7 /*v263*/, 0xf000, v7 /*v263*/
	s_set_vgpr_msb 64                       ;  msbs: dst=1 src0=0 src1=0 src2=0
	v_mul_u32_u24_e32 v28 /*v284*/, 0x10001, v33
	s_set_vgpr_msb 1                        ;  msbs: dst=0 src0=1 src1=0 src2=0
	v_pk_fma_f16 v46, v6 /*v262*/, v32, v46
	s_set_vgpr_msb 0x45                     ;  msbs: dst=1 src0=1 src1=1 src2=0
	v_pk_mul_f16 v12 /*v268*/, v23 /*v279*/, v12 /*v268*/
	v_lshrrev_b16 v7 /*v263*/, 8, v7 /*v263*/
	s_set_vgpr_msb 1                        ;  msbs: dst=0 src0=1 src1=0 src2=0
	v_pk_fma_f16 v42, v6 /*v262*/, v36, v42
	s_wait_loadcnt 0x12
	s_set_vgpr_msb 0x44                     ;  msbs: dst=1 src0=0 src1=1 src2=0
	v_lshrrev_b32_e32 v6 /*v262*/, v254, v32 /*v288*/
	v_and_b32_e32 v14 /*v270*/, 0x100000, v14 /*v270*/
	s_set_vgpr_msb 1                        ;  msbs: dst=0 src0=1 src1=0 src2=0
	v_pk_fma_f16 v47, v12 /*v268*/, v32, v47
	s_set_vgpr_msb 5                        ;  msbs: dst=0 src0=1 src1=1 src2=0
	v_bitop3_b16 v32, v13 /*v269*/, v7 /*v263*/, 0x1f00 bitop3:0xec
	s_set_vgpr_msb 0x45                     ;  msbs: dst=1 src0=1 src1=1 src2=0
	v_dual_lshrrev_b32 v7 /*v263*/, v3 /*v259*/, v32 /*v288*/ :: v_dual_lshlrev_b32 v22 /*v278*/, 28, v22 /*v278*/
	s_set_vgpr_msb 1                        ;  msbs: dst=0 src0=1 src1=0 src2=0
	v_pk_fma_f16 v43, v12 /*v268*/, v36, v43
	s_set_vgpr_msb 0x45                     ;  msbs: dst=1 src0=1 src1=1 src2=0
	v_dual_ashrrev_i32 v12 /*v268*/, v2 /*v258*/, v29 /*v285*/ :: v_dual_lshlrev_b32 v6 /*v262*/, 4, v6 /*v262*/
	v_lshlrev_b32_e32 v7 /*v263*/, 12, v7 /*v263*/
	v_and_b32_e32 v22 /*v278*/, 0x10000000, v22 /*v278*/
	s_set_vgpr_msb 0                        ;  msbs: dst=0 src0=0 src1=0 src2=0
	ds_store_b128 v239, v[40:43]
	ds_store_b128 v239, v[44:47] offset:16
	s_set_vgpr_msb 0x41                     ;  msbs: dst=1 src0=1 src1=0 src2=0
	s_clause 0x1
	global_load_b32 v23 /*v279*/, v[16:17] /*v[272:273]*/, off offset:2
	global_load_u16 v24 /*v280*/, v[8:9] /*v[264:265]*/, off
	s_wait_xcnt 0x0
	s_set_vgpr_msb 0x45                     ;  msbs: dst=1 src0=1 src1=1 src2=0
	v_and_b32_e32 v9 /*v265*/, 0xf0f0f0f, v12 /*v268*/
	v_dual_lshrrev_b32 v12 /*v268*/, v4 /*v260*/, v32 /*v288*/ :: v_dual_bitop2_b32 v6 /*v262*/, 16, v6 /*v262*/ bitop3:0x40
	s_set_vgpr_msb 21                       ;  msbs: dst=0 src0=1 src1=1 src2=1
	v_or3_b32 v133, v15 /*v271*/, v14 /*v270*/, v22 /*v278*/
	s_set_vgpr_msb 0x45                     ;  msbs: dst=1 src0=1 src1=1 src2=0
	v_and_b32_e32 v7 /*v263*/, 0x1000, v7 /*v263*/
	v_lshrrev_b32_e32 v13 /*v269*/, v5 /*v261*/, v32 /*v288*/
	s_set_vgpr_msb 0                        ;  msbs: dst=0 src0=0 src1=0 src2=0
	v_add_nc_u16 v32, 0xf000, v32
	s_set_vgpr_msb 0x44                     ;  msbs: dst=1 src0=0 src1=1 src2=0
	v_mul_u32_u24_e32 v14 /*v270*/, 0x10001, v27 /*v283*/
	s_set_vgpr_msb 0                        ;  msbs: dst=0 src0=0 src1=0 src2=0
	v_lshrrev_b32_e32 v133, 16, v133
	s_set_vgpr_msb 0x55                     ;  msbs: dst=1 src0=1 src1=1 src2=1
	v_or3_b32 v6 /*v262*/, v6 /*v262*/, v9 /*v265*/, v7 /*v263*/
	v_dual_lshlrev_b32 v7 /*v263*/, 20, v12 /*v268*/ :: v_dual_lshlrev_b32 v12 /*v268*/, 28, v13 /*v269*/
	s_set_vgpr_msb 64                       ;  msbs: dst=1 src0=0 src1=0 src2=0
	v_lshrrev_b32_e32 v8 /*v264*/, 8, v32
	s_set_vgpr_msb 0                        ;  msbs: dst=0 src0=0 src1=0 src2=0
	v_lshlrev_b16 v36, 8, v133
	v_and_b32_e32 v133, 0x1f00, v133
	s_set_vgpr_msb 0x44                     ;  msbs: dst=1 src0=0 src1=1 src2=0
	v_lshlrev_b16 v13 /*v269*/, 8, v6 /*v262*/
	v_and_b32_e32 v7 /*v263*/, 0x100000, v7 /*v263*/
	v_and_b32_e32 v12 /*v268*/, 0x10000000, v12 /*v268*/
	s_set_vgpr_msb 0                        ;  msbs: dst=0 src0=0 src1=0 src2=0
	v_add_nc_u16 v36, 0xf000, v36
	v_add_nc_u16 v133, 0xf000, v133
	s_set_vgpr_msb 0x44                     ;  msbs: dst=1 src0=0 src1=1 src2=0
	v_add_nc_u16 v13 /*v269*/, 0xf000, v13 /*v269*/
	s_set_vgpr_msb 0x41                     ;  msbs: dst=1 src0=1 src1=0 src2=0
	v_bfe_i32 v8 /*v264*/, v8 /*v264*/, 0, 8
	s_set_vgpr_msb 0                        ;  msbs: dst=0 src0=0 src1=0 src2=0
	v_bfe_i32 v32, v32, 0, 8
	v_ashrrev_i16 v36, 8, v36
	v_lshrrev_b32_e32 v133, 8, v133
	s_set_vgpr_msb 0x55                     ;  msbs: dst=1 src0=1 src1=1 src2=1
	v_or3_b32 v7 /*v263*/, v9 /*v265*/, v7 /*v263*/, v12 /*v268*/
	v_lshrrev_b16 v9 /*v265*/, 8, v13 /*v269*/
	s_set_vgpr_msb 0                        ;  msbs: dst=0 src0=0 src1=0 src2=0
	v_cvt_f16_i16_e32 v32, v32
	s_set_vgpr_msb 0x41                     ;  msbs: dst=1 src0=1 src1=0 src2=0
	v_cvt_f16_i16_e64 v8 /*v264*/, v8 /*v264*/
	s_set_vgpr_msb 0                        ;  msbs: dst=0 src0=0 src1=0 src2=0
	v_bfe_i32 v133, v133, 0, 8
	v_cvt_f16_i16_e32 v36, v36
	s_set_vgpr_msb 0x45                     ;  msbs: dst=1 src0=1 src1=1 src2=0
	v_bitop3_b16 v6 /*v262*/, v6 /*v262*/, v9 /*v265*/, 0x1f00 bitop3:0xec
	v_lshrrev_b32_e32 v7 /*v263*/, 16, v7 /*v263*/
	s_set_vgpr_msb 4                        ;  msbs: dst=0 src0=0 src1=1 src2=0
	v_pack_b32_f16 v32, v32, v8 /*v264*/
	v_cvt_f16_i16_e64 v133, v133
	s_set_vgpr_msb 0x44                     ;  msbs: dst=1 src0=0 src1=1 src2=0
	v_mul_u32_u24_e32 v8 /*v264*/, 0x10001, v18 /*v274*/
	v_add_nc_u16 v6 /*v262*/, 0xf000, v6 /*v262*/
	v_lshlrev_b16 v12 /*v268*/, 8, v7 /*v263*/
	s_set_vgpr_msb 4                        ;  msbs: dst=0 src0=0 src1=1 src2=0
	v_pk_mul_f16 v32, v32, v14 /*v270*/
	s_set_vgpr_msb 0                        ;  msbs: dst=0 src0=0 src1=0 src2=0
	v_pack_b32_f16 v36, v36, v133
	s_set_vgpr_msb 4                        ;  msbs: dst=0 src0=0 src1=1 src2=0
	v_and_b32_e32 v133, 0x1f00, v7 /*v263*/
	s_set_vgpr_msb 0x44                     ;  msbs: dst=1 src0=0 src1=1 src2=0
	v_lshrrev_b32_e32 v13 /*v269*/, 8, v6 /*v262*/
	v_add_nc_u16 v12 /*v268*/, 0xf000, v12 /*v268*/
	v_mul_u32_u24_e32 v9 /*v265*/, 0x10001, v21 /*v277*/
	s_set_vgpr_msb 4                        ;  msbs: dst=0 src0=0 src1=1 src2=0
	v_pk_mul_f16 v36, v36, v14 /*v270*/
	s_set_vgpr_msb 0x41                     ;  msbs: dst=1 src0=1 src1=0 src2=0
	v_bfe_i32 v14 /*v270*/, v6 /*v262*/, 0, 8
	v_add_nc_u64_e32 v[6:7] /*v[262:263]*/, v[16:17] /*v[272:273]*/, v[188:189]
	s_set_vgpr_msb 0                        ;  msbs: dst=0 src0=0 src1=0 src2=0
	v_add_nc_u16 v133, 0xf000, v133
	s_set_vgpr_msb 0x44                     ;  msbs: dst=1 src0=0 src1=1 src2=0
	v_ashrrev_i16 v12 /*v268*/, 8, v12 /*v268*/
	s_set_vgpr_msb 4                        ;  msbs: dst=0 src0=0 src1=1 src2=0
	v_pk_fma_f16 v40, v32, v8 /*v264*/, v40
	v_pk_fma_f16 v44, v32, v9 /*v265*/, v44
	;; [unrolled: 1-line block ×3, first 2 shown]
	s_set_vgpr_msb 0                        ;  msbs: dst=0 src0=0 src1=0 src2=0
	v_lshrrev_b32_e32 v133, 8, v133
	s_set_vgpr_msb 0x45                     ;  msbs: dst=1 src0=1 src1=1 src2=0
	global_load_b32 v18 /*v274*/, v[6:7] /*v[262:263]*/, off offset:6
	s_wait_xcnt 0x0
	v_cvt_f16_i16_e64 v7 /*v263*/, v12 /*v268*/
	s_wait_loadcnt 0x12
	v_lshrrev_b32_e32 v12 /*v268*/, v3 /*v259*/, v45 /*v301*/
	s_set_vgpr_msb 1                        ;  msbs: dst=0 src0=1 src1=0 src2=0
	v_bfe_i32 v32, v13 /*v269*/, 0, 8
	s_set_vgpr_msb 0                        ;  msbs: dst=0 src0=0 src1=0 src2=0
	v_bfe_i32 v133, v133, 0, 8
	s_set_vgpr_msb 0x41                     ;  msbs: dst=1 src0=1 src1=0 src2=0
	v_cvt_f16_i16_e64 v13 /*v269*/, v14 /*v270*/
	s_set_vgpr_msb 4                        ;  msbs: dst=0 src0=0 src1=1 src2=0
	v_pk_fma_f16 v45, v36, v9 /*v265*/, v45
	v_lshrrev_b32_e32 v36, v254, v45 /*v301*/
	v_cvt_f16_i16_e32 v32, v32
	v_cvt_f16_i16_e64 v133, v133
	s_wait_loadcnt 0x11
	s_set_vgpr_msb 0x44                     ;  msbs: dst=1 src0=0 src1=1 src2=0
	v_mul_u32_u24_e32 v6 /*v262*/, 0x10001, v46 /*v302*/
	v_lshlrev_b32_e32 v12 /*v268*/, 12, v12 /*v268*/
	s_set_vgpr_msb 1                        ;  msbs: dst=0 src0=1 src1=0 src2=0
	v_lshlrev_b32_e32 v36, 4, v36
	v_pack_b32_f16 v32, v13 /*v269*/, v32
	v_pack_b32_f16 v133, v7 /*v263*/, v133
	s_set_vgpr_msb 0x45                     ;  msbs: dst=1 src0=1 src1=1 src2=0
	v_ashrrev_i32_e32 v7 /*v263*/, v2 /*v258*/, v43 /*v299*/
	v_mul_u32_u24_e32 v41 /*v297*/, 0x10001, v44 /*v300*/
	s_set_vgpr_msb 0                        ;  msbs: dst=0 src0=0 src1=0 src2=0
	v_and_b32_e32 v36, 16, v36
	s_set_vgpr_msb 4                        ;  msbs: dst=0 src0=0 src1=1 src2=0
	v_pk_mul_f16 v32, v32, v6 /*v262*/
	v_pk_mul_f16 v133, v133, v6 /*v262*/
	s_set_vgpr_msb 0x45                     ;  msbs: dst=1 src0=1 src1=1 src2=0
	v_and_b32_e32 v13 /*v269*/, 0xf0f0f0f, v7 /*v263*/
	v_and_b32_e32 v6 /*v262*/, 0x1000, v12 /*v268*/
	s_wait_loadcnt 0x9
	v_dual_lshrrev_b32 v7 /*v263*/, v5 /*v261*/, v45 /*v301*/ :: v_dual_lshrrev_b32 v17 /*v273*/, v3 /*v259*/, v56 /*v312*/
	s_set_vgpr_msb 4                        ;  msbs: dst=0 src0=0 src1=1 src2=0
	v_pk_fma_f16 v42, v32, v8 /*v264*/, v42
	v_pk_fma_f16 v46, v32, v9 /*v265*/, v46
	s_set_vgpr_msb 5                        ;  msbs: dst=0 src0=1 src1=1 src2=0
	v_lshrrev_b32_e32 v32, v4 /*v260*/, v45 /*v301*/
	s_set_vgpr_msb 0x54                     ;  msbs: dst=1 src0=0 src1=1 src2=1
	v_or3_b32 v12 /*v268*/, v36, v13 /*v269*/, v6 /*v262*/
	s_set_vgpr_msb 4                        ;  msbs: dst=0 src0=0 src1=1 src2=0
	v_pk_fma_f16 v43, v133, v8 /*v264*/, v43
	v_pk_fma_f16 v47, v133, v9 /*v265*/, v47
	s_set_vgpr_msb 0x44                     ;  msbs: dst=1 src0=0 src1=1 src2=0
	v_dual_lshlrev_b32 v8 /*v264*/, 28, v7 /*v263*/ :: v_dual_lshrrev_b32 v16 /*v272*/, v254, v56 /*v312*/
	s_set_vgpr_msb 0                        ;  msbs: dst=0 src0=0 src1=0 src2=0
	v_lshlrev_b32_e32 v32, 20, v32
	s_set_vgpr_msb 0x44                     ;  msbs: dst=1 src0=0 src1=1 src2=0
	v_lshlrev_b16 v9 /*v265*/, 8, v12 /*v268*/
	s_set_vgpr_msb 1                        ;  msbs: dst=0 src0=1 src1=0 src2=0
	v_and_b32_e32 v133, 0xffff, v37
	v_add_nc_u64_e32 v[36:37], v[10:11] /*v[266:267]*/, v[230:231]
	s_set_vgpr_msb 64                       ;  msbs: dst=1 src0=0 src1=0 src2=0
	v_add_nc_u64_e32 v[6:7] /*v[262:263]*/, s[10:11], v[164:165]
	s_set_vgpr_msb 0                        ;  msbs: dst=0 src0=0 src1=0 src2=0
	v_and_b32_e32 v32, 0x100000, v32
	s_set_vgpr_msb 0x44                     ;  msbs: dst=1 src0=0 src1=1 src2=0
	v_and_b32_e32 v14 /*v270*/, 0x10000000, v8 /*v264*/
	v_add_nc_u16 v15 /*v271*/, 0xf000, v9 /*v265*/
	s_set_vgpr_msb 0                        ;  msbs: dst=0 src0=0 src1=0 src2=0
	v_mul_u32_u24_e32 v133, 0x10001, v133
	s_set_vgpr_msb 64                       ;  msbs: dst=1 src0=0 src1=0 src2=0
	v_lshrrev_b32_e32 v22 /*v278*/, 16, v35
	v_add_nc_u64_e32 v[8:9] /*v[264:265]*/, v[36:37], v[190:191]
	s_set_vgpr_msb 0x41                     ;  msbs: dst=1 src0=1 src1=0 src2=0
	v_add_nc_u64_e32 v[10:11] /*v[266:267]*/, v[6:7] /*v[262:263]*/, v[232:233]
	s_set_vgpr_msb 17                       ;  msbs: dst=0 src0=1 src1=0 src2=1
	v_or3_b32 v32, v13 /*v269*/, v32, v14 /*v270*/
	s_set_vgpr_msb 0x45                     ;  msbs: dst=1 src0=1 src1=1 src2=0
	v_lshrrev_b16 v13 /*v269*/, 8, v15 /*v271*/
	v_dual_ashrrev_i32 v14 /*v270*/, v2 /*v258*/, v49 /*v305*/ :: v_dual_lshlrev_b32 v15 /*v271*/, 4, v16 /*v272*/
	v_lshlrev_b32_e32 v16 /*v272*/, 12, v17 /*v273*/
	s_clause 0x3
	global_load_b32 v21 /*v277*/, v[8:9] /*v[264:265]*/, off offset:6
	global_load_u16 v26 /*v282*/, v[10:11] /*v[266:267]*/, off
	s_set_vgpr_msb 64                       ;  msbs: dst=1 src0=0 src1=0 src2=0
	global_load_b32 v27 /*v283*/, v[36:37], off offset:2
	s_wait_xcnt 0x2
	s_set_vgpr_msb 0x45                     ;  msbs: dst=1 src0=1 src1=1 src2=0
	v_bitop3_b16 v8 /*v264*/, v12 /*v268*/, v13 /*v269*/, 0x1f00 bitop3:0xec
	v_and_b32_e32 v9 /*v265*/, 0xf0f0f0f, v14 /*v270*/
	v_and_b32_e32 v12 /*v268*/, 16, v15 /*v271*/
	;; [unrolled: 1-line block ×3, first 2 shown]
	s_set_vgpr_msb 0                        ;  msbs: dst=0 src0=0 src1=0 src2=0
	v_lshrrev_b32_e32 v32, 16, v32
	s_set_vgpr_msb 0x55                     ;  msbs: dst=1 src0=1 src1=1 src2=1
	v_add_nc_u16 v8 /*v264*/, 0xf000, v8 /*v264*/
	v_dual_lshrrev_b32 v16 /*v272*/, v4 /*v260*/, v56 /*v312*/ :: v_dual_lshrrev_b32 v17 /*v273*/, v5 /*v261*/, v56 /*v312*/
	v_or3_b32 v12 /*v268*/, v12 /*v268*/, v9 /*v265*/, v13 /*v269*/
	s_set_vgpr_msb 64                       ;  msbs: dst=1 src0=0 src1=0 src2=0
	v_lshlrev_b16 v14 /*v270*/, 8, v32
	s_set_vgpr_msb 0                        ;  msbs: dst=0 src0=0 src1=0 src2=0
	v_and_b32_e32 v32, 0x1f00, v32
	s_set_vgpr_msb 0x44                     ;  msbs: dst=1 src0=0 src1=1 src2=0
	v_dual_lshrrev_b32 v13 /*v269*/, 8, v8 /*v264*/ :: v_dual_lshlrev_b32 v17 /*v273*/, 28, v17 /*v273*/
	v_lshlrev_b16 v15 /*v271*/, 8, v12 /*v268*/
	v_lshlrev_b32_e32 v16 /*v272*/, 20, v16 /*v272*/
	s_set_vgpr_msb 0                        ;  msbs: dst=0 src0=0 src1=0 src2=0
	v_add_nc_u16 v32, 0xf000, v32
	s_set_vgpr_msb 0x44                     ;  msbs: dst=1 src0=0 src1=1 src2=0
	v_add_nc_u16 v14 /*v270*/, 0xf000, v14 /*v270*/
	s_set_vgpr_msb 0x41                     ;  msbs: dst=1 src0=1 src1=0 src2=0
	v_bfe_i32 v13 /*v269*/, v13 /*v269*/, 0, 8
	s_set_vgpr_msb 0x44                     ;  msbs: dst=1 src0=0 src1=1 src2=0
	v_add_nc_u16 v15 /*v271*/, 0xf000, v15 /*v271*/
	s_set_vgpr_msb 0x41                     ;  msbs: dst=1 src0=1 src1=0 src2=0
	v_bfe_i32 v8 /*v264*/, v8 /*v264*/, 0, 8
	s_set_vgpr_msb 0                        ;  msbs: dst=0 src0=0 src1=0 src2=0
	v_lshrrev_b32_e32 v32, 8, v32
	s_set_vgpr_msb 0x44                     ;  msbs: dst=1 src0=0 src1=1 src2=0
	v_and_b32_e32 v16 /*v272*/, 0x100000, v16 /*v272*/
	v_and_b32_e32 v17 /*v273*/, 0x10000000, v17 /*v273*/
	v_lshrrev_b16 v15 /*v271*/, 8, v15 /*v271*/
	v_ashrrev_i16 v14 /*v270*/, 8, v14 /*v270*/
	s_set_vgpr_msb 0                        ;  msbs: dst=0 src0=0 src1=0 src2=0
	v_bfe_i32 v32, v32, 0, 8
	s_set_vgpr_msb 0x55                     ;  msbs: dst=1 src0=1 src1=1 src2=1
	v_cvt_f16_i16_e64 v8 /*v264*/, v8 /*v264*/
	v_cvt_f16_i16_e64 v13 /*v269*/, v13 /*v269*/
	v_bitop3_b16 v12 /*v268*/, v12 /*v268*/, v15 /*v271*/, 0x1f00 bitop3:0xec
	v_or3_b32 v9 /*v265*/, v9 /*v265*/, v16 /*v272*/, v17 /*v273*/
	v_cvt_f16_i16_e64 v14 /*v270*/, v14 /*v270*/
	s_set_vgpr_msb 0                        ;  msbs: dst=0 src0=0 src1=0 src2=0
	v_cvt_f16_i16_e32 v32, v32
	s_set_vgpr_msb 0x45                     ;  msbs: dst=1 src0=1 src1=1 src2=0
	v_pack_b32_f16 v8 /*v264*/, v8 /*v264*/, v13 /*v269*/
	v_add_nc_u16 v12 /*v268*/, 0xf000, v12 /*v268*/
	v_lshrrev_b32_e32 v13 /*v269*/, 16, v9 /*v265*/
	v_mul_u32_u24_e32 v15 /*v271*/, 0x10001, v31 /*v287*/
	s_set_vgpr_msb 1                        ;  msbs: dst=0 src0=1 src1=0 src2=0
	v_pack_b32_f16 v32, v14 /*v270*/, v32
	v_and_b32_e32 v35, 0xffff, v35
	s_set_vgpr_msb 0x44                     ;  msbs: dst=1 src0=0 src1=1 src2=0
	v_lshrrev_b32_e32 v9 /*v265*/, 8, v12 /*v268*/
	s_set_vgpr_msb 0x45                     ;  msbs: dst=1 src0=1 src1=1 src2=0
	v_bfe_i32 v12 /*v268*/, v12 /*v268*/, 0, 8
	v_pk_mul_f16 v14 /*v270*/, v8 /*v264*/, v15 /*v271*/
	s_set_vgpr_msb 0x44                     ;  msbs: dst=1 src0=0 src1=1 src2=0
	v_pk_mul_f16 v29 /*v285*/, v32, v15 /*v271*/
	s_set_vgpr_msb 1                        ;  msbs: dst=0 src0=1 src1=0 src2=0
	v_add_nc_u64_e32 v[32:33], v[10:11] /*v[266:267]*/, v[188:189]
	s_set_vgpr_msb 0x41                     ;  msbs: dst=1 src0=1 src1=0 src2=0
	v_bfe_i32 v16 /*v272*/, v9 /*v265*/, 0, 8
	v_add_nc_u64_e32 v[8:9] /*v[264:265]*/, v[6:7] /*v[262:263]*/, v[230:231]
	s_set_vgpr_msb 0x44                     ;  msbs: dst=1 src0=0 src1=1 src2=0
	v_and_b32_e32 v15 /*v271*/, 0x1f00, v13 /*v269*/
	s_set_vgpr_msb 0x41                     ;  msbs: dst=1 src0=1 src1=0 src2=0
	v_cvt_f16_i16_e64 v7 /*v263*/, v12 /*v268*/
	s_set_vgpr_msb 64                       ;  msbs: dst=1 src0=0 src1=0 src2=0
	s_clause 0x5
	global_load_b32 v31 /*v287*/, v[32:33], off offset:6
	s_set_vgpr_msb 0x41                     ;  msbs: dst=1 src0=1 src1=0 src2=0
	global_load_u16 v32 /*v288*/, v[8:9] /*v[264:265]*/, off
	global_load_b32 v33 /*v289*/, v[10:11] /*v[266:267]*/, off offset:2
	s_set_vgpr_msb 64                       ;  msbs: dst=1 src0=0 src1=0 src2=0
	global_load_u16 v34 /*v290*/, v[36:37], off
	s_set_vgpr_msb 0x41                     ;  msbs: dst=1 src0=1 src1=0 src2=0
	v_cvt_f16_i16_e64 v12 /*v268*/, v16 /*v272*/
	s_set_vgpr_msb 0x44                     ;  msbs: dst=1 src0=0 src1=1 src2=0
	v_add_nc_u16 v15 /*v271*/, 0xf000, v15 /*v271*/
	v_lshlrev_b16 v13 /*v269*/, 8, v13 /*v269*/
	s_wait_xcnt 0x0
	s_set_vgpr_msb 5                        ;  msbs: dst=0 src0=1 src1=1 src2=0
	v_lshrrev_b32_e32 v37, v3 /*v259*/, v54 /*v310*/
	s_set_vgpr_msb 0x41                     ;  msbs: dst=1 src0=1 src1=0 src2=0
	v_pk_fma_f16 v6 /*v262*/, v14 /*v270*/, v133, v40
	s_set_vgpr_msb 5                        ;  msbs: dst=0 src0=1 src1=1 src2=0
	v_pack_b32_f16 v32, v7 /*v263*/, v12 /*v268*/
	v_lshrrev_b32_e32 v33, 8, v15 /*v271*/
	v_add_nc_u16 v36, 0xf000, v13 /*v269*/
	s_set_vgpr_msb 0x45                     ;  msbs: dst=1 src0=1 src1=1 src2=0
	v_ashrrev_i32_e32 v12 /*v268*/, v2 /*v258*/, v50 /*v306*/
	s_set_vgpr_msb 0                        ;  msbs: dst=0 src0=0 src1=0 src2=0
	v_lshlrev_b32_e32 v37, 12, v37
	s_set_vgpr_msb 0x44                     ;  msbs: dst=1 src0=0 src1=1 src2=0
	v_pk_mul_f16 v42 /*v298*/, v32, v41 /*v297*/
	s_set_vgpr_msb 4                        ;  msbs: dst=0 src0=0 src1=1 src2=0
	v_lshrrev_b32_e32 v32, v254, v54 /*v310*/
	s_set_vgpr_msb 64                       ;  msbs: dst=1 src0=0 src1=0 src2=0
	v_bfe_i32 v11 /*v267*/, v33, 0, 8
	s_set_vgpr_msb 0                        ;  msbs: dst=0 src0=0 src1=0 src2=0
	v_ashrrev_i16 v36, 8, v36
	s_set_vgpr_msb 0x45                     ;  msbs: dst=1 src0=1 src1=1 src2=0
	v_pk_fma_f16 v10 /*v266*/, v14 /*v270*/, v28 /*v284*/, v44
	v_and_b32_e32 v44 /*v300*/, 0xf0f0f0f, v12 /*v268*/
	s_set_vgpr_msb 64                       ;  msbs: dst=1 src0=0 src1=0 src2=0
	v_lshlrev_b32_e32 v13 /*v269*/, 4, v32
	s_set_vgpr_msb 0                        ;  msbs: dst=0 src0=0 src1=0 src2=0
	v_add_nc_u64_e32 v[32:33], s[10:11], v[166:167]
	s_set_vgpr_msb 0x45                     ;  msbs: dst=1 src0=1 src1=1 src2=0
	v_dual_lshrrev_b32 v14 /*v270*/, v4 /*v260*/, v54 /*v310*/ :: v_dual_lshrrev_b32 v15 /*v271*/, v5 /*v261*/, v54 /*v310*/
	s_set_vgpr_msb 0x44                     ;  msbs: dst=1 src0=0 src1=1 src2=0
	v_cvt_f16_i16_e64 v43 /*v299*/, v36
	v_and_b32_e32 v12 /*v268*/, 16, v13 /*v269*/
	s_set_vgpr_msb 0x41                     ;  msbs: dst=1 src0=1 src1=0 src2=0
	v_and_b32_e32 v13 /*v269*/, 0x1000, v37
	v_cvt_f16_i16_e64 v11 /*v267*/, v11 /*v267*/
	s_set_vgpr_msb 0                        ;  msbs: dst=0 src0=0 src1=0 src2=0
	v_add_nc_u64_e32 v[36:37], v[32:33], v[232:233]
	v_add_nc_u64_e32 v[32:33], v[32:33], v[230:231]
	s_set_vgpr_msb 0x55                     ;  msbs: dst=1 src0=1 src1=1 src2=1
	v_dual_lshlrev_b32 v46 /*v302*/, 20, v14 /*v270*/ :: v_dual_lshlrev_b32 v47 /*v303*/, 28, v15 /*v271*/
	v_or3_b32 v45 /*v301*/, v12 /*v268*/, v44 /*v300*/, v13 /*v269*/
	s_set_vgpr_msb 0x41                     ;  msbs: dst=1 src0=1 src1=0 src2=0
	v_add_nc_u64_e32 v[12:13] /*v[268:269]*/, v[8:9] /*v[264:265]*/, v[190:191]
	s_set_vgpr_msb 0x45                     ;  msbs: dst=1 src0=1 src1=1 src2=0
	v_pack_b32_f16 v43 /*v299*/, v43 /*v299*/, v11 /*v267*/
	s_set_vgpr_msb 64                       ;  msbs: dst=1 src0=0 src1=0 src2=0
	v_add_nc_u64_e32 v[14:15] /*v[270:271]*/, v[36:37], v[188:189]
	v_add_nc_u64_e32 v[16:17] /*v[272:273]*/, v[32:33], v[190:191]
	s_set_vgpr_msb 0x44                     ;  msbs: dst=1 src0=0 src1=1 src2=0
	v_and_b32_e32 v46 /*v302*/, 0x100000, v46 /*v302*/
	v_and_b32_e32 v47 /*v303*/, 0x10000000, v47 /*v303*/
	v_lshlrev_b16 v11 /*v267*/, 8, v45 /*v301*/
	s_set_vgpr_msb 0x41                     ;  msbs: dst=1 src0=1 src1=0 src2=0
	s_clause 0x9
	global_load_b32 v48 /*v304*/, v[12:13] /*v[268:269]*/, off offset:6
	global_load_b32 v49 /*v305*/, v[14:15] /*v[270:271]*/, off offset:6
	;; [unrolled: 1-line block ×3, first 2 shown]
	s_set_vgpr_msb 64                       ;  msbs: dst=1 src0=0 src1=0 src2=0
	global_load_b32 v54 /*v310*/, v[32:33], off offset:2
	global_load_u16 v56 /*v312*/, v[32:33], off
	global_load_b32 v57 /*v313*/, v[36:37], off offset:2
	global_load_u16 v58 /*v314*/, v[36:37], off
	s_set_vgpr_msb 0x41                     ;  msbs: dst=1 src0=1 src1=0 src2=0
	global_load_b32 v59 /*v315*/, v[8:9] /*v[264:265]*/, off offset:2
	s_wait_xcnt 0x3
	s_set_vgpr_msb 21                       ;  msbs: dst=0 src0=1 src1=1 src2=1
	v_pk_mul_f16 v33, v43 /*v299*/, v41 /*v297*/
	s_wait_xcnt 0x1
	v_or3_b32 v36, v44 /*v300*/, v46 /*v302*/, v47 /*v303*/
	v_add_nc_u16 v32, 0xf000, v11 /*v267*/
	s_set_vgpr_msb 0                        ;  msbs: dst=0 src0=0 src1=0 src2=0
	ds_store_b128 v239, v[40:43]
	ds_store_b128 v239, v[44:47] offset:16
	s_set_vgpr_msb 4                        ;  msbs: dst=0 src0=0 src1=1 src2=0
	v_lshrrev_b32_e32 v37, v254, v52 /*v308*/
	s_wait_xcnt 0x0
	s_set_vgpr_msb 64                       ;  msbs: dst=1 src0=0 src1=0 src2=0
	v_pk_fma_f16 v9 /*v265*/, v33, v133, v43
	s_set_vgpr_msb 0                        ;  msbs: dst=0 src0=0 src1=0 src2=0
	v_lshrrev_b32_e32 v36, 16, v36
	v_lshrrev_b16 v32, 8, v32
	s_set_vgpr_msb 0x44                     ;  msbs: dst=1 src0=0 src1=1 src2=0
	v_pk_fma_f16 v13 /*v269*/, v33, v28 /*v284*/, v47
	s_set_vgpr_msb 5                        ;  msbs: dst=0 src0=1 src1=1 src2=0
	v_lshrrev_b32_e32 v40, v3 /*v259*/, v52 /*v308*/
	s_set_vgpr_msb 0x41                     ;  msbs: dst=1 src0=1 src1=0 src2=0
	v_pk_fma_f16 v7 /*v263*/, v29 /*v285*/, v133, v41
	s_set_vgpr_msb 1                        ;  msbs: dst=0 src0=1 src1=0 src2=0
	v_lshlrev_b16 v33, 8, v36
	v_bitop3_b16 v32, v45 /*v301*/, v32, 0x1f00 bitop3:0xec
	v_and_b32_e32 v36, 0x1f00, v36
	s_set_vgpr_msb 5                        ;  msbs: dst=0 src0=1 src1=1 src2=0
	v_ashrrev_i32_e32 v41, v2 /*v258*/, v51 /*v307*/
	s_set_vgpr_msb 0                        ;  msbs: dst=0 src0=0 src1=0 src2=0
	v_dual_lshlrev_b32 v37, 4, v37 :: v_dual_lshlrev_b32 v40, 12, v40
	v_add_nc_u16 v32, 0xf000, v32
	v_add_nc_u16 v36, 0xf000, v36
	s_set_vgpr_msb 0x41                     ;  msbs: dst=1 src0=1 src1=0 src2=0
	v_pk_fma_f16 v8 /*v264*/, v42 /*v298*/, v133, v42
	s_set_vgpr_msb 0                        ;  msbs: dst=0 src0=0 src1=0 src2=0
	v_add_nc_u16 v33, 0xf000, v33
	v_and_b32_e32 v41, 0xf0f0f0f, v41
	v_dual_lshrrev_b32 v42, 8, v32 :: v_dual_bitop2_b32 v37, 16, v37 bitop3:0x40
	v_and_b32_e32 v40, 0x1000, v40
	v_lshrrev_b32_e32 v36, 8, v36
	v_ashrrev_i16 v33, 8, v33
	s_set_vgpr_msb 0x45                     ;  msbs: dst=1 src0=1 src1=1 src2=0
	v_pk_fma_f16 v11 /*v267*/, v29 /*v285*/, v28 /*v284*/, v45
	s_set_vgpr_msb 5                        ;  msbs: dst=0 src0=1 src1=1 src2=0
	v_lshrrev_b32_e32 v44, v5 /*v261*/, v52 /*v308*/
	s_set_vgpr_msb 0                        ;  msbs: dst=0 src0=0 src1=0 src2=0
	v_or3_b32 v37, v37, v41, v40
	v_bfe_i32 v36, v36, 0, 8
	s_set_vgpr_msb 5                        ;  msbs: dst=0 src0=1 src1=1 src2=0
	v_lshrrev_b32_e32 v40, v4 /*v260*/, v52 /*v308*/
	s_set_vgpr_msb 0                        ;  msbs: dst=0 src0=0 src1=0 src2=0
	v_cvt_f16_i16_e32 v33, v33
	s_set_vgpr_msb 0x45                     ;  msbs: dst=1 src0=1 src1=1 src2=0
	v_pk_fma_f16 v12 /*v268*/, v42 /*v298*/, v28 /*v284*/, v46
	s_set_vgpr_msb 0                        ;  msbs: dst=0 src0=0 src1=0 src2=0
	v_lshlrev_b16 v45, 8, v37
	v_cvt_f16_i16_e32 v36, v36
	s_set_vgpr_msb 4                        ;  msbs: dst=0 src0=0 src1=1 src2=0
	v_mul_u32_u24_e32 v43, 0x10001, v55 /*v311*/
	s_set_vgpr_msb 0                        ;  msbs: dst=0 src0=0 src1=0 src2=0
	v_lshlrev_b32_e32 v44, 28, v44
	v_mul_u32_u24_e32 v47, 0x10001, v227
	v_add_nc_u16 v45, 0xf000, v45
	v_pack_b32_f16 v33, v33, v36
	s_set_vgpr_msb 4                        ;  msbs: dst=0 src0=0 src1=1 src2=0
	ds_store_b128 v239, v[6:9] /*v[262:265]*/
	ds_store_b128 v239, v[10:13] /*v[266:269]*/ offset:16
	s_set_vgpr_msb 0                        ;  msbs: dst=0 src0=0 src1=0 src2=0
	v_and_b32_e32 v44, 0x10000000, v44
	v_bfe_i32 v32, v32, 0, 8
	v_lshrrev_b16 v45, 8, v45
	v_pk_mul_f16 v33, v33, v43
	v_bfe_i32 v42, v42, 0, 8
	s_set_vgpr_msb 4                        ;  msbs: dst=0 src0=0 src1=1 src2=0
	v_mul_u32_u24_e32 v133, 0x10001, v25 /*v281*/
	v_cvt_f16_i16_e32 v32, v32
	s_set_vgpr_msb 0                        ;  msbs: dst=0 src0=0 src1=0 src2=0
	v_bitop3_b16 v36, v37, v45, 0x1f00 bitop3:0xec
	s_set_vgpr_msb 64                       ;  msbs: dst=1 src0=0 src1=0 src2=0
	v_add_nc_u64_e32 v[14:15] /*v[270:271]*/, s[10:11], v[170:171]
	s_set_vgpr_msb 0                        ;  msbs: dst=0 src0=0 src1=0 src2=0
	v_cvt_f16_i16_e32 v42, v42
	v_add_nc_u16 v36, 0xf000, v36
	s_delay_alu instid0(VALU_DEP_2) | instskip(SKIP_1) | instid1(VALU_DEP_4)
	v_pack_b32_f16 v32, v32, v42
	s_set_vgpr_msb 0x41                     ;  msbs: dst=1 src0=1 src1=0 src2=0
	v_add_nc_u64_e32 v[16:17] /*v[272:273]*/, v[14:15] /*v[270:271]*/, v[232:233]
	s_set_vgpr_msb 0                        ;  msbs: dst=0 src0=0 src1=0 src2=0
	s_delay_alu instid0(VALU_DEP_2)
	v_pk_mul_f16 v32, v32, v43
	s_set_vgpr_msb 5                        ;  msbs: dst=0 src0=1 src1=1 src2=0
	v_mul_u32_u24_e32 v43, 0x10001, v53 /*v309*/
	s_wait_loadcnt 0x17
	v_ashrrev_i32_e32 v227, v2 /*v258*/, v35 /*v291*/
	s_wait_loadcnt 0x13
	s_set_vgpr_msb 0x44                     ;  msbs: dst=1 src0=0 src1=1 src2=0
	v_mul_u32_u24_e32 v25 /*v281*/, 0x10001, v39 /*v295*/
	s_wait_loadcnt 0x12
	s_set_vgpr_msb 5                        ;  msbs: dst=0 src0=1 src1=1 src2=0
	v_lshrrev_b32_e32 v46, v3 /*v259*/, v40 /*v296*/
	s_set_vgpr_msb 0                        ;  msbs: dst=0 src0=0 src1=0 src2=0
	v_lshlrev_b32_e32 v40, 20, v40
	v_and_b32_e32 v227, 0xf0f0f0f, v227
	s_delay_alu instid0(VALU_DEP_3) | instskip(NEXT) | instid1(VALU_DEP_3)
	v_lshlrev_b32_e32 v46, 12, v46
	v_and_b32_e32 v40, 0x100000, v40
	s_delay_alu instid0(VALU_DEP_2) | instskip(NEXT) | instid1(VALU_DEP_2)
	v_and_b32_e32 v46, 0x1000, v46
	v_or3_b32 v40, v41, v40, v44
	s_set_vgpr_msb 16                       ;  msbs: dst=0 src0=0 src1=0 src2=1
	v_pk_fma_f16 v41, v33, v47, v7 /*v263*/
	s_set_vgpr_msb 0x45                     ;  msbs: dst=1 src0=1 src1=1 src2=0
	v_lshrrev_b32_e32 v7 /*v263*/, v5 /*v261*/, v40 /*v296*/
	s_set_vgpr_msb 4                        ;  msbs: dst=0 src0=0 src1=1 src2=0
	v_lshrrev_b32_e32 v45, v254, v40 /*v296*/
	s_set_vgpr_msb 16                       ;  msbs: dst=0 src0=0 src1=0 src2=1
	v_pk_fma_f16 v44, v32, v133, v10 /*v266*/
	s_delay_alu instid0(VALU_DEP_2)
	v_dual_lshlrev_b32 v45, 4, v45 :: v_dual_lshrrev_b32 v37, 16, v40
	v_pk_fma_f16 v40, v32, v47, v6 /*v262*/
	s_set_vgpr_msb 0x45                     ;  msbs: dst=1 src0=1 src1=1 src2=0
	v_lshrrev_b32_e32 v6 /*v262*/, v4 /*v260*/, v40 /*v296*/
	s_set_vgpr_msb 0                        ;  msbs: dst=0 src0=0 src1=0 src2=0
	v_and_b32_e32 v45, 16, v45
	v_lshlrev_b16 v42, 8, v37
	v_and_b32_e32 v37, 0x1f00, v37
	s_set_vgpr_msb 64                       ;  msbs: dst=1 src0=0 src1=0 src2=0
	s_delay_alu instid0(VALU_DEP_3)
	v_or3_b32 v10 /*v266*/, v45, v227, v46
	s_set_vgpr_msb 0                        ;  msbs: dst=0 src0=0 src1=0 src2=0
	v_add_nc_u16 v42, 0xf000, v42
	v_add_nc_u16 v37, 0xf000, v37
	s_set_vgpr_msb 4                        ;  msbs: dst=0 src0=0 src1=1 src2=0
	v_dual_lshlrev_b32 v45, 20, v6 /*v262*/ :: v_dual_lshlrev_b32 v46, 28, v7 /*v263*/
	s_set_vgpr_msb 0                        ;  msbs: dst=0 src0=0 src1=0 src2=0
	v_ashrrev_i16 v42, 8, v42
	v_lshrrev_b32_e32 v37, 8, v37
	s_delay_alu instid0(VALU_DEP_3) | instskip(NEXT) | instid1(VALU_DEP_3)
	v_and_b32_e32 v46, 0x10000000, v46
	v_cvt_f16_i16_e32 v42, v42
	s_delay_alu instid0(VALU_DEP_3) | instskip(NEXT) | instid1(VALU_DEP_1)
	v_bfe_i32 v37, v37, 0, 8
	v_cvt_f16_i16_e32 v37, v37
	s_wait_loadcnt 0x11
	s_set_vgpr_msb 0x44                     ;  msbs: dst=1 src0=0 src1=1 src2=0
	v_lshrrev_b32_e32 v29 /*v285*/, v254, v23 /*v279*/
	s_wait_loadcnt 0x10
	v_mul_u32_u24_e32 v7 /*v263*/, 0x10001, v24 /*v280*/
	s_set_vgpr_msb 16                       ;  msbs: dst=0 src0=0 src1=0 src2=1
	v_pack_b32_f16 v37, v42, v37
	v_and_b32_e32 v42, 0x100000, v45
	v_pk_fma_f16 v45, v33, v133, v11 /*v267*/
	s_set_vgpr_msb 0x45                     ;  msbs: dst=1 src0=1 src1=1 src2=0
	v_dual_lshlrev_b32 v29 /*v285*/, 4, v29 /*v285*/ :: v_dual_lshrrev_b32 v35 /*v291*/, v3 /*v259*/, v23 /*v279*/
	s_set_vgpr_msb 0                        ;  msbs: dst=0 src0=0 src1=0 src2=0
	v_pk_mul_f16 v33, v37, v43
	v_or3_b32 v37, v227, v42, v46
	v_lshrrev_b32_e32 v32, 8, v36
	v_bfe_i32 v36, v36, 0, 8
	s_set_vgpr_msb 5                        ;  msbs: dst=0 src0=1 src1=1 src2=0
	v_ashrrev_i32_e32 v227, v2 /*v258*/, v36 /*v292*/
	s_set_vgpr_msb 0                        ;  msbs: dst=0 src0=0 src1=0 src2=0
	v_lshrrev_b32_e32 v37, 16, v37
	v_bfe_i32 v32, v32, 0, 8
	v_cvt_f16_i16_e32 v36, v36
	v_and_b32_e32 v227, 0xf0f0f0f, v227
	s_delay_alu instid0(VALU_DEP_3) | instskip(NEXT) | instid1(VALU_DEP_1)
	v_cvt_f16_i16_e32 v32, v32
	v_pack_b32_f16 v32, v36, v32
	s_set_vgpr_msb 4                        ;  msbs: dst=0 src0=0 src1=1 src2=0
	v_lshlrev_b16 v36, 8, v10 /*v266*/
	s_set_vgpr_msb 16                       ;  msbs: dst=0 src0=0 src1=0 src2=1
	s_delay_alu instid0(VALU_DEP_2) | instskip(NEXT) | instid1(VALU_DEP_2)
	v_pk_mul_f16 v32, v32, v43
	v_add_nc_u16 v36, 0xf000, v36
	v_pk_fma_f16 v43, v33, v47, v9 /*v265*/
	s_delay_alu instid0(VALU_DEP_3)
	v_pk_fma_f16 v42, v32, v47, v8 /*v264*/
	s_set_vgpr_msb 0x45                     ;  msbs: dst=1 src0=1 src1=1 src2=0
	v_lshrrev_b32_e32 v8 /*v264*/, v4 /*v260*/, v38 /*v294*/
	s_set_vgpr_msb 16                       ;  msbs: dst=0 src0=0 src1=0 src2=1
	v_pk_fma_f16 v46, v32, v133, v12 /*v268*/
	v_and_b32_e32 v32, 0xffff, v38
	v_lshrrev_b16 v36, 8, v36
	v_pk_fma_f16 v47, v33, v133, v13 /*v269*/
	s_set_vgpr_msb 0x44                     ;  msbs: dst=1 src0=0 src1=1 src2=0
	v_lshlrev_b32_e32 v8 /*v264*/, 20, v8 /*v264*/
	s_set_vgpr_msb 0                        ;  msbs: dst=0 src0=0 src1=0 src2=0
	v_and_b32_e32 v33, 0x1f00, v37
	v_mul_u32_u24_e32 v38, 0x10001, v32
	v_lshlrev_b16 v32, 8, v37
	s_set_vgpr_msb 4                        ;  msbs: dst=0 src0=0 src1=1 src2=0
	v_lshrrev_b32_e32 v37, v254, v38 /*v294*/
	s_set_vgpr_msb 5                        ;  msbs: dst=0 src0=1 src1=1 src2=0
	v_lshrrev_b32_e32 v133, v3 /*v259*/, v38 /*v294*/
	s_set_vgpr_msb 1                        ;  msbs: dst=0 src0=1 src1=0 src2=0
	v_bitop3_b16 v36, v10 /*v266*/, v36, 0x1f00 bitop3:0xec
	v_add_nc_u16 v33, 0xf000, v33
	v_add_nc_u16 v32, 0xf000, v32
	v_lshlrev_b32_e32 v37, 4, v37
	v_lshlrev_b32_e32 v133, 12, v133
	v_add_nc_u16 v36, 0xf000, v36
	s_wait_loadcnt 0xf
	s_set_vgpr_msb 0x45                     ;  msbs: dst=1 src0=1 src1=1 src2=0
	v_ashrrev_i32_e32 v18 /*v274*/, v2 /*v258*/, v18 /*v274*/
	s_set_vgpr_msb 0                        ;  msbs: dst=0 src0=0 src1=0 src2=0
	v_lshrrev_b32_e32 v33, 8, v33
	v_and_b32_e32 v37, 16, v37
	v_and_b32_e32 v133, 0x1000, v133
	s_set_vgpr_msb 64                       ;  msbs: dst=1 src0=0 src1=0 src2=0
	v_lshrrev_b32_e32 v6 /*v262*/, 8, v36
	s_set_vgpr_msb 0                        ;  msbs: dst=0 src0=0 src1=0 src2=0
	v_bfe_i32 v36, v36, 0, 8
	v_ashrrev_i16 v32, 8, v32
	v_bfe_i32 v33, v33, 0, 8
	v_or3_b32 v37, v37, v227, v133
	s_set_vgpr_msb 5                        ;  msbs: dst=0 src0=1 src1=1 src2=0
	v_lshrrev_b32_e32 v133, v5 /*v261*/, v38 /*v294*/
	s_set_vgpr_msb 0x41                     ;  msbs: dst=1 src0=1 src1=0 src2=0
	v_bfe_i32 v6 /*v262*/, v6 /*v262*/, 0, 8
	s_set_vgpr_msb 0                        ;  msbs: dst=0 src0=0 src1=0 src2=0
	v_cvt_f16_i16_e32 v36, v36
	s_set_vgpr_msb 0x44                     ;  msbs: dst=1 src0=0 src1=1 src2=0
	v_and_b32_e32 v8 /*v264*/, 0x100000, v8 /*v264*/
	s_set_vgpr_msb 64                       ;  msbs: dst=1 src0=0 src1=0 src2=0
	v_lshlrev_b16 v9 /*v265*/, 8, v37
	s_set_vgpr_msb 0                        ;  msbs: dst=0 src0=0 src1=0 src2=0
	v_lshlrev_b32_e32 v133, 28, v133
	s_set_vgpr_msb 0x41                     ;  msbs: dst=1 src0=1 src1=0 src2=0
	v_cvt_f16_i16_e64 v6 /*v262*/, v6 /*v262*/
	s_set_vgpr_msb 0                        ;  msbs: dst=0 src0=0 src1=0 src2=0
	v_cvt_f16_i16_e32 v32, v32
	v_cvt_f16_i16_e32 v33, v33
	s_set_vgpr_msb 0x44                     ;  msbs: dst=1 src0=0 src1=1 src2=0
	v_add_nc_u16 v9 /*v265*/, 0xf000, v9 /*v265*/
	s_set_vgpr_msb 0                        ;  msbs: dst=0 src0=0 src1=0 src2=0
	v_and_b32_e32 v133, 0x10000000, v133
	s_set_vgpr_msb 4                        ;  msbs: dst=0 src0=0 src1=1 src2=0
	v_pack_b32_f16 v36, v36, v6 /*v262*/
	s_set_vgpr_msb 0                        ;  msbs: dst=0 src0=0 src1=0 src2=0
	v_pack_b32_f16 v32, v32, v33
	s_set_vgpr_msb 0x44                     ;  msbs: dst=1 src0=0 src1=1 src2=0
	v_lshrrev_b16 v6 /*v262*/, 8, v9 /*v265*/
	s_set_vgpr_msb 4                        ;  msbs: dst=0 src0=0 src1=1 src2=0
	v_or3_b32 v133, v227, v8 /*v264*/, v133
	v_pk_mul_f16 v36, v36, v7 /*v263*/
	s_delay_alu instid0(VALU_DEP_3) | instskip(SKIP_1) | instid1(VALU_DEP_3)
	v_bitop3_b16 v33, v37, v6 /*v262*/, 0x1f00 bitop3:0xec
	s_set_vgpr_msb 0                        ;  msbs: dst=0 src0=0 src1=0 src2=0
	v_lshrrev_b32_e32 v37, 16, v133
	s_set_vgpr_msb 4                        ;  msbs: dst=0 src0=0 src1=1 src2=0
	v_pk_mul_f16 v133, v32, v7 /*v263*/
	s_set_vgpr_msb 64                       ;  msbs: dst=1 src0=0 src1=0 src2=0
	v_pk_fma_f16 v6 /*v262*/, v36, v38, v40
	v_pk_fma_f16 v10 /*v266*/, v36, v34, v44
	s_set_vgpr_msb 0                        ;  msbs: dst=0 src0=0 src1=0 src2=0
	v_add_nc_u16 v227, 0xf000, v33
	v_add_nc_u64_e32 v[32:33], s[10:11], v[168:169]
	s_set_vgpr_msb 64                       ;  msbs: dst=1 src0=0 src1=0 src2=0
	v_lshlrev_b16 v8 /*v264*/, 8, v37
	s_set_vgpr_msb 0                        ;  msbs: dst=0 src0=0 src1=0 src2=0
	v_and_b32_e32 v37, 0x1f00, v37
	s_set_vgpr_msb 64                       ;  msbs: dst=1 src0=0 src1=0 src2=0
	v_pk_fma_f16 v7 /*v263*/, v133, v38, v41
	s_set_vgpr_msb 0x44                     ;  msbs: dst=1 src0=0 src1=1 src2=0
	v_add_nc_u16 v11 /*v267*/, 0xf000, v8 /*v264*/
	s_set_vgpr_msb 64                       ;  msbs: dst=1 src0=0 src1=0 src2=0
	v_add_nc_u16 v24 /*v280*/, 0xf000, v37
	s_set_vgpr_msb 0                        ;  msbs: dst=0 src0=0 src1=0 src2=0
	v_add_nc_u64_e32 v[36:37], v[32:33], v[232:233]
	v_add_nc_u64_e32 v[32:33], v[32:33], v[230:231]
	s_set_vgpr_msb 64                       ;  msbs: dst=1 src0=0 src1=0 src2=0
	v_lshrrev_b32_e32 v8 /*v264*/, 8, v227
	s_set_vgpr_msb 0                        ;  msbs: dst=0 src0=0 src1=0 src2=0
	v_bfe_i32 v227, v227, 0, 8
	s_set_vgpr_msb 0x44                     ;  msbs: dst=1 src0=0 src1=1 src2=0
	v_ashrrev_i16 v11 /*v267*/, 8, v11 /*v267*/
	s_set_vgpr_msb 0x41                     ;  msbs: dst=1 src0=1 src1=0 src2=0
	v_bfe_i32 v28 /*v284*/, v8 /*v264*/, 0, 8
	s_set_vgpr_msb 64                       ;  msbs: dst=1 src0=0 src1=0 src2=0
	v_add_nc_u64_e32 v[8:9] /*v[264:265]*/, v[36:37], v[188:189]
	v_add_nc_u64_e32 v[12:13] /*v[268:269]*/, v[32:33], v[190:191]
	s_set_vgpr_msb 0x41                     ;  msbs: dst=1 src0=1 src1=0 src2=0
	s_clause 0x6
	global_load_b32 v36 /*v292*/, v[8:9] /*v[264:265]*/, off offset:6
	global_load_b32 v38 /*v294*/, v[12:13] /*v[268:269]*/, off offset:6
	global_load_u16 v39 /*v295*/, v[16:17] /*v[272:273]*/, off
	s_set_vgpr_msb 64                       ;  msbs: dst=1 src0=0 src1=0 src2=0
	global_load_b32 v40 /*v296*/, v[32:33], off offset:2
	global_load_u16 v41 /*v297*/, v[32:33], off
	global_load_b32 v42 /*v298*/, v[36:37], off offset:2
	s_set_vgpr_msb 0                        ;  msbs: dst=0 src0=0 src1=0 src2=0
	v_cvt_f16_i16_e64 v227, v227
	s_set_vgpr_msb 0x41                     ;  msbs: dst=1 src0=1 src1=0 src2=0
	v_cvt_f16_i16_e64 v28 /*v284*/, v28 /*v284*/
	s_wait_xcnt 0x5
	s_set_vgpr_msb 0x44                     ;  msbs: dst=1 src0=0 src1=1 src2=0
	v_and_b32_e32 v8 /*v264*/, 16, v29 /*v285*/
	s_wait_xcnt 0x1
	s_set_vgpr_msb 4                        ;  msbs: dst=0 src0=0 src1=1 src2=0
	v_lshlrev_b32_e32 v32, 12, v35 /*v291*/
	s_set_vgpr_msb 0x45                     ;  msbs: dst=1 src0=1 src1=1 src2=0
	v_and_b32_e32 v9 /*v265*/, 0xf0f0f0f, v18 /*v274*/
	v_dual_lshrrev_b32 v12 /*v268*/, v4 /*v260*/, v23 /*v279*/ :: v_dual_lshrrev_b32 v13 /*v269*/, v5 /*v261*/, v23 /*v279*/
	s_set_vgpr_msb 4                        ;  msbs: dst=0 src0=0 src1=1 src2=0
	v_pack_b32_f16 v33, v227, v28 /*v284*/
	v_lshrrev_b32_e32 v227, 8, v24 /*v280*/
	s_set_vgpr_msb 0                        ;  msbs: dst=0 src0=0 src1=0 src2=0
	v_and_b32_e32 v32, 0x1000, v32
	s_set_vgpr_msb 4                        ;  msbs: dst=0 src0=0 src1=1 src2=0
	v_pk_mul_f16 v33, v33, v25 /*v281*/
	v_bfe_i32 v227, v227, 0, 8
	s_set_vgpr_msb 5                        ;  msbs: dst=0 src0=1 src1=1 src2=0
	v_or3_b32 v32, v8 /*v264*/, v9 /*v265*/, v32
	s_set_vgpr_msb 0x41                     ;  msbs: dst=1 src0=1 src1=0 src2=0
	v_cvt_f16_i16_e64 v8 /*v264*/, v11 /*v267*/
	s_set_vgpr_msb 0x44                     ;  msbs: dst=1 src0=0 src1=1 src2=0
	v_dual_lshlrev_b32 v11 /*v267*/, 20, v12 /*v268*/ :: v_dual_lshlrev_b32 v12 /*v268*/, 28, v13 /*v269*/
	s_set_vgpr_msb 0                        ;  msbs: dst=0 src0=0 src1=0 src2=0
	v_cvt_f16_i16_e64 v227, v227
	s_set_vgpr_msb 64                       ;  msbs: dst=1 src0=0 src1=0 src2=0
	v_lshlrev_b16 v13 /*v269*/, 8, v32
	s_set_vgpr_msb 0x44                     ;  msbs: dst=1 src0=0 src1=1 src2=0
	v_and_b32_e32 v18 /*v274*/, 0x100000, v11 /*v267*/
	v_and_b32_e32 v12 /*v268*/, 0x10000000, v12 /*v268*/
	s_set_vgpr_msb 1                        ;  msbs: dst=0 src0=1 src1=0 src2=0
	v_pack_b32_f16 v227, v8 /*v264*/, v227
	s_set_vgpr_msb 0x44                     ;  msbs: dst=1 src0=0 src1=1 src2=0
	v_add_nc_u16 v13 /*v269*/, 0xf000, v13 /*v269*/
	s_set_vgpr_msb 64                       ;  msbs: dst=1 src0=0 src1=0 src2=0
	v_pk_fma_f16 v11 /*v267*/, v133, v34, v45
	v_pk_fma_f16 v8 /*v264*/, v33, v38, v42
	s_set_vgpr_msb 4                        ;  msbs: dst=0 src0=0 src1=1 src2=0
	v_pk_mul_f16 v133, v227, v25 /*v281*/
	s_set_vgpr_msb 21                       ;  msbs: dst=0 src0=1 src1=1 src2=1
	v_or3_b32 v227, v9 /*v265*/, v18 /*v274*/, v12 /*v268*/
	s_set_vgpr_msb 0x44                     ;  msbs: dst=1 src0=0 src1=1 src2=0
	v_lshrrev_b16 v18 /*v274*/, 8, v13 /*v269*/
	s_set_vgpr_msb 64                       ;  msbs: dst=1 src0=0 src1=0 src2=0
	v_pk_fma_f16 v12 /*v268*/, v33, v34, v46
	v_pk_fma_f16 v9 /*v265*/, v133, v38, v43
	;; [unrolled: 1-line block ×3, first 2 shown]
	s_set_vgpr_msb 4                        ;  msbs: dst=0 src0=0 src1=1 src2=0
	v_bitop3_b16 v32, v32, v18 /*v274*/, 0x1f00 bitop3:0xec
	s_set_vgpr_msb 0                        ;  msbs: dst=0 src0=0 src1=0 src2=0
	ds_store_b128 v239, v[40:43]
	ds_store_b128 v239, v[44:47] offset:16
	s_set_vgpr_msb 4                        ;  msbs: dst=0 src0=0 src1=1 src2=0
	ds_store_b128 v239, v[6:9] /*v[262:265]*/
	ds_store_b128 v239, v[10:13] /*v[266:269]*/ offset:16
	s_wait_loadcnt 0x12
	v_lshrrev_b32_e32 v38, v254, v27 /*v283*/
	s_set_vgpr_msb 5                        ;  msbs: dst=0 src0=1 src1=1 src2=0
	v_lshrrev_b32_e32 v40, v3 /*v259*/, v27 /*v283*/
	s_set_vgpr_msb 0                        ;  msbs: dst=0 src0=0 src1=0 src2=0
	v_lshrrev_b32_e32 v33, 16, v227
	v_add_nc_u16 v32, 0xf000, v32
	s_set_vgpr_msb 5                        ;  msbs: dst=0 src0=1 src1=1 src2=0
	v_dual_ashrrev_i32 v41, v2 /*v258*/, v21 /*v277*/ :: v_dual_lshrrev_b32 v44, v4 /*v260*/, v27 /*v283*/
	s_set_vgpr_msb 0                        ;  msbs: dst=0 src0=0 src1=0 src2=0
	v_dual_lshlrev_b32 v38, 4, v38 :: v_dual_lshlrev_b32 v40, 12, v40
	v_lshlrev_b16 v34, 8, v33
	v_and_b32_e32 v33, 0x1f00, v33
	v_lshrrev_b32_e32 v42, 8, v32
	v_and_b32_e32 v41, 0xf0f0f0f, v41
	v_and_b32_e32 v38, 16, v38
	;; [unrolled: 1-line block ×3, first 2 shown]
	v_add_nc_u16 v33, 0xf000, v33
	v_bfe_i32 v42, v42, 0, 8
	v_add_nc_u16 v34, 0xf000, v34
	v_bfe_i32 v32, v32, 0, 8
	v_or3_b32 v38, v38, v41, v40
	v_lshrrev_b32_e32 v33, 8, v33
	v_cvt_f16_i16_e32 v40, v42
	v_ashrrev_i16 v34, 8, v34
	s_set_vgpr_msb 1                        ;  msbs: dst=0 src0=1 src1=0 src2=0
	s_clause 0x2
	global_load_b32 v133, v[16:17] /*v[272:273]*/, off offset:2
	s_set_vgpr_msb 0                        ;  msbs: dst=0 src0=0 src1=0 src2=0
	global_load_u16 v227, v[36:37], off
	v_lshlrev_b16 v42, 8, v38
	s_wait_xcnt 0x0
	v_lshlrev_b32_e32 v37, 20, v44
	v_bfe_i32 v33, v33, 0, 8
	v_cvt_f16_i16_e32 v32, v32
	v_cvt_f16_i16_e32 v34, v34
	v_add_nc_u16 v36, 0xf000, v42
	s_set_vgpr_msb 4                        ;  msbs: dst=0 src0=0 src1=1 src2=0
	v_mul_u32_u24_e32 v43, 0x10001, v37 /*v293*/
	v_cvt_f16_i16_e32 v33, v33
	s_set_vgpr_msb 5                        ;  msbs: dst=0 src0=1 src1=1 src2=0
	v_lshrrev_b32_e32 v45, v5 /*v261*/, v27 /*v283*/
	s_set_vgpr_msb 0                        ;  msbs: dst=0 src0=0 src1=0 src2=0
	v_pack_b32_f16 v32, v32, v40
	v_lshrrev_b16 v36, 8, v36
	v_and_b32_e32 v37, 0x100000, v37
	v_pack_b32_f16 v33, v34, v33
	s_set_vgpr_msb 4                        ;  msbs: dst=0 src0=0 src1=1 src2=0
	v_mul_u32_u24_e32 v47, 0x10001, v19 /*v275*/
	s_set_vgpr_msb 0                        ;  msbs: dst=0 src0=0 src1=0 src2=0
	v_pk_mul_f16 v32, v32, v43
	v_bitop3_b16 v36, v38, v36, 0x1f00 bitop3:0xec
	v_pk_mul_f16 v33, v33, v43
	s_wait_loadcnt 0x11
	s_set_vgpr_msb 5                        ;  msbs: dst=0 src0=1 src1=1 src2=0
	v_lshrrev_b32_e32 v43, v3 /*v259*/, v33 /*v289*/
	s_set_vgpr_msb 16                       ;  msbs: dst=0 src0=0 src1=0 src2=1
	v_pk_fma_f16 v40, v32, v47, v6 /*v262*/
	v_add_nc_u16 v36, 0xf000, v36
	s_delay_alu instid0(VALU_DEP_3) | instskip(NEXT) | instid1(VALU_DEP_1)
	v_dual_lshlrev_b32 v42, 28, v45 :: v_dual_lshlrev_b32 v43, 12, v43
	v_and_b32_e32 v42, 0x10000000, v42
	s_delay_alu instid0(VALU_DEP_2) | instskip(SKIP_1) | instid1(VALU_DEP_2)
	v_and_b32_e32 v43, 0x1000, v43
	s_set_vgpr_msb 0                        ;  msbs: dst=0 src0=0 src1=0 src2=0
	v_or3_b32 v34, v41, v37, v42
	s_set_vgpr_msb 4                        ;  msbs: dst=0 src0=0 src1=1 src2=0
	v_mul_u32_u24_e32 v37, 0x10001, v30 /*v286*/
	v_lshrrev_b32_e32 v42, v254, v33 /*v289*/
	s_set_vgpr_msb 16                       ;  msbs: dst=0 src0=0 src1=0 src2=1
	v_pk_fma_f16 v41, v33, v47, v7 /*v263*/
	s_set_vgpr_msb 0x45                     ;  msbs: dst=1 src0=1 src1=1 src2=0
	v_lshrrev_b32_e32 v7 /*v263*/, v4 /*v260*/, v33 /*v289*/
	s_set_vgpr_msb 16                       ;  msbs: dst=0 src0=0 src1=0 src2=1
	v_lshrrev_b32_e32 v34, 16, v34
	v_pk_fma_f16 v44, v32, v37, v10 /*v266*/
	v_lshrrev_b32_e32 v32, 8, v36
	v_bfe_i32 v36, v36, 0, 8
	v_pk_fma_f16 v45, v33, v37, v11 /*v267*/
	v_lshlrev_b16 v38, 8, v34
	v_and_b32_e32 v34, 0x1f00, v34
	v_bfe_i32 v32, v32, 0, 8
	v_cvt_f16_i16_e32 v36, v36
	v_lshlrev_b32_e32 v42, 4, v42
	v_add_nc_u16 v33, 0xf000, v38
	v_add_nc_u16 v34, 0xf000, v34
	v_cvt_f16_i16_e32 v32, v32
	s_set_vgpr_msb 0x45                     ;  msbs: dst=1 src0=1 src1=1 src2=0
	v_lshrrev_b32_e32 v10 /*v266*/, v5 /*v261*/, v33 /*v289*/
	s_set_vgpr_msb 0                        ;  msbs: dst=0 src0=0 src1=0 src2=0
	v_and_b32_e32 v42, 16, v42
	v_ashrrev_i16 v46, 8, v33
	v_lshrrev_b32_e32 v34, 8, v34
	v_pack_b32_f16 v36, v36, v32
	s_set_vgpr_msb 5                        ;  msbs: dst=0 src0=1 src1=1 src2=0
	v_ashrrev_i32_e32 v32, v2 /*v258*/, v31 /*v287*/
	s_wait_loadcnt 0x10
	v_mul_u32_u24_e32 v38, 0x10001, v34 /*v290*/
	s_set_vgpr_msb 0                        ;  msbs: dst=0 src0=0 src1=0 src2=0
	v_cvt_f16_i16_e32 v46, v46
	v_bfe_i32 v34, v34, 0, 8
	s_set_vgpr_msb 64                       ;  msbs: dst=1 src0=0 src1=0 src2=0
	v_and_b32_e32 v6 /*v262*/, 0xf0f0f0f, v32
	s_set_vgpr_msb 1                        ;  msbs: dst=0 src0=1 src1=0 src2=0
	v_add_nc_u64_e32 v[32:33], v[16:17] /*v[272:273]*/, v[188:189]
	s_set_vgpr_msb 0                        ;  msbs: dst=0 src0=0 src1=0 src2=0
	v_cvt_f16_i16_e32 v34, v34
	s_set_vgpr_msb 0x44                     ;  msbs: dst=1 src0=0 src1=1 src2=0
	v_or3_b32 v11 /*v267*/, v42, v6 /*v262*/, v43
	s_set_vgpr_msb 4                        ;  msbs: dst=0 src0=0 src1=1 src2=0
	v_dual_lshlrev_b32 v42, 20, v7 /*v263*/ :: v_dual_lshlrev_b32 v43, 28, v10 /*v266*/
	s_set_vgpr_msb 64                       ;  msbs: dst=1 src0=0 src1=0 src2=0
	global_load_b32 v27 /*v283*/, v[32:33], off offset:6
	s_wait_xcnt 0x0
	s_set_vgpr_msb 0                        ;  msbs: dst=0 src0=0 src1=0 src2=0
	v_pack_b32_f16 v32, v46, v34
	v_pk_mul_f16 v33, v36, v38
	v_and_b32_e32 v34, 0x100000, v42
	s_set_vgpr_msb 4                        ;  msbs: dst=0 src0=0 src1=1 src2=0
	v_lshlrev_b16 v36, 8, v11 /*v267*/
	s_set_vgpr_msb 16                       ;  msbs: dst=0 src0=0 src1=0 src2=1
	v_and_b32_e32 v43, 0x10000000, v43
	v_pk_mul_f16 v32, v32, v38
	v_pk_fma_f16 v42, v33, v47, v8 /*v264*/
	v_pk_fma_f16 v46, v33, v37, v12 /*v268*/
	v_add_nc_u16 v33, 0xf000, v36
	s_set_vgpr_msb 1                        ;  msbs: dst=0 src0=1 src1=0 src2=0
	v_or3_b32 v34, v6 /*v262*/, v34, v43
	s_wait_loadcnt 0x9
	s_set_vgpr_msb 4                        ;  msbs: dst=0 src0=0 src1=1 src2=0
	v_lshrrev_b32_e32 v36, v254, v59 /*v315*/
	s_set_vgpr_msb 16                       ;  msbs: dst=0 src0=0 src1=0 src2=1
	v_pk_fma_f16 v43, v32, v47, v9 /*v265*/
	v_pk_fma_f16 v47, v32, v37, v13 /*v269*/
	v_and_b32_e32 v32, 0xffff, v39
	v_lshrrev_b16 v33, 8, v33
	v_dual_lshlrev_b32 v36, 4, v36 :: v_dual_lshrrev_b32 v34, 16, v34
	s_set_vgpr_msb 1                        ;  msbs: dst=0 src0=1 src1=0 src2=0
	v_add_nc_u64_e32 v[38:39], v[14:15] /*v[270:271]*/, v[230:231]
	s_set_vgpr_msb 64                       ;  msbs: dst=1 src0=0 src1=0 src2=0
	v_add_nc_u64_e32 v[6:7] /*v[262:263]*/, s[10:11], v[176:177]
	v_mul_u32_u24_e32 v10 /*v266*/, 0x10001, v32
	s_set_vgpr_msb 1                        ;  msbs: dst=0 src0=1 src1=0 src2=0
	v_bitop3_b16 v32, v11 /*v267*/, v33, 0x1f00 bitop3:0xec
	v_and_b32_e32 v36, 16, v36
	v_lshlrev_b16 v33, 8, v34
	s_set_vgpr_msb 0x45                     ;  msbs: dst=1 src0=1 src1=1 src2=0
	v_dual_ashrrev_i32 v12 /*v268*/, v2 /*v258*/, v48 /*v304*/ :: v_dual_lshrrev_b32 v13 /*v269*/, v3 /*v259*/, v59 /*v315*/
	s_set_vgpr_msb 0                        ;  msbs: dst=0 src0=0 src1=0 src2=0
	v_add_nc_u16 v37, 0xf000, v32
	s_set_vgpr_msb 0x41                     ;  msbs: dst=1 src0=1 src1=0 src2=0
	v_add_nc_u64_e32 v[8:9] /*v[264:265]*/, v[6:7] /*v[262:263]*/, v[232:233]
	v_add_nc_u16 v11 /*v267*/, 0xf000, v33
	s_set_vgpr_msb 0                        ;  msbs: dst=0 src0=0 src1=0 src2=0
	v_add_nc_u64_e32 v[32:33], v[38:39], v[190:191]
	s_set_vgpr_msb 0x44                     ;  msbs: dst=1 src0=0 src1=1 src2=0
	v_lshlrev_b32_e32 v13 /*v269*/, 12, v13 /*v269*/
	s_set_vgpr_msb 0                        ;  msbs: dst=0 src0=0 src1=0 src2=0
	ds_store_b128 v239, v[40:43]
	ds_store_b128 v239, v[44:47] offset:16
	s_set_vgpr_msb 0x44                     ;  msbs: dst=1 src0=0 src1=1 src2=0
	v_and_b32_e32 v12 /*v268*/, 0xf0f0f0f, v12 /*v268*/
	s_clause 0x4
	global_load_b32 v28 /*v284*/, v[32:33], off offset:6
	s_set_vgpr_msb 0x41                     ;  msbs: dst=1 src0=1 src1=0 src2=0
	global_load_u16 v29 /*v285*/, v[8:9] /*v[264:265]*/, off
	s_set_vgpr_msb 64                       ;  msbs: dst=1 src0=0 src1=0 src2=0
	global_load_b32 v30 /*v286*/, v[38:39], off offset:2
	s_wait_xcnt 0x2
	s_set_vgpr_msb 4                        ;  msbs: dst=0 src0=0 src1=1 src2=0
	v_and_b32_e32 v32, 0x1000, v13 /*v269*/
	s_set_vgpr_msb 0                        ;  msbs: dst=0 src0=0 src1=0 src2=0
	v_and_b32_e32 v34, 0x1f00, v34
	s_set_vgpr_msb 0x44                     ;  msbs: dst=1 src0=0 src1=1 src2=0
	v_ashrrev_i16 v11 /*v267*/, 8, v11 /*v267*/
	s_set_vgpr_msb 0                        ;  msbs: dst=0 src0=0 src1=0 src2=0
	v_bfe_i32 v33, v37, 0, 8
	s_set_vgpr_msb 0x41                     ;  msbs: dst=1 src0=1 src1=0 src2=0
	v_add_nc_u64_e32 v[6:7] /*v[262:263]*/, v[6:7] /*v[262:263]*/, v[230:231]
	s_set_vgpr_msb 4                        ;  msbs: dst=0 src0=0 src1=1 src2=0
	v_or3_b32 v32, v36, v12 /*v268*/, v32
	s_set_vgpr_msb 0                        ;  msbs: dst=0 src0=0 src1=0 src2=0
	v_add_nc_u16 v34, 0xf000, v34
	s_set_vgpr_msb 0x41                     ;  msbs: dst=1 src0=1 src1=0 src2=0
	v_cvt_f16_i16_e64 v11 /*v267*/, v11 /*v267*/
	s_set_vgpr_msb 5                        ;  msbs: dst=0 src0=1 src1=1 src2=0
	v_lshrrev_b32_e32 v36, v4 /*v260*/, v59 /*v315*/
	s_set_vgpr_msb 0                        ;  msbs: dst=0 src0=0 src1=0 src2=0
	v_cvt_f16_i16_e32 v33, v33
	s_set_vgpr_msb 64                       ;  msbs: dst=1 src0=0 src1=0 src2=0
	v_lshlrev_b16 v15 /*v271*/, 8, v32
	s_set_vgpr_msb 0                        ;  msbs: dst=0 src0=0 src1=0 src2=0
	v_dual_lshrrev_b32 v34, 8, v34 :: v_dual_lshlrev_b32 v36, 20, v36
	s_set_vgpr_msb 0x44                     ;  msbs: dst=1 src0=0 src1=1 src2=0
	s_delay_alu instid0(VALU_DEP_2) | instskip(SKIP_1) | instid1(VALU_DEP_2)
	v_add_nc_u16 v15 /*v271*/, 0xf000, v15 /*v271*/
	s_set_vgpr_msb 0                        ;  msbs: dst=0 src0=0 src1=0 src2=0
	v_bfe_i32 v34, v34, 0, 8
	v_and_b32_e32 v36, 0x100000, v36
	s_set_vgpr_msb 0x44                     ;  msbs: dst=1 src0=0 src1=1 src2=0
	v_lshrrev_b16 v15 /*v271*/, 8, v15 /*v271*/
	s_set_vgpr_msb 4                        ;  msbs: dst=0 src0=0 src1=1 src2=0
	v_cvt_f16_i16_e32 v34, v34
	s_delay_alu instid0(VALU_DEP_2) | instskip(SKIP_1) | instid1(VALU_DEP_2)
	v_bitop3_b16 v32, v32, v15 /*v271*/, 0x1f00 bitop3:0xec
	s_set_vgpr_msb 1                        ;  msbs: dst=0 src0=1 src1=0 src2=0
	v_pack_b32_f16 v34, v11 /*v267*/, v34
	s_set_vgpr_msb 64                       ;  msbs: dst=1 src0=0 src1=0 src2=0
	v_mul_u32_u24_e32 v11 /*v267*/, 0x10001, v35
	s_set_vgpr_msb 0x45                     ;  msbs: dst=1 src0=1 src1=1 src2=0
	v_lshrrev_b32_e32 v15 /*v271*/, v3 /*v259*/, v57 /*v313*/
	s_set_vgpr_msb 0                        ;  msbs: dst=0 src0=0 src1=0 src2=0
	v_add_nc_u16 v35, 0xf000, v32
	s_set_vgpr_msb 64                       ;  msbs: dst=1 src0=0 src1=0 src2=0
	v_lshrrev_b32_e32 v14 /*v270*/, 8, v37
	s_set_vgpr_msb 4                        ;  msbs: dst=0 src0=0 src1=1 src2=0
	v_mul_u32_u24_e32 v37, 0x10001, v26 /*v282*/
	s_set_vgpr_msb 0x45                     ;  msbs: dst=1 src0=1 src1=1 src2=0
	s_delay_alu instid0(VALU_DEP_2) | instskip(SKIP_1) | instid1(VALU_DEP_2)
	v_bfe_i32 v13 /*v269*/, v14 /*v270*/, 0, 8
	v_lshrrev_b32_e32 v14 /*v270*/, v5 /*v261*/, v59 /*v315*/
	v_cvt_f16_i16_e64 v13 /*v269*/, v13 /*v269*/
	s_delay_alu instid0(VALU_DEP_2) | instskip(SKIP_1) | instid1(VALU_DEP_2)
	v_lshlrev_b32_e32 v14 /*v270*/, 28, v14 /*v270*/
	s_set_vgpr_msb 4                        ;  msbs: dst=0 src0=0 src1=1 src2=0
	v_pack_b32_f16 v33, v33, v13 /*v269*/
	s_set_vgpr_msb 0x44                     ;  msbs: dst=1 src0=0 src1=1 src2=0
	s_delay_alu instid0(VALU_DEP_2)
	v_and_b32_e32 v14 /*v270*/, 0x10000000, v14 /*v270*/
	v_mul_u32_u24_e32 v13 /*v269*/, 0x10001, v32 /*v288*/
	s_set_vgpr_msb 0                        ;  msbs: dst=0 src0=0 src1=0 src2=0
	v_pk_mul_f16 v33, v33, v37
	s_set_vgpr_msb 17                       ;  msbs: dst=0 src0=1 src1=0 src2=1
	v_or3_b32 v36, v12 /*v268*/, v36, v14 /*v270*/
	s_set_vgpr_msb 0                        ;  msbs: dst=0 src0=0 src1=0 src2=0
	v_pk_mul_f16 v37, v34, v37
	s_set_vgpr_msb 64                       ;  msbs: dst=1 src0=0 src1=0 src2=0
	v_lshrrev_b32_e32 v12 /*v268*/, 8, v35
	s_set_vgpr_msb 0x44                     ;  msbs: dst=1 src0=0 src1=1 src2=0
	v_lshrrev_b32_e32 v14 /*v270*/, v254, v57 /*v313*/
	s_set_vgpr_msb 4                        ;  msbs: dst=0 src0=0 src1=1 src2=0
	v_pk_fma_f16 v32, v33, v10 /*v266*/, v40
	s_set_vgpr_msb 0                        ;  msbs: dst=0 src0=0 src1=0 src2=0
	v_lshrrev_b32_e32 v36, 16, v36
	s_set_vgpr_msb 0x41                     ;  msbs: dst=1 src0=1 src1=0 src2=0
	v_bfe_i32 v12 /*v268*/, v12 /*v268*/, 0, 8
	s_set_vgpr_msb 0                        ;  msbs: dst=0 src0=0 src1=0 src2=0
	s_delay_alu instid0(VALU_DEP_2)
	v_lshlrev_b16 v34, 8, v36
	v_and_b32_e32 v40, 0x1f00, v36
	s_set_vgpr_msb 4                        ;  msbs: dst=0 src0=0 src1=1 src2=0
	v_pk_fma_f16 v36, v33, v11 /*v267*/, v44
	v_bfe_i32 v33, v35, 0, 8
	s_set_vgpr_msb 0x41                     ;  msbs: dst=1 src0=1 src1=0 src2=0
	v_cvt_f16_i16_e64 v12 /*v268*/, v12 /*v268*/
	s_set_vgpr_msb 1                        ;  msbs: dst=0 src0=1 src1=0 src2=0
	v_add_nc_u16 v44, 0xf000, v34
	v_add_nc_u64_e32 v[34:35], v[8:9] /*v[264:265]*/, v[188:189]
	s_set_vgpr_msb 64                       ;  msbs: dst=1 src0=0 src1=0 src2=0
	s_clause 0x5
	global_load_b32 v26 /*v282*/, v[34:35], off offset:6
	s_set_vgpr_msb 0x41                     ;  msbs: dst=1 src0=1 src1=0 src2=0
	global_load_u16 v31 /*v287*/, v[6:7] /*v[262:263]*/, off
	global_load_b32 v32 /*v288*/, v[8:9] /*v[264:265]*/, off offset:2
	s_set_vgpr_msb 64                       ;  msbs: dst=1 src0=0 src1=0 src2=0
	global_load_u16 v33 /*v289*/, v[38:39], off
	s_set_vgpr_msb 0                        ;  msbs: dst=0 src0=0 src1=0 src2=0
	v_add_nc_u16 v40, 0xf000, v40
	s_wait_xcnt 0x0
	s_set_vgpr_msb 5                        ;  msbs: dst=0 src0=1 src1=1 src2=0
	v_dual_ashrrev_i32 v38, v2 /*v258*/, v49 /*v305*/ :: v_dual_lshlrev_b32 v39, 4, v14 /*v270*/
	s_set_vgpr_msb 0                        ;  msbs: dst=0 src0=0 src1=0 src2=0
	v_cvt_f16_i16_e32 v33, v33
	v_ashrrev_i16 v44, 8, v44
	v_lshrrev_b32_e32 v40, 8, v40
	s_set_vgpr_msb 64                       ;  msbs: dst=1 src0=0 src1=0 src2=0
	v_and_b32_e32 v8 /*v264*/, 0xf0f0f0f, v38
	s_set_vgpr_msb 0                        ;  msbs: dst=0 src0=0 src1=0 src2=0
	v_and_b32_e32 v38, 16, v39
	s_set_vgpr_msb 0x45                     ;  msbs: dst=1 src0=1 src1=1 src2=0
	v_lshrrev_b32_e32 v14 /*v270*/, v3 /*v259*/, v54 /*v310*/
	s_set_vgpr_msb 4                        ;  msbs: dst=0 src0=0 src1=1 src2=0
	v_cvt_f16_i16_e32 v35, v44
	v_bfe_i32 v34, v40, 0, 8
	v_lshlrev_b32_e32 v40, 12, v15 /*v271*/
	v_pack_b32_f16 v44, v33, v12 /*v268*/
	v_pk_fma_f16 v33, v37, v10 /*v266*/, v41
	s_set_vgpr_msb 5                        ;  msbs: dst=0 src0=1 src1=1 src2=0
	v_lshrrev_b32_e32 v41, v5 /*v261*/, v57 /*v313*/
	s_set_vgpr_msb 0                        ;  msbs: dst=0 src0=0 src1=0 src2=0
	v_cvt_f16_i16_e32 v34, v34
	v_and_b32_e32 v39, 0x1000, v40
	s_set_vgpr_msb 5                        ;  msbs: dst=0 src0=1 src1=1 src2=0
	v_lshrrev_b32_e32 v40, v4 /*v260*/, v57 /*v313*/
	s_set_vgpr_msb 4                        ;  msbs: dst=0 src0=0 src1=1 src2=0
	v_pk_fma_f16 v37, v37, v11 /*v267*/, v45
	s_set_vgpr_msb 0x44                     ;  msbs: dst=1 src0=0 src1=1 src2=0
	v_lshrrev_b32_e32 v12 /*v268*/, v254, v54 /*v310*/
	s_set_vgpr_msb 0                        ;  msbs: dst=0 src0=0 src1=0 src2=0
	v_pack_b32_f16 v34, v35, v34
	s_set_vgpr_msb 4                        ;  msbs: dst=0 src0=0 src1=1 src2=0
	v_pk_mul_f16 v35, v44, v13 /*v269*/
	v_or3_b32 v44, v38, v8 /*v264*/, v39
	s_set_vgpr_msb 0                        ;  msbs: dst=0 src0=0 src1=0 src2=0
	v_lshlrev_b32_e32 v45, 20, v40
	s_set_vgpr_msb 4                        ;  msbs: dst=0 src0=0 src1=1 src2=0
	v_pk_mul_f16 v39, v34, v13 /*v269*/
	v_pk_fma_f16 v34, v35, v10 /*v266*/, v42
	s_set_vgpr_msb 0                        ;  msbs: dst=0 src0=0 src1=0 src2=0
	v_lshlrev_b16 v42, 8, v44
	s_set_vgpr_msb 4                        ;  msbs: dst=0 src0=0 src1=1 src2=0
	v_pk_fma_f16 v38, v35, v11 /*v267*/, v46
	s_set_vgpr_msb 0                        ;  msbs: dst=0 src0=0 src1=0 src2=0
	v_lshlrev_b32_e32 v46, 28, v41
	v_add_nc_u64_e32 v[40:41], s[10:11], v[178:179]
	s_set_vgpr_msb 4                        ;  msbs: dst=0 src0=0 src1=1 src2=0
	v_pk_fma_f16 v35, v39, v10 /*v266*/, v43
	s_set_vgpr_msb 0                        ;  msbs: dst=0 src0=0 src1=0 src2=0
	v_add_nc_u16 v42, 0xf000, v42
	s_set_vgpr_msb 4                        ;  msbs: dst=0 src0=0 src1=1 src2=0
	v_pk_fma_f16 v39, v39, v11 /*v267*/, v47
	s_set_vgpr_msb 0                        ;  msbs: dst=0 src0=0 src1=0 src2=0
	v_and_b32_e32 v45, 0x100000, v45
	v_and_b32_e32 v46, 0x10000000, v46
	ds_store_b128 v239, v[32:35]
	ds_store_b128 v239, v[36:39] offset:16
	v_lshrrev_b16 v47, 8, v42
	v_add_nc_u64_e32 v[42:43], v[40:41], v[232:233]
	v_add_nc_u64_e32 v[40:41], v[40:41], v[230:231]
	s_set_vgpr_msb 0x41                     ;  msbs: dst=1 src0=1 src1=0 src2=0
	v_or3_b32 v10 /*v266*/, v8 /*v264*/, v45, v46
	s_set_vgpr_msb 0x44                     ;  msbs: dst=1 src0=0 src1=1 src2=0
	v_mul_u32_u24_e32 v13 /*v269*/, 0x10001, v20 /*v276*/
	s_set_vgpr_msb 64                       ;  msbs: dst=1 src0=0 src1=0 src2=0
	v_bitop3_b16 v11 /*v267*/, v44, v47, 0x1f00 bitop3:0xec
	s_set_vgpr_msb 1                        ;  msbs: dst=0 src0=1 src1=0 src2=0
	v_add_nc_u64_e32 v[44:45], v[6:7] /*v[262:263]*/, v[190:191]
	s_set_vgpr_msb 0                        ;  msbs: dst=0 src0=0 src1=0 src2=0
	v_add_nc_u64_e32 v[46:47], v[42:43], v[188:189]
	s_set_vgpr_msb 64                       ;  msbs: dst=1 src0=0 src1=0 src2=0
	v_add_nc_u64_e32 v[8:9] /*v[264:265]*/, v[40:41], v[190:191]
	s_clause 0xa
	global_load_b32 v34 /*v290*/, v[44:45], off offset:6
	global_load_b32 v35 /*v291*/, v[46:47], off offset:6
	s_set_vgpr_msb 0x41                     ;  msbs: dst=1 src0=1 src1=0 src2=0
	global_load_b32 v37 /*v293*/, v[8:9] /*v[264:265]*/, off offset:6
	s_set_vgpr_msb 64                       ;  msbs: dst=1 src0=0 src1=0 src2=0
	global_load_b32 v43 /*v299*/, v[40:41], off offset:2
	global_load_u16 v44 /*v300*/, v[40:41], off
	global_load_b32 v45 /*v301*/, v[42:43], off offset:2
	global_load_u16 v46 /*v302*/, v[42:43], off
	s_set_vgpr_msb 0x41                     ;  msbs: dst=1 src0=1 src1=0 src2=0
	global_load_b32 v47 /*v303*/, v[6:7] /*v[262:263]*/, off offset:2
	s_wait_xcnt 0x3
	s_set_vgpr_msb 5                        ;  msbs: dst=0 src0=1 src1=1 src2=0
	v_dual_ashrrev_i32 v40, v2 /*v258*/, v50 /*v306*/ :: v_dual_lshlrev_b32 v41, 4, v12 /*v268*/
	s_set_vgpr_msb 0x44                     ;  msbs: dst=1 src0=0 src1=1 src2=0
	v_lshrrev_b32_e32 v10 /*v266*/, 16, v10 /*v266*/
	s_set_vgpr_msb 5                        ;  msbs: dst=0 src0=1 src1=1 src2=0
	v_dual_lshrrev_b32 v45, v4 /*v260*/, v54 /*v310*/ :: v_dual_lshrrev_b32 v46, v5 /*v261*/, v54 /*v310*/
	s_set_vgpr_msb 0                        ;  msbs: dst=0 src0=0 src1=0 src2=0
	v_and_b32_e32 v40, 0xf0f0f0f, v40
	v_and_b32_e32 v41, 16, v41
	s_set_vgpr_msb 4                        ;  msbs: dst=0 src0=0 src1=1 src2=0
	v_and_b32_e32 v44, 0x1f00, v10 /*v266*/
	s_wait_xcnt 0x1
	v_lshlrev_b16 v43, 8, v10 /*v266*/
	s_set_vgpr_msb 0                        ;  msbs: dst=0 src0=0 src1=0 src2=0
	v_lshlrev_b32_e32 v46, 28, v46
	s_set_vgpr_msb 0x44                     ;  msbs: dst=1 src0=0 src1=1 src2=0
	v_add_nc_u16 v11 /*v267*/, 0xf000, v11 /*v267*/
	s_set_vgpr_msb 4                        ;  msbs: dst=0 src0=0 src1=1 src2=0
	v_mul_u32_u24_e32 v47, 0x10001, v58 /*v314*/
	s_set_vgpr_msb 0                        ;  msbs: dst=0 src0=0 src1=0 src2=0
	v_add_nc_u16 v44, 0xf000, v44
	v_lshlrev_b32_e32 v45, 20, v45
	v_and_b32_e32 v46, 0x10000000, v46
	v_add_nc_u16 v43, 0xf000, v43
	s_wait_xcnt 0x0
	s_set_vgpr_msb 0x41                     ;  msbs: dst=1 src0=1 src1=0 src2=0
	v_bfe_i32 v7 /*v263*/, v11 /*v267*/, 0, 8
	s_set_vgpr_msb 0                        ;  msbs: dst=0 src0=0 src1=0 src2=0
	v_lshrrev_b32_e32 v44, 8, v44
	v_and_b32_e32 v45, 0x100000, v45
	v_ashrrev_i16 v43, 8, v43
	s_set_vgpr_msb 0x41                     ;  msbs: dst=1 src0=1 src1=0 src2=0
	v_cvt_f16_i16_e64 v7 /*v263*/, v7 /*v263*/
	s_set_vgpr_msb 0                        ;  msbs: dst=0 src0=0 src1=0 src2=0
	v_bfe_i32 v44, v44, 0, 8
	s_wait_loadcnt 0x14
	s_set_vgpr_msb 0x45                     ;  msbs: dst=1 src0=1 src1=1 src2=0
	v_lshrrev_b32_e32 v19 /*v275*/, v3 /*v259*/, v40 /*v296*/
	s_set_vgpr_msb 4                        ;  msbs: dst=0 src0=0 src1=1 src2=0
	v_lshlrev_b32_e32 v42, 12, v14 /*v270*/
	v_cvt_f16_i16_e32 v43, v43
	v_cvt_f16_i16_e32 v44, v44
	s_set_vgpr_msb 0x44                     ;  msbs: dst=1 src0=0 src1=1 src2=0
	v_mul_u32_u24_e32 v14 /*v270*/, 0x10001, v22 /*v278*/
	v_lshrrev_b32_e32 v18 /*v274*/, v254, v40 /*v296*/
	s_set_vgpr_msb 0                        ;  msbs: dst=0 src0=0 src1=0 src2=0
	v_and_b32_e32 v42, 0x1000, v42
	s_set_vgpr_msb 0x45                     ;  msbs: dst=1 src0=1 src1=1 src2=0
	v_dual_ashrrev_i32 v20 /*v276*/, v2 /*v258*/, v38 /*v294*/ :: v_dual_lshlrev_b32 v19 /*v275*/, 12, v19 /*v275*/
	s_set_vgpr_msb 0                        ;  msbs: dst=0 src0=0 src1=0 src2=0
	v_pack_b32_f16 v43, v43, v44
	s_set_vgpr_msb 0x44                     ;  msbs: dst=1 src0=0 src1=1 src2=0
	v_lshlrev_b32_e32 v18 /*v274*/, 4, v18 /*v274*/
	s_set_vgpr_msb 0                        ;  msbs: dst=0 src0=0 src1=0 src2=0
	v_or3_b32 v41, v41, v40, v42
	v_or3_b32 v40, v40, v45, v46
	s_set_vgpr_msb 4                        ;  msbs: dst=0 src0=0 src1=1 src2=0
	v_lshrrev_b32_e32 v42, 8, v11 /*v267*/
	s_set_vgpr_msb 0                        ;  msbs: dst=0 src0=0 src1=0 src2=0
	v_pk_mul_f16 v43, v43, v47
	s_set_vgpr_msb 0x44                     ;  msbs: dst=1 src0=0 src1=1 src2=0
	v_and_b32_e32 v20 /*v276*/, 0xf0f0f0f, v20 /*v276*/
	s_set_vgpr_msb 64                       ;  msbs: dst=1 src0=0 src1=0 src2=0
	v_lshlrev_b16 v6 /*v262*/, 8, v41
	s_set_vgpr_msb 0x44                     ;  msbs: dst=1 src0=0 src1=1 src2=0
	v_and_b32_e32 v18 /*v274*/, 16, v18 /*v274*/
	s_set_vgpr_msb 0                        ;  msbs: dst=0 src0=0 src1=0 src2=0
	v_bfe_i32 v42, v42, 0, 8
	s_set_vgpr_msb 0x44                     ;  msbs: dst=1 src0=0 src1=1 src2=0
	v_pk_fma_f16 v11 /*v267*/, v43, v14 /*v270*/, v37
	v_and_b32_e32 v19 /*v275*/, 0x1000, v19 /*v275*/
	v_add_nc_u16 v6 /*v262*/, 0xf000, v6 /*v262*/
	s_set_vgpr_msb 4                        ;  msbs: dst=0 src0=0 src1=1 src2=0
	v_cvt_f16_i16_e32 v42, v42
	s_delay_alu instid0(VALU_DEP_2) | instskip(SKIP_1) | instid1(VALU_DEP_2)
	v_lshrrev_b16 v45, 8, v6 /*v262*/
	s_set_vgpr_msb 1                        ;  msbs: dst=0 src0=1 src1=0 src2=0
	v_pack_b32_f16 v42, v7 /*v263*/, v42
	s_set_vgpr_msb 0x44                     ;  msbs: dst=1 src0=0 src1=1 src2=0
	v_pk_fma_f16 v7 /*v263*/, v43, v13 /*v269*/, v33
	s_wait_loadcnt 0x12
	s_set_vgpr_msb 4                        ;  msbs: dst=0 src0=0 src1=1 src2=0
	v_lshrrev_b32_e32 v33, v254, v42 /*v298*/
	s_set_vgpr_msb 0                        ;  msbs: dst=0 src0=0 src1=0 src2=0
	v_bitop3_b16 v41, v41, v45, 0x1f00 bitop3:0xec
	v_pk_mul_f16 v42, v42, v47
	s_delay_alu instid0(VALU_DEP_3) | instskip(NEXT) | instid1(VALU_DEP_3)
	v_lshlrev_b32_e32 v33, 4, v33
	v_add_nc_u16 v41, 0xf000, v41
	v_lshrrev_b32_e32 v40, 16, v40
	s_set_vgpr_msb 0x44                     ;  msbs: dst=1 src0=0 src1=1 src2=0
	v_pk_fma_f16 v6 /*v262*/, v42, v13 /*v269*/, v32
	v_pk_fma_f16 v10 /*v266*/, v42, v14 /*v270*/, v36
	s_set_vgpr_msb 5                        ;  msbs: dst=0 src0=1 src1=1 src2=0
	v_lshrrev_b32_e32 v42, v3 /*v259*/, v42 /*v298*/
	v_mul_u32_u24_e32 v36, 0x10001, v56 /*v312*/
	s_set_vgpr_msb 0                        ;  msbs: dst=0 src0=0 src1=0 src2=0
	v_and_b32_e32 v45, 0x1f00, v40
	s_delay_alu instid0(VALU_DEP_3) | instskip(NEXT) | instid1(VALU_DEP_2)
	v_dual_lshlrev_b32 v42, 12, v42 :: v_dual_bitop2_b32 v33, 16, v33 bitop3:0x40
	v_add_nc_u16 v44, 0xf000, v45
	v_lshrrev_b32_e32 v45, 8, v41
	v_lshlrev_b16 v40, 8, v40
	v_bfe_i32 v41, v41, 0, 8
	s_delay_alu instid0(VALU_DEP_4) | instskip(NEXT) | instid1(VALU_DEP_4)
	v_lshrrev_b32_e32 v44, 8, v44
	v_bfe_i32 v45, v45, 0, 8
	s_delay_alu instid0(VALU_DEP_4) | instskip(NEXT) | instid1(VALU_DEP_4)
	v_add_nc_u16 v40, 0xf000, v40
	v_cvt_f16_i16_e32 v32, v41
	s_delay_alu instid0(VALU_DEP_4) | instskip(NEXT) | instid1(VALU_DEP_4)
	v_bfe_i32 v41, v44, 0, 8
	v_cvt_f16_i16_e32 v44, v45
	s_delay_alu instid0(VALU_DEP_4) | instskip(NEXT) | instid1(VALU_DEP_3)
	v_ashrrev_i16 v40, 8, v40
	v_cvt_f16_i16_e32 v41, v41
	s_delay_alu instid0(VALU_DEP_3) | instskip(NEXT) | instid1(VALU_DEP_3)
	v_pack_b32_f16 v32, v32, v44
	v_cvt_f16_i16_e32 v40, v40
	ds_load_b128 v[44:47], v246 offset:32
	s_wait_loadcnt 0x10
	v_mul_u32_u24_e32 v227, 0x10001, v227
	v_pk_mul_f16 v32, v32, v36
	v_pack_b32_f16 v40, v40, v41
	s_set_vgpr_msb 5                        ;  msbs: dst=0 src0=1 src1=1 src2=0
	v_ashrrev_i32_e32 v41, v2 /*v258*/, v36 /*v292*/
	s_set_vgpr_msb 0x44                     ;  msbs: dst=1 src0=0 src1=1 src2=0
	v_pk_fma_f16 v8 /*v264*/, v32, v13 /*v269*/, v34
	s_set_vgpr_msb 0                        ;  msbs: dst=0 src0=0 src1=0 src2=0
	v_pk_mul_f16 v36, v40, v36
	s_set_vgpr_msb 64                       ;  msbs: dst=1 src0=0 src1=0 src2=0
	v_and_b32_e32 v15 /*v271*/, 0xf0f0f0f, v41
	s_set_vgpr_msb 0                        ;  msbs: dst=0 src0=0 src1=0 src2=0
	v_and_b32_e32 v40, 0x1000, v42
	s_set_vgpr_msb 0x44                     ;  msbs: dst=1 src0=0 src1=1 src2=0
	v_pk_fma_f16 v12 /*v268*/, v32, v14 /*v270*/, v38
	s_set_vgpr_msb 5                        ;  msbs: dst=0 src0=1 src1=1 src2=0
	v_lshrrev_b32_e32 v34, v5 /*v261*/, v42 /*v298*/
	s_set_vgpr_msb 0x44                     ;  msbs: dst=1 src0=0 src1=1 src2=0
	v_pk_fma_f16 v9 /*v265*/, v36, v13 /*v269*/, v35
	v_pk_fma_f16 v13 /*v269*/, v36, v14 /*v270*/, v39
	s_set_vgpr_msb 4                        ;  msbs: dst=0 src0=0 src1=1 src2=0
	v_or3_b32 v32, v33, v15 /*v271*/, v40
	s_set_vgpr_msb 5                        ;  msbs: dst=0 src0=1 src1=1 src2=0
	v_lshrrev_b32_e32 v33, v4 /*v260*/, v42 /*v298*/
	s_set_vgpr_msb 0                        ;  msbs: dst=0 src0=0 src1=0 src2=0
	v_lshlrev_b32_e32 v34, 28, v34
	ds_load_b128 v[40:43], v246 offset:288
	s_wait_dscnt 0x1
	s_set_vgpr_msb 64                       ;  msbs: dst=1 src0=0 src1=0 src2=0
	v_dual_lshrrev_b32 v36 /*v292*/, 16, v44 :: v_dual_lshrrev_b32 v42 /*v298*/, 16, v45
	s_set_vgpr_msb 0                        ;  msbs: dst=0 src0=0 src1=0 src2=0
	v_lshlrev_b16 v35, 8, v32
	v_lshlrev_b32_e32 v33, 20, v33
	v_and_b32_e32 v34, 0x10000000, v34
	v_and_b32_e32 v44, 0xffff, v44
	s_set_vgpr_msb 4                        ;  msbs: dst=0 src0=0 src1=1 src2=0
	ds_store_b128 v239, v[6:9] /*v[262:265]*/
	ds_store_b128 v239, v[10:13] /*v[266:269]*/ offset:16
	s_set_vgpr_msb 0                        ;  msbs: dst=0 src0=0 src1=0 src2=0
	v_add_nc_u16 v35, 0xf000, v35
	v_and_b32_e32 v33, 0x100000, v33
	ds_load_b128 v[36:39], v246 offset:48
	v_mul_u32_u24_e32 v44, 0x10001, v44
	s_set_vgpr_msb 64                       ;  msbs: dst=1 src0=0 src1=0 src2=0
	v_dual_lshrrev_b32 v48 /*v304*/, 16, v46 :: v_dual_lshrrev_b32 v49 /*v305*/, 16, v47
	s_set_vgpr_msb 0                        ;  msbs: dst=0 src0=0 src1=0 src2=0
	v_lshrrev_b16 v35, 8, v35
	s_set_vgpr_msb 0x41                     ;  msbs: dst=1 src0=1 src1=0 src2=0
	v_or3_b32 v14 /*v270*/, v15 /*v271*/, v33, v34
	s_set_vgpr_msb 64                       ;  msbs: dst=1 src0=0 src1=0 src2=0
	s_delay_alu instid0(VALU_DEP_2) | instskip(SKIP_1) | instid1(VALU_DEP_2)
	v_bitop3_b16 v15 /*v271*/, v32, v35, 0x1f00 bitop3:0xec
	s_set_vgpr_msb 0x44                     ;  msbs: dst=1 src0=0 src1=1 src2=0
	v_lshrrev_b32_e32 v14 /*v270*/, 16, v14 /*v270*/
	s_wait_dscnt 0x3
	s_set_vgpr_msb 64                       ;  msbs: dst=1 src0=0 src1=0 src2=0
	v_dual_lshrrev_b32 v50 /*v306*/, 16, v40 :: v_dual_lshrrev_b32 v51 /*v307*/, 16, v41
	s_set_vgpr_msb 0                        ;  msbs: dst=0 src0=0 src1=0 src2=0
	v_and_b32_e32 v40, 0xffff, v40
	s_set_vgpr_msb 0x44                     ;  msbs: dst=1 src0=0 src1=1 src2=0
	v_add_nc_u16 v15 /*v271*/, 0xf000, v15 /*v271*/
	v_lshlrev_b16 v16 /*v272*/, 8, v14 /*v270*/
	v_and_b32_e32 v14 /*v270*/, 0x1f00, v14 /*v270*/
	s_set_vgpr_msb 0                        ;  msbs: dst=0 src0=0 src1=0 src2=0
	ds_load_b128 v[32:35], v246 offset:304
	v_mul_u32_u24_e32 v40, 0x10001, v40
	s_set_vgpr_msb 0x44                     ;  msbs: dst=1 src0=0 src1=1 src2=0
	v_lshrrev_b32_e32 v17 /*v273*/, 8, v15 /*v271*/
	s_set_vgpr_msb 0x41                     ;  msbs: dst=1 src0=1 src1=0 src2=0
	v_bfe_i32 v15 /*v271*/, v15 /*v271*/, 0, 8
	s_set_vgpr_msb 0x44                     ;  msbs: dst=1 src0=0 src1=1 src2=0
	v_add_nc_u16 v14 /*v270*/, 0xf000, v14 /*v270*/
	v_add_nc_u16 v16 /*v272*/, 0xf000, v16 /*v272*/
	s_set_vgpr_msb 0x41                     ;  msbs: dst=1 src0=1 src1=0 src2=0
	v_lshrrev_b32_e32 v52 /*v308*/, 16, v42
	v_bfe_i32 v17 /*v273*/, v17 /*v273*/, 0, 8
	v_cvt_f16_i16_e64 v15 /*v271*/, v15 /*v271*/
	s_set_vgpr_msb 0x44                     ;  msbs: dst=1 src0=0 src1=1 src2=0
	v_lshrrev_b32_e32 v14 /*v270*/, 8, v14 /*v270*/
	v_ashrrev_i16 v16 /*v272*/, 8, v16 /*v272*/
	s_set_vgpr_msb 0                        ;  msbs: dst=0 src0=0 src1=0 src2=0
	v_and_b32_e32 v41, 0xffff, v41
	s_set_vgpr_msb 0x41                     ;  msbs: dst=1 src0=1 src1=0 src2=0
	v_cvt_f16_i16_e64 v17 /*v273*/, v17 /*v273*/
	s_set_vgpr_msb 0                        ;  msbs: dst=0 src0=0 src1=0 src2=0
	v_and_b32_e32 v42, 0xffff, v42
	s_set_vgpr_msb 0x55                     ;  msbs: dst=1 src0=1 src1=1 src2=1
	v_cvt_f16_i16_e64 v16 /*v272*/, v16 /*v272*/
	v_pack_b32_f16 v15 /*v271*/, v15 /*v271*/, v17 /*v273*/
	v_or3_b32 v17 /*v273*/, v18 /*v274*/, v20 /*v276*/, v19 /*v275*/
	v_dual_lshrrev_b32 v18 /*v274*/, v4 /*v260*/, v40 /*v296*/ :: v_dual_lshrrev_b32 v19 /*v275*/, v5 /*v261*/, v40 /*v296*/
	v_bfe_i32 v14 /*v270*/, v14 /*v270*/, 0, 8
	s_set_vgpr_msb 0x41                     ;  msbs: dst=1 src0=1 src1=0 src2=0
	v_pk_mul_f16 v22 /*v278*/, v15 /*v271*/, v227
	s_set_vgpr_msb 0x44                     ;  msbs: dst=1 src0=0 src1=1 src2=0
	v_lshlrev_b16 v21 /*v277*/, 8, v17 /*v273*/
	v_dual_lshlrev_b32 v18 /*v274*/, 20, v18 /*v274*/ :: v_dual_lshlrev_b32 v19 /*v275*/, 28, v19 /*v275*/
	s_set_vgpr_msb 0x51                     ;  msbs: dst=1 src0=1 src1=0 src2=1
	v_cvt_f16_i16_e64 v14 /*v270*/, v14 /*v270*/
	v_pk_fma_f16 v6 /*v262*/, v22 /*v278*/, v44, v6 /*v262*/
	s_set_vgpr_msb 0x45                     ;  msbs: dst=1 src0=1 src1=1 src2=0
	v_add_nc_u16 v21 /*v277*/, 0xf000, v21 /*v277*/
	v_and_b32_e32 v18 /*v274*/, 0x100000, v18 /*v274*/
	v_and_b32_e32 v19 /*v275*/, 0x10000000, v19 /*v275*/
	v_pack_b32_f16 v16 /*v272*/, v16 /*v272*/, v14 /*v270*/
	s_set_vgpr_msb 64                       ;  msbs: dst=1 src0=0 src1=0 src2=0
	v_add_nc_u64_e32 v[14:15] /*v[270:271]*/, s[10:11], v[180:181]
	s_set_vgpr_msb 0x44                     ;  msbs: dst=1 src0=0 src1=1 src2=0
	v_lshrrev_b16 v21 /*v277*/, 8, v21 /*v277*/
	s_set_vgpr_msb 0x51                     ;  msbs: dst=1 src0=1 src1=0 src2=1
	v_pk_fma_f16 v10 /*v266*/, v22 /*v278*/, v40, v10 /*v266*/
	s_set_vgpr_msb 0x55                     ;  msbs: dst=1 src0=1 src1=1 src2=1
	v_or3_b32 v18 /*v274*/, v20 /*v276*/, v18 /*v274*/, v19 /*v275*/
	s_set_vgpr_msb 1                        ;  msbs: dst=0 src0=1 src1=0 src2=0
	v_pk_mul_f16 v227, v16 /*v272*/, v227
	v_mul_u32_u24_e32 v42, 0x10001, v42
	s_set_vgpr_msb 0x45                     ;  msbs: dst=1 src0=1 src1=1 src2=0
	v_bitop3_b16 v17 /*v273*/, v17 /*v273*/, v21 /*v277*/, 0x1f00 bitop3:0xec
	v_lshrrev_b32_e32 v20 /*v276*/, 16, v18 /*v274*/
	s_set_vgpr_msb 0x50                     ;  msbs: dst=1 src0=0 src1=0 src2=1
	v_add_nc_u64_e32 v[18:19] /*v[274:275]*/, s[10:11], v[182:183]
	v_pk_fma_f16 v7 /*v263*/, v227, v44, v7 /*v263*/
	s_set_vgpr_msb 0x44                     ;  msbs: dst=1 src0=0 src1=1 src2=0
	v_add_nc_u16 v38 /*v294*/, 0xf000, v17 /*v273*/
	s_set_vgpr_msb 0x41                     ;  msbs: dst=1 src0=1 src1=0 src2=0
	v_add_nc_u64_e32 v[16:17] /*v[272:273]*/, v[14:15] /*v[270:271]*/, v[232:233]
	v_add_nc_u64_e32 v[14:15] /*v[270:271]*/, v[14:15] /*v[270:271]*/, v[230:231]
	s_set_vgpr_msb 0x44                     ;  msbs: dst=1 src0=0 src1=1 src2=0
	v_lshlrev_b16 v40 /*v296*/, 8, v20 /*v276*/
	v_and_b32_e32 v53 /*v309*/, 0x1f00, v20 /*v276*/
	s_set_vgpr_msb 0x41                     ;  msbs: dst=1 src0=1 src1=0 src2=0
	v_add_nc_u64_e32 v[24:25] /*v[280:281]*/, v[18:19] /*v[274:275]*/, v[232:233]
	s_set_vgpr_msb 0x50                     ;  msbs: dst=1 src0=0 src1=0 src2=1
	v_pk_fma_f16 v11 /*v267*/, v227, v40, v11 /*v267*/
	s_set_vgpr_msb 0x41                     ;  msbs: dst=1 src0=1 src1=0 src2=0
	v_add_nc_u64_e32 v[20:21] /*v[276:277]*/, v[16:17] /*v[272:273]*/, v[188:189]
	v_add_nc_u64_e32 v[22:23] /*v[278:279]*/, v[14:15] /*v[270:271]*/, v[190:191]
	s_clause 0x5
	global_load_b32 v55 /*v311*/, v[20:21] /*v[276:277]*/, off offset:6
	global_load_b32 v56 /*v312*/, v[22:23] /*v[278:279]*/, off offset:6
	global_load_u16 v57 /*v313*/, v[24:25] /*v[280:281]*/, off
	global_load_b32 v58 /*v314*/, v[14:15] /*v[270:271]*/, off offset:2
	global_load_u16 v59 /*v315*/, v[14:15] /*v[270:271]*/, off
	global_load_b32 v60 /*v316*/, v[16:17] /*v[272:273]*/, off offset:2
	s_set_vgpr_msb 0x44                     ;  msbs: dst=1 src0=0 src1=1 src2=0
	v_add_nc_u16 v40 /*v296*/, 0xf000, v40 /*v296*/
	s_wait_xcnt 0x1
	s_set_vgpr_msb 64                       ;  msbs: dst=1 src0=0 src1=0 src2=0
	v_lshrrev_b32_e32 v15 /*v271*/, v254, v133
	s_set_vgpr_msb 0x41                     ;  msbs: dst=1 src0=1 src1=0 src2=0
	v_lshrrev_b32_e32 v20 /*v276*/, v3 /*v259*/, v133
	s_set_vgpr_msb 0x44                     ;  msbs: dst=1 src0=0 src1=1 src2=0
	v_lshrrev_b32_e32 v54 /*v310*/, 8, v38 /*v294*/
	s_set_vgpr_msb 0x41                     ;  msbs: dst=1 src0=1 src1=0 src2=0
	v_bfe_i32 v38 /*v294*/, v38 /*v294*/, 0, 8
	s_set_vgpr_msb 0x45                     ;  msbs: dst=1 src0=1 src1=1 src2=0
	v_add_nc_u16 v53 /*v309*/, 0xf000, v53 /*v309*/
	s_wait_loadcnt 0x15
	v_ashrrev_i32_e32 v23 /*v279*/, v2 /*v258*/, v27 /*v283*/
	v_lshlrev_b32_e32 v15 /*v271*/, 4, v15 /*v271*/
	v_mul_u32_u24_e32 v14 /*v270*/, 0x10001, v41 /*v297*/
	v_cvt_f16_i16_e64 v21 /*v277*/, v38 /*v294*/
	v_ashrrev_i16 v38 /*v294*/, 8, v40 /*v296*/
	s_set_vgpr_msb 0x41                     ;  msbs: dst=1 src0=1 src1=0 src2=0
	v_lshrrev_b32_e32 v40 /*v296*/, v4 /*v260*/, v133
	s_set_vgpr_msb 0x44                     ;  msbs: dst=1 src0=0 src1=1 src2=0
	v_lshlrev_b32_e32 v20 /*v276*/, 12, v20 /*v276*/
	s_set_vgpr_msb 0x41                     ;  msbs: dst=1 src0=1 src1=0 src2=0
	v_bfe_i32 v54 /*v310*/, v54 /*v310*/, 0, 8
	s_set_vgpr_msb 0x44                     ;  msbs: dst=1 src0=0 src1=1 src2=0
	v_dual_lshrrev_b32 v27 /*v283*/, 8, v53 /*v309*/ :: v_dual_bitop2_b32 v15 /*v271*/, 16, v15 /*v271*/ bitop3:0x40
	v_and_b32_e32 v23 /*v279*/, 0xf0f0f0f, v23 /*v279*/
	v_and_b32_e32 v20 /*v276*/, 0x1000, v20 /*v276*/
	s_set_vgpr_msb 0x41                     ;  msbs: dst=1 src0=1 src1=0 src2=0
	v_cvt_f16_i16_e64 v22 /*v278*/, v54 /*v310*/
	v_bfe_i32 v27 /*v283*/, v27 /*v283*/, 0, 8
	v_cvt_f16_i16_e64 v38 /*v294*/, v38 /*v294*/
	s_set_vgpr_msb 1                        ;  msbs: dst=0 src0=1 src1=0 src2=0
	v_lshrrev_b32_e32 v133, v5 /*v261*/, v133
	s_set_vgpr_msb 0x55                     ;  msbs: dst=1 src0=1 src1=1 src2=1
	v_or3_b32 v15 /*v271*/, v15 /*v271*/, v23 /*v279*/, v20 /*v276*/
	v_pack_b32_f16 v21 /*v277*/, v21 /*v277*/, v22 /*v278*/
	v_cvt_f16_i16_e64 v27 /*v283*/, v27 /*v283*/
	v_lshlrev_b32_e32 v20 /*v276*/, 20, v40 /*v296*/
	s_delay_alu instid0(VALU_DEP_4) | instskip(NEXT) | instid1(VALU_DEP_4)
	v_lshlrev_b16 v22 /*v278*/, 8, v15 /*v271*/
	v_pk_mul_f16 v21 /*v277*/, v21 /*v277*/, v14 /*v270*/
	s_delay_alu instid0(VALU_DEP_4) | instskip(NEXT) | instid1(VALU_DEP_3)
	v_pack_b32_f16 v27 /*v283*/, v38 /*v294*/, v27 /*v283*/
	v_add_nc_u16 v22 /*v278*/, 0xf000, v22 /*v278*/
	s_set_vgpr_msb 0x51                     ;  msbs: dst=1 src0=1 src1=0 src2=1
	s_delay_alu instid0(VALU_DEP_3)
	v_pk_fma_f16 v12 /*v268*/, v21 /*v277*/, v40, v12 /*v268*/
	s_set_vgpr_msb 5                        ;  msbs: dst=0 src0=1 src1=1 src2=0
	v_pk_mul_f16 v227, v27 /*v283*/, v14 /*v270*/
	s_set_vgpr_msb 0x51                     ;  msbs: dst=1 src0=1 src1=0 src2=1
	v_pk_fma_f16 v8 /*v264*/, v21 /*v277*/, v44, v8 /*v264*/
	s_set_vgpr_msb 0x44                     ;  msbs: dst=1 src0=0 src1=1 src2=0
	v_lshrrev_b16 v14 /*v270*/, 8, v22 /*v278*/
	v_mul_u32_u24_e32 v22 /*v278*/, 0x10001, v39 /*v295*/
	s_set_vgpr_msb 0x50                     ;  msbs: dst=1 src0=0 src1=0 src2=1
	v_pk_fma_f16 v9 /*v265*/, v227, v44, v9 /*v265*/
	v_pk_fma_f16 v13 /*v269*/, v227, v40, v13 /*v269*/
	s_set_vgpr_msb 0                        ;  msbs: dst=0 src0=0 src1=0 src2=0
	v_dual_lshrrev_b32 v227, 16, v43 :: v_dual_lshlrev_b32 v133, 28, v133
	s_set_vgpr_msb 5                        ;  msbs: dst=0 src0=1 src1=1 src2=0
	v_bitop3_b16 v40, v15 /*v271*/, v14 /*v270*/, 0x1f00 bitop3:0xec
	s_wait_loadcnt 0x12
	s_set_vgpr_msb 0x44                     ;  msbs: dst=1 src0=0 src1=1 src2=0
	v_lshrrev_b32_e32 v14 /*v270*/, v254, v30 /*v286*/
	v_and_b32_e32 v20 /*v276*/, 0x100000, v20 /*v276*/
	s_set_vgpr_msb 0x45                     ;  msbs: dst=1 src0=1 src1=1 src2=0
	v_lshrrev_b32_e32 v15 /*v271*/, v3 /*v259*/, v30 /*v286*/
	s_set_vgpr_msb 0                        ;  msbs: dst=0 src0=0 src1=0 src2=0
	v_and_b32_e32 v133, 0x10000000, v133
	v_add_nc_u16 v40, 0xf000, v40
	s_set_vgpr_msb 4                        ;  msbs: dst=0 src0=0 src1=1 src2=0
	ds_store_b128 v239, v[6:9] /*v[262:265]*/
	ds_store_b128 v239, v[10:13] /*v[266:269]*/ offset:16
	s_set_vgpr_msb 0                        ;  msbs: dst=0 src0=0 src1=0 src2=0
	v_mul_u32_u24_e32 v227, 0x10001, v227
	s_set_vgpr_msb 5                        ;  msbs: dst=0 src0=1 src1=1 src2=0
	v_or3_b32 v133, v23 /*v279*/, v20 /*v276*/, v133
	s_set_vgpr_msb 0x45                     ;  msbs: dst=1 src0=1 src1=1 src2=0
	v_dual_ashrrev_i32 v20 /*v276*/, v2 /*v258*/, v28 /*v284*/ :: v_dual_lshlrev_b32 v14 /*v270*/, 4, v14 /*v270*/
	v_lshlrev_b32_e32 v15 /*v271*/, 12, v15 /*v271*/
	s_set_vgpr_msb 64                       ;  msbs: dst=1 src0=0 src1=0 src2=0
	v_lshrrev_b32_e32 v21 /*v277*/, 8, v40
	s_set_vgpr_msb 0                        ;  msbs: dst=0 src0=0 src1=0 src2=0
	v_lshrrev_b32_e32 v133, 16, v133
	s_set_vgpr_msb 0x44                     ;  msbs: dst=1 src0=0 src1=1 src2=0
	v_and_b32_e32 v20 /*v276*/, 0xf0f0f0f, v20 /*v276*/
	v_and_b32_e32 v14 /*v270*/, 16, v14 /*v270*/
	;; [unrolled: 1-line block ×3, first 2 shown]
	s_set_vgpr_msb 0x45                     ;  msbs: dst=1 src0=1 src1=1 src2=0
	v_bfe_i32 v21 /*v277*/, v21 /*v277*/, 0, 8
	v_lshrrev_b32_e32 v23 /*v279*/, v5 /*v261*/, v30 /*v286*/
	s_set_vgpr_msb 0                        ;  msbs: dst=0 src0=0 src1=0 src2=0
	v_lshlrev_b16 v44, 8, v133
	v_and_b32_e32 v133, 0x1f00, v133
	s_set_vgpr_msb 0x55                     ;  msbs: dst=1 src0=1 src1=1 src2=1
	v_or3_b32 v14 /*v270*/, v14 /*v270*/, v20 /*v276*/, v15 /*v271*/
	v_cvt_f16_i16_e64 v15 /*v271*/, v21 /*v277*/
	v_lshrrev_b32_e32 v21 /*v277*/, v4 /*v260*/, v30 /*v286*/
	s_clause 0x1
	global_load_b32 v30 /*v286*/, v[24:25] /*v[280:281]*/, off offset:2
	global_load_u16 v38 /*v294*/, v[16:17] /*v[272:273]*/, off
	s_set_vgpr_msb 0                        ;  msbs: dst=0 src0=0 src1=0 src2=0
	v_add_nc_u16 v133, 0xf000, v133
	v_add_nc_u16 v44, 0xf000, v44
	s_set_vgpr_msb 0x44                     ;  msbs: dst=1 src0=0 src1=1 src2=0
	v_lshlrev_b16 v27 /*v283*/, 8, v14 /*v270*/
	s_set_vgpr_msb 0                        ;  msbs: dst=0 src0=0 src1=0 src2=0
	v_bfe_i32 v40, v40, 0, 8
	s_set_vgpr_msb 0x44                     ;  msbs: dst=1 src0=0 src1=1 src2=0
	v_lshlrev_b32_e32 v21 /*v277*/, 20, v21 /*v277*/
	s_set_vgpr_msb 0                        ;  msbs: dst=0 src0=0 src1=0 src2=0
	v_lshrrev_b32_e32 v133, 8, v133
	v_ashrrev_i16 v44, 8, v44
	s_set_vgpr_msb 0x44                     ;  msbs: dst=1 src0=0 src1=1 src2=0
	v_add_nc_u16 v27 /*v283*/, 0xf000, v27 /*v283*/
	s_set_vgpr_msb 0                        ;  msbs: dst=0 src0=0 src1=0 src2=0
	v_cvt_f16_i16_e32 v40, v40
	s_set_vgpr_msb 0x44                     ;  msbs: dst=1 src0=0 src1=1 src2=0
	v_lshlrev_b32_e32 v23 /*v279*/, 28, v23 /*v279*/
	s_set_vgpr_msb 0                        ;  msbs: dst=0 src0=0 src1=0 src2=0
	v_bfe_i32 v133, v133, 0, 8
	v_cvt_f16_i16_e32 v44, v44
	s_wait_xcnt 0x0
	s_set_vgpr_msb 0x44                     ;  msbs: dst=1 src0=0 src1=1 src2=0
	v_lshrrev_b16 v17 /*v273*/, 8, v27 /*v283*/
	s_set_vgpr_msb 4                        ;  msbs: dst=0 src0=0 src1=1 src2=0
	v_pack_b32_f16 v40, v40, v15 /*v271*/
	s_set_vgpr_msb 0x44                     ;  msbs: dst=1 src0=0 src1=1 src2=0
	v_and_b32_e32 v16 /*v272*/, 0x100000, v21 /*v277*/
	s_set_vgpr_msb 0                        ;  msbs: dst=0 src0=0 src1=0 src2=0
	v_cvt_f16_i16_e64 v133, v133
	s_wait_loadcnt 0x11
	s_set_vgpr_msb 0x45                     ;  msbs: dst=1 src0=1 src1=1 src2=0
	v_lshrrev_b32_e32 v27 /*v283*/, v3 /*v259*/, v32 /*v288*/
	v_bitop3_b16 v14 /*v270*/, v14 /*v270*/, v17 /*v273*/, 0x1f00 bitop3:0xec
	s_set_vgpr_msb 4                        ;  msbs: dst=0 src0=0 src1=1 src2=0
	v_pk_mul_f16 v40, v40, v22 /*v278*/
	s_set_vgpr_msb 0                        ;  msbs: dst=0 src0=0 src1=0 src2=0
	v_pack_b32_f16 v44, v44, v133
	s_set_vgpr_msb 4                        ;  msbs: dst=0 src0=0 src1=1 src2=0
	v_mul_u32_u24_e32 v133, 0x10001, v50 /*v306*/
	s_set_vgpr_msb 0x44                     ;  msbs: dst=1 src0=0 src1=1 src2=0
	v_add_nc_u16 v14 /*v270*/, 0xf000, v14 /*v270*/
	s_set_vgpr_msb 4                        ;  msbs: dst=0 src0=0 src1=1 src2=0
	v_pk_mul_f16 v44, v44, v22 /*v278*/
	s_set_vgpr_msb 0x44                     ;  msbs: dst=1 src0=0 src1=1 src2=0
	v_lshrrev_b32_e32 v22 /*v278*/, v254, v32 /*v288*/
	v_and_b32_e32 v21 /*v277*/, 0x10000000, v23 /*v279*/
	v_mul_u32_u24_e32 v23 /*v279*/, 0x10001, v36 /*v292*/
	s_set_vgpr_msb 0x50                     ;  msbs: dst=1 src0=0 src1=0 src2=1
	v_pk_fma_f16 v10 /*v266*/, v40, v133, v10 /*v266*/
	v_pk_fma_f16 v11 /*v267*/, v44, v133, v11 /*v267*/
	s_set_vgpr_msb 0x55                     ;  msbs: dst=1 src0=1 src1=1 src2=1
	v_or3_b32 v15 /*v271*/, v20 /*v276*/, v16 /*v272*/, v21 /*v277*/
	s_set_vgpr_msb 0x54                     ;  msbs: dst=1 src0=0 src1=1 src2=1
	v_pk_fma_f16 v6 /*v262*/, v40, v23 /*v279*/, v6 /*v262*/
	s_set_vgpr_msb 4                        ;  msbs: dst=0 src0=0 src1=1 src2=0
	v_lshrrev_b32_e32 v40, 8, v14 /*v270*/
	s_set_vgpr_msb 0x41                     ;  msbs: dst=1 src0=1 src1=0 src2=0
	v_bfe_i32 v14 /*v270*/, v14 /*v270*/, 0, 8
	s_wait_loadcnt 0x10
	s_set_vgpr_msb 0x54                     ;  msbs: dst=1 src0=0 src1=1 src2=1
	v_mul_u32_u24_e32 v20 /*v276*/, 0x10001, v33 /*v289*/
	v_lshrrev_b32_e32 v15 /*v271*/, 16, v15 /*v271*/
	v_pk_fma_f16 v7 /*v263*/, v44, v23 /*v279*/, v7 /*v263*/
	s_set_vgpr_msb 0                        ;  msbs: dst=0 src0=0 src1=0 src2=0
	v_bfe_i32 v40, v40, 0, 8
	s_set_vgpr_msb 0x41                     ;  msbs: dst=1 src0=1 src1=0 src2=0
	v_cvt_f16_i16_e64 v21 /*v277*/, v14 /*v270*/
	s_set_vgpr_msb 0x44                     ;  msbs: dst=1 src0=0 src1=1 src2=0
	v_lshlrev_b16 v16 /*v272*/, 8, v15 /*v271*/
	v_and_b32_e32 v15 /*v271*/, 0x1f00, v15 /*v271*/
	s_set_vgpr_msb 0                        ;  msbs: dst=0 src0=0 src1=0 src2=0
	v_cvt_f16_i16_e32 v40, v40
	s_set_vgpr_msb 0x44                     ;  msbs: dst=1 src0=0 src1=1 src2=0
	v_add_nc_u16 v16 /*v272*/, 0xf000, v16 /*v272*/
	v_add_nc_u16 v17 /*v273*/, 0xf000, v15 /*v271*/
	s_set_vgpr_msb 0x41                     ;  msbs: dst=1 src0=1 src1=0 src2=0
	v_add_nc_u64_e32 v[14:15] /*v[270:271]*/, v[24:25] /*v[280:281]*/, v[188:189]
	s_set_vgpr_msb 0x45                     ;  msbs: dst=1 src0=1 src1=1 src2=0
	v_ashrrev_i32_e32 v24 /*v280*/, v2 /*v258*/, v26 /*v282*/
	s_set_vgpr_msb 1                        ;  msbs: dst=0 src0=1 src1=0 src2=0
	v_pack_b32_f16 v40, v21 /*v277*/, v40
	s_set_vgpr_msb 0x44                     ;  msbs: dst=1 src0=0 src1=1 src2=0
	v_dual_lshlrev_b32 v21 /*v277*/, 4, v22 /*v278*/ :: v_dual_lshrrev_b32 v17 /*v273*/, 8, v17 /*v273*/
	v_lshlrev_b32_e32 v22 /*v278*/, 12, v27 /*v283*/
	v_and_b32_e32 v24 /*v280*/, 0xf0f0f0f, v24 /*v280*/
	s_set_vgpr_msb 0x45                     ;  msbs: dst=1 src0=1 src1=1 src2=0
	global_load_b32 v33 /*v289*/, v[14:15] /*v[270:271]*/, off offset:6
	s_wait_xcnt 0x0
	v_dual_lshrrev_b32 v21 /*v277*/, v4 /*v260*/, v32 /*v288*/ :: v_dual_bitop2_b32 v14 /*v270*/, 16, v21 /*v277*/ bitop3:0x40
	v_and_b32_e32 v15 /*v271*/, 0x1000, v22 /*v278*/
	v_ashrrev_i16 v16 /*v272*/, 8, v16 /*v272*/
	v_bfe_i32 v17 /*v273*/, v17 /*v273*/, 0, 8
	v_lshrrev_b32_e32 v22 /*v278*/, v5 /*v261*/, v32 /*v288*/
	s_set_vgpr_msb 4                        ;  msbs: dst=0 src0=0 src1=1 src2=0
	v_pk_mul_f16 v40, v40, v20 /*v276*/
	s_set_vgpr_msb 0x55                     ;  msbs: dst=1 src0=1 src1=1 src2=1
	v_or3_b32 v25 /*v281*/, v14 /*v270*/, v24 /*v280*/, v15 /*v271*/
	v_cvt_f16_i16_e64 v14 /*v270*/, v16 /*v272*/
	v_cvt_f16_i16_e64 v15 /*v271*/, v17 /*v273*/
	v_dual_lshlrev_b32 v16 /*v272*/, 20, v21 /*v277*/ :: v_dual_lshlrev_b32 v17 /*v273*/, 28, v22 /*v278*/
	s_delay_alu instid0(VALU_DEP_4)
	v_lshlrev_b16 v21 /*v277*/, 8, v25 /*v281*/
	s_set_vgpr_msb 0x54                     ;  msbs: dst=1 src0=0 src1=1 src2=1
	v_pk_fma_f16 v8 /*v264*/, v40, v23 /*v279*/, v8 /*v264*/
	s_set_vgpr_msb 0x45                     ;  msbs: dst=1 src0=1 src1=1 src2=0
	v_pack_b32_f16 v14 /*v270*/, v14 /*v270*/, v15 /*v271*/
	v_and_b32_e32 v15 /*v271*/, 0x100000, v16 /*v272*/
	v_and_b32_e32 v22 /*v278*/, 0x10000000, v17 /*v273*/
	s_set_vgpr_msb 0x41                     ;  msbs: dst=1 src0=1 src1=0 src2=0
	v_add_nc_u64_e32 v[16:17] /*v[272:273]*/, v[18:19] /*v[274:275]*/, v[230:231]
	v_add_nc_u64_e32 v[18:19] /*v[274:275]*/, s[10:11], v[184:185]
	s_set_vgpr_msb 0x44                     ;  msbs: dst=1 src0=0 src1=1 src2=0
	v_add_nc_u16 v21 /*v277*/, 0xf000, v21 /*v277*/
	s_set_vgpr_msb 5                        ;  msbs: dst=0 src0=1 src1=1 src2=0
	v_pk_mul_f16 v44, v14 /*v270*/, v20 /*v276*/
	s_set_vgpr_msb 0x55                     ;  msbs: dst=1 src0=1 src1=1 src2=1
	v_or3_b32 v22 /*v278*/, v24 /*v280*/, v15 /*v271*/, v22 /*v278*/
	s_set_vgpr_msb 0x50                     ;  msbs: dst=1 src0=0 src1=0 src2=1
	v_pk_fma_f16 v12 /*v268*/, v40, v133, v12 /*v268*/
	s_set_vgpr_msb 0                        ;  msbs: dst=0 src0=0 src1=0 src2=0
	v_and_b32_e32 v40, 0xffff, v45
	s_set_vgpr_msb 0x41                     ;  msbs: dst=1 src0=1 src1=0 src2=0
	v_add_nc_u64_e32 v[14:15] /*v[270:271]*/, v[16:17] /*v[272:273]*/, v[190:191]
	s_set_vgpr_msb 0x44                     ;  msbs: dst=1 src0=0 src1=1 src2=0
	v_lshrrev_b16 v24 /*v280*/, 8, v21 /*v277*/
	s_set_vgpr_msb 0x41                     ;  msbs: dst=1 src0=1 src1=0 src2=0
	v_add_nc_u64_e32 v[20:21] /*v[276:277]*/, v[18:19] /*v[274:275]*/, v[232:233]
	s_set_vgpr_msb 4                        ;  msbs: dst=0 src0=0 src1=1 src2=0
	v_lshrrev_b32_e32 v45, 16, v22 /*v278*/
	s_set_vgpr_msb 0x45                     ;  msbs: dst=1 src0=1 src1=1 src2=0
	s_clause 0x2
	global_load_b32 v32 /*v288*/, v[14:15] /*v[270:271]*/, off offset:6
	global_load_u16 v36 /*v292*/, v[20:21] /*v[276:277]*/, off
	global_load_b32 v39 /*v295*/, v[16:17] /*v[272:273]*/, off offset:2
	v_bitop3_b16 v22 /*v278*/, v25 /*v281*/, v24 /*v280*/, 0x1f00 bitop3:0xec
	s_wait_loadcnt 0xc
	s_wait_xcnt 0x2
	s_set_vgpr_msb 0x44                     ;  msbs: dst=1 src0=0 src1=1 src2=0
	v_lshrrev_b32_e32 v14 /*v270*/, v254, v47 /*v303*/
	s_set_vgpr_msb 0x45                     ;  msbs: dst=1 src0=1 src1=1 src2=0
	v_lshrrev_b32_e32 v15 /*v271*/, v3 /*v259*/, v47 /*v303*/
	s_set_vgpr_msb 0x54                     ;  msbs: dst=1 src0=0 src1=1 src2=1
	v_pk_fma_f16 v9 /*v265*/, v44, v23 /*v279*/, v9 /*v265*/
	s_set_vgpr_msb 0x50                     ;  msbs: dst=1 src0=0 src1=0 src2=1
	v_pk_fma_f16 v13 /*v269*/, v44, v133, v13 /*v269*/
	s_set_vgpr_msb 0                        ;  msbs: dst=0 src0=0 src1=0 src2=0
	v_mul_u32_u24_e32 v133, 0x10001, v40
	v_lshlrev_b16 v40, 8, v45
	v_and_b32_e32 v44, 0x1f00, v45
	s_set_vgpr_msb 4                        ;  msbs: dst=0 src0=0 src1=1 src2=0
	v_add_nc_u16 v45, 0xf000, v22 /*v278*/
	s_set_vgpr_msb 0x45                     ;  msbs: dst=1 src0=1 src1=1 src2=0
	v_ashrrev_i32_e32 v22 /*v278*/, v2 /*v258*/, v34 /*v290*/
	v_dual_lshlrev_b32 v14 /*v270*/, 4, v14 /*v270*/ :: v_dual_lshlrev_b32 v15 /*v271*/, 12, v15 /*v271*/
	v_lshrrev_b32_e32 v25 /*v281*/, v4 /*v260*/, v47 /*v303*/
	s_set_vgpr_msb 64                       ;  msbs: dst=1 src0=0 src1=0 src2=0
	v_lshrrev_b32_e32 v23 /*v279*/, 8, v45
	s_set_vgpr_msb 0x44                     ;  msbs: dst=1 src0=0 src1=1 src2=0
	v_and_b32_e32 v22 /*v278*/, 0xf0f0f0f, v22 /*v278*/
	v_and_b32_e32 v14 /*v270*/, 16, v14 /*v270*/
	;; [unrolled: 1-line block ×3, first 2 shown]
	s_set_vgpr_msb 0                        ;  msbs: dst=0 src0=0 src1=0 src2=0
	v_add_nc_u16 v44, 0xf000, v44
	v_bfe_i32 v45, v45, 0, 8
	s_set_vgpr_msb 0x41                     ;  msbs: dst=1 src0=1 src1=0 src2=0
	v_bfe_i32 v23 /*v279*/, v23 /*v279*/, 0, 8
	s_set_vgpr_msb 0x55                     ;  msbs: dst=1 src0=1 src1=1 src2=1
	v_lshlrev_b32_e32 v25 /*v281*/, 20, v25 /*v281*/
	v_or3_b32 v14 /*v270*/, v14 /*v270*/, v22 /*v278*/, v15 /*v271*/
	v_lshrrev_b32_e32 v15 /*v271*/, v5 /*v261*/, v47 /*v303*/
	s_set_vgpr_msb 0                        ;  msbs: dst=0 src0=0 src1=0 src2=0
	v_add_nc_u16 v40, 0xf000, v40
	v_lshrrev_b32_e32 v44, 8, v44
	v_cvt_f16_i16_e32 v45, v45
	s_set_vgpr_msb 0x44                     ;  msbs: dst=1 src0=0 src1=1 src2=0
	v_lshlrev_b16 v26 /*v282*/, 8, v14 /*v270*/
	v_lshlrev_b32_e32 v15 /*v271*/, 28, v15 /*v271*/
	s_set_vgpr_msb 0x41                     ;  msbs: dst=1 src0=1 src1=0 src2=0
	v_cvt_f16_i16_e64 v23 /*v279*/, v23 /*v279*/
	s_set_vgpr_msb 0x44                     ;  msbs: dst=1 src0=0 src1=1 src2=0
	v_and_b32_e32 v25 /*v281*/, 0x100000, v25 /*v281*/
	s_set_vgpr_msb 0                        ;  msbs: dst=0 src0=0 src1=0 src2=0
	v_ashrrev_i16 v40, 8, v40
	v_bfe_i32 v44, v44, 0, 8
	s_set_vgpr_msb 0x44                     ;  msbs: dst=1 src0=0 src1=1 src2=0
	v_and_b32_e32 v15 /*v271*/, 0x10000000, v15 /*v271*/
	v_add_nc_u16 v26 /*v282*/, 0xf000, v26 /*v282*/
	v_mul_u32_u24_e32 v24 /*v280*/, 0x10001, v29 /*v285*/
	s_set_vgpr_msb 4                        ;  msbs: dst=0 src0=0 src1=1 src2=0
	v_pack_b32_f16 v45, v45, v23 /*v279*/
	v_cvt_f16_i16_e32 v40, v40
	s_set_vgpr_msb 0x55                     ;  msbs: dst=1 src0=1 src1=1 src2=1
	v_or3_b32 v15 /*v271*/, v22 /*v278*/, v25 /*v281*/, v15 /*v271*/
	s_set_vgpr_msb 0                        ;  msbs: dst=0 src0=0 src1=0 src2=0
	v_cvt_f16_i16_e32 v44, v44
	s_set_vgpr_msb 0x44                     ;  msbs: dst=1 src0=0 src1=1 src2=0
	v_lshrrev_b16 v23 /*v279*/, 8, v26 /*v282*/
	v_pk_mul_f16 v22 /*v278*/, v45, v24 /*v280*/
	s_set_vgpr_msb 64                       ;  msbs: dst=1 src0=0 src1=0 src2=0
	v_mul_u32_u24_e32 v34 /*v290*/, 0x10001, v41
	s_set_vgpr_msb 4                        ;  msbs: dst=0 src0=0 src1=1 src2=0
	v_lshrrev_b32_e32 v45, 16, v15 /*v271*/
	s_set_vgpr_msb 0                        ;  msbs: dst=0 src0=0 src1=0 src2=0
	v_pack_b32_f16 v40, v40, v44
	s_set_vgpr_msb 5                        ;  msbs: dst=0 src0=1 src1=1 src2=0
	v_bitop3_b16 v44, v14 /*v270*/, v23 /*v279*/, 0x1f00 bitop3:0xec
	s_set_vgpr_msb 0x51                     ;  msbs: dst=1 src0=1 src1=0 src2=1
	v_pk_fma_f16 v14 /*v270*/, v22 /*v278*/, v133, v6 /*v262*/
	v_and_b32_e32 v25 /*v281*/, 0x1f00, v45
	s_set_vgpr_msb 0x44                     ;  msbs: dst=1 src0=0 src1=1 src2=0
	v_pk_mul_f16 v23 /*v279*/, v40, v24 /*v280*/
	s_set_vgpr_msb 1                        ;  msbs: dst=0 src0=1 src1=0 src2=0
	v_add_nc_u64_e32 v[40:41], v[20:21] /*v[276:277]*/, v[188:189]
	s_set_vgpr_msb 64                       ;  msbs: dst=1 src0=0 src1=0 src2=0
	v_add_nc_u16 v15 /*v271*/, 0xf000, v44
	v_lshlrev_b16 v24 /*v280*/, 8, v45
	s_set_vgpr_msb 1                        ;  msbs: dst=0 src0=1 src1=0 src2=0
	v_add_nc_u64_e32 v[44:45], v[18:19] /*v[274:275]*/, v[230:231]
	s_set_vgpr_msb 0x55                     ;  msbs: dst=1 src0=1 src1=1 src2=1
	v_pk_fma_f16 v18 /*v274*/, v22 /*v278*/, v34 /*v290*/, v10 /*v266*/
	v_add_nc_u16 v22 /*v278*/, 0xf000, v25 /*v281*/
	s_set_vgpr_msb 64                       ;  msbs: dst=1 src0=0 src1=0 src2=0
	s_clause 0x4
	global_load_b32 v40 /*v296*/, v[40:41], off offset:6
	global_load_u16 v41 /*v297*/, v[44:45], off
	s_set_vgpr_msb 0x41                     ;  msbs: dst=1 src0=1 src1=0 src2=0
	global_load_b32 v47 /*v303*/, v[20:21] /*v[276:277]*/, off offset:2
	global_load_u16 v50 /*v306*/, v[16:17] /*v[272:273]*/, off
	s_set_vgpr_msb 0x45                     ;  msbs: dst=1 src0=1 src1=1 src2=0
	v_add_nc_u16 v19 /*v275*/, 0xf000, v24 /*v280*/
	s_wait_xcnt 0x1
	v_dual_lshrrev_b32 v24 /*v280*/, 8, v15 /*v271*/ :: v_dual_lshrrev_b32 v20 /*v276*/, v3 /*v259*/, v45 /*v301*/
	s_set_vgpr_msb 4                        ;  msbs: dst=0 src0=0 src1=1 src2=0
	v_lshrrev_b32_e32 v40, 8, v22 /*v278*/
	s_set_vgpr_msb 0x41                     ;  msbs: dst=1 src0=1 src1=0 src2=0
	v_bfe_i32 v15 /*v271*/, v15 /*v271*/, 0, 8
	s_wait_xcnt 0x0
	s_set_vgpr_msb 0x44                     ;  msbs: dst=1 src0=0 src1=1 src2=0
	v_ashrrev_i16 v17 /*v273*/, 8, v19 /*v275*/
	s_set_vgpr_msb 1                        ;  msbs: dst=0 src0=1 src1=0 src2=0
	v_bfe_i32 v41, v24 /*v280*/, 0, 8
	s_set_vgpr_msb 0x44                     ;  msbs: dst=1 src0=0 src1=1 src2=0
	v_lshrrev_b32_e32 v19 /*v275*/, v254, v45 /*v301*/
	s_set_vgpr_msb 0                        ;  msbs: dst=0 src0=0 src1=0 src2=0
	v_bfe_i32 v40, v40, 0, 8
	s_set_vgpr_msb 0x41                     ;  msbs: dst=1 src0=1 src1=0 src2=0
	v_cvt_f16_i16_e64 v15 /*v271*/, v15 /*v271*/
	v_cvt_f16_i16_e64 v17 /*v273*/, v17 /*v273*/
	s_set_vgpr_msb 0                        ;  msbs: dst=0 src0=0 src1=0 src2=0
	v_cvt_f16_i16_e32 v41, v41
	s_set_vgpr_msb 0x44                     ;  msbs: dst=1 src0=0 src1=1 src2=0
	v_mul_u32_u24_e32 v16 /*v272*/, 0x10001, v31 /*v287*/
	s_set_vgpr_msb 0                        ;  msbs: dst=0 src0=0 src1=0 src2=0
	v_cvt_f16_i16_e32 v40, v40
	s_set_vgpr_msb 0x45                     ;  msbs: dst=1 src0=1 src1=1 src2=0
	v_ashrrev_i32_e32 v21 /*v277*/, v2 /*v258*/, v35 /*v291*/
	v_lshlrev_b32_e32 v19 /*v275*/, 4, v19 /*v275*/
	s_set_vgpr_msb 0x41                     ;  msbs: dst=1 src0=1 src1=0 src2=0
	v_pack_b32_f16 v22 /*v278*/, v15 /*v271*/, v41
	s_set_vgpr_msb 0x44                     ;  msbs: dst=1 src0=0 src1=1 src2=0
	v_lshlrev_b32_e32 v15 /*v271*/, 12, v20 /*v276*/
	s_set_vgpr_msb 0x41                     ;  msbs: dst=1 src0=1 src1=0 src2=0
	v_pack_b32_f16 v17 /*v273*/, v17 /*v273*/, v40
	s_set_vgpr_msb 0                        ;  msbs: dst=0 src0=0 src1=0 src2=0
	v_add_nc_u64_e32 v[40:41], s[10:11], v[186:187]
	s_set_vgpr_msb 0x45                     ;  msbs: dst=1 src0=1 src1=1 src2=0
	v_and_b32_e32 v31 /*v287*/, 0xf0f0f0f, v21 /*v277*/
	v_pk_mul_f16 v35 /*v291*/, v22 /*v278*/, v16 /*v272*/
	v_and_b32_e32 v21 /*v277*/, 0x1000, v15 /*v271*/
	s_set_vgpr_msb 0x51                     ;  msbs: dst=1 src0=1 src1=0 src2=1
	v_pk_fma_f16 v15 /*v271*/, v23 /*v279*/, v133, v7 /*v263*/
	s_set_vgpr_msb 0x55                     ;  msbs: dst=1 src0=1 src1=1 src2=1
	v_pk_mul_f16 v53 /*v309*/, v17 /*v273*/, v16 /*v272*/
	v_dual_lshrrev_b32 v17 /*v273*/, v4 /*v260*/, v45 /*v301*/ :: v_dual_bitop2_b32 v20 /*v276*/, 16, v19 /*v275*/ bitop3:0x40
	v_pk_fma_f16 v19 /*v275*/, v23 /*v279*/, v34 /*v290*/, v11 /*v267*/
	s_set_vgpr_msb 64                       ;  msbs: dst=1 src0=0 src1=0 src2=0
	v_add_nc_u64_e32 v[22:23] /*v[278:279]*/, v[40:41], v[232:233]
	s_set_vgpr_msb 0                        ;  msbs: dst=0 src0=0 src1=0 src2=0
	v_add_nc_u64_e32 v[40:41], v[40:41], v[230:231]
	s_set_vgpr_msb 64                       ;  msbs: dst=1 src0=0 src1=0 src2=0
	v_add_nc_u64_e32 v[24:25] /*v[280:281]*/, v[44:45], v[190:191]
	s_set_vgpr_msb 0x55                     ;  msbs: dst=1 src0=1 src1=1 src2=1
	v_or3_b32 v54 /*v310*/, v20 /*v276*/, v31 /*v287*/, v21 /*v277*/
	v_lshrrev_b32_e32 v21 /*v277*/, v5 /*v261*/, v45 /*v301*/
	s_set_vgpr_msb 0x51                     ;  msbs: dst=1 src0=1 src1=0 src2=1
	v_pk_fma_f16 v16 /*v272*/, v35 /*v291*/, v133, v8 /*v264*/
	s_set_vgpr_msb 0x55                     ;  msbs: dst=1 src0=1 src1=1 src2=1
	v_pk_fma_f16 v20 /*v276*/, v35 /*v291*/, v34 /*v290*/, v12 /*v268*/
	s_set_vgpr_msb 0x41                     ;  msbs: dst=1 src0=1 src1=0 src2=0
	v_add_nc_u64_e32 v[26:27] /*v[282:283]*/, v[22:23] /*v[278:279]*/, v[188:189]
	s_set_vgpr_msb 64                       ;  msbs: dst=1 src0=0 src1=0 src2=0
	v_add_nc_u64_e32 v[28:29] /*v[284:285]*/, v[40:41], v[190:191]
	s_set_vgpr_msb 0x41                     ;  msbs: dst=1 src0=1 src1=0 src2=0
	s_clause 0xa
	global_load_b32 v61 /*v317*/, v[24:25] /*v[280:281]*/, off offset:6
	global_load_b32 v62 /*v318*/, v[26:27] /*v[282:283]*/, off offset:6
	;; [unrolled: 1-line block ×3, first 2 shown]
	s_set_vgpr_msb 64                       ;  msbs: dst=1 src0=0 src1=0 src2=0
	global_load_b32 v64 /*v320*/, v[40:41], off offset:2
	global_load_u16 v65 /*v321*/, v[40:41], off
	s_set_vgpr_msb 0x41                     ;  msbs: dst=1 src0=1 src1=0 src2=0
	global_load_b32 v66 /*v322*/, v[22:23] /*v[278:279]*/, off offset:2
	global_load_u16 v67 /*v323*/, v[22:23] /*v[278:279]*/, off
	s_set_vgpr_msb 0x44                     ;  msbs: dst=1 src0=0 src1=1 src2=0
	global_load_b32 v68 /*v324*/, v[44:45], off offset:2
	v_lshlrev_b16 v45 /*v301*/, 8, v54 /*v310*/
	v_lshlrev_b32_e32 v35 /*v291*/, 20, v17 /*v273*/
	v_lshlrev_b32_e32 v21 /*v277*/, 28, v21 /*v277*/
	s_set_vgpr_msb 0x51                     ;  msbs: dst=1 src0=1 src1=0 src2=1
	v_pk_fma_f16 v17 /*v273*/, v53 /*v309*/, v133, v9 /*v265*/
	s_set_vgpr_msb 0x44                     ;  msbs: dst=1 src0=0 src1=1 src2=0
	ds_store_b128 v239, v[6:9] /*v[262:265]*/
	ds_store_b128 v239, v[10:13] /*v[266:269]*/ offset:16
	v_add_nc_u16 v45 /*v301*/, 0xf000, v45 /*v301*/
	s_set_vgpr_msb 0x45                     ;  msbs: dst=1 src0=1 src1=1 src2=0
	v_lshrrev_b32_e32 v9 /*v265*/, v4 /*v260*/, v43 /*v299*/
	s_wait_xcnt 0x3
	s_set_vgpr_msb 4                        ;  msbs: dst=0 src0=0 src1=1 src2=0
	v_and_b32_e32 v40, 0x100000, v35 /*v291*/
	s_set_vgpr_msb 0x45                     ;  msbs: dst=1 src0=1 src1=1 src2=0
	v_lshrrev_b32_e32 v10 /*v266*/, v5 /*v261*/, v43 /*v299*/
	s_set_vgpr_msb 5                        ;  msbs: dst=0 src0=1 src1=1 src2=0
	v_and_b32_e32 v41, 0x10000000, v21 /*v277*/
	s_wait_xcnt 0x0
	v_lshrrev_b16 v44, 8, v45 /*v301*/
	v_dual_lshrrev_b32 v45, v3 /*v259*/, v43 /*v299*/ :: v_dual_ashrrev_i32 v133, v2 /*v258*/, v37 /*v293*/
	s_set_vgpr_msb 0x44                     ;  msbs: dst=1 src0=0 src1=1 src2=0
	v_dual_lshlrev_b32 v9 /*v265*/, 20, v9 /*v265*/ :: v_dual_lshlrev_b32 v10 /*v266*/, 28, v10 /*v266*/
	s_set_vgpr_msb 1                        ;  msbs: dst=0 src0=1 src1=0 src2=0
	v_or3_b32 v40, v31 /*v287*/, v40, v41
	v_bitop3_b16 v41, v54 /*v310*/, v44, 0x1f00 bitop3:0xec
	s_set_vgpr_msb 4                        ;  msbs: dst=0 src0=0 src1=1 src2=0
	v_lshrrev_b32_e32 v44, v254, v43 /*v299*/
	s_set_vgpr_msb 0                        ;  msbs: dst=0 src0=0 src1=0 src2=0
	v_and_b32_e32 v133, 0xf0f0f0f, v133
	s_set_vgpr_msb 0x44                     ;  msbs: dst=1 src0=0 src1=1 src2=0
	v_and_b32_e32 v9 /*v265*/, 0x100000, v9 /*v265*/
	s_set_vgpr_msb 0                        ;  msbs: dst=0 src0=0 src1=0 src2=0
	v_lshrrev_b32_e32 v40, 16, v40
	v_add_nc_u16 v41, 0xf000, v41
	v_dual_lshlrev_b32 v44, 4, v44 :: v_dual_lshlrev_b32 v45, 12, v45
	s_set_vgpr_msb 0x44                     ;  msbs: dst=1 src0=0 src1=1 src2=0
	v_and_b32_e32 v10 /*v266*/, 0x10000000, v10 /*v266*/
	s_set_vgpr_msb 64                       ;  msbs: dst=1 src0=0 src1=0 src2=0
	v_lshlrev_b16 v6 /*v262*/, 8, v40
	v_lshrrev_b32_e32 v7 /*v263*/, 8, v41
	s_set_vgpr_msb 0                        ;  msbs: dst=0 src0=0 src1=0 src2=0
	v_and_b32_e32 v44, 16, v44
	v_and_b32_e32 v45, 0x1000, v45
	;; [unrolled: 1-line block ×3, first 2 shown]
	v_bfe_i32 v41, v41, 0, 8
	s_set_vgpr_msb 0x41                     ;  msbs: dst=1 src0=1 src1=0 src2=0
	v_bfe_i32 v7 /*v263*/, v7 /*v263*/, 0, 8
	s_set_vgpr_msb 0x44                     ;  msbs: dst=1 src0=0 src1=1 src2=0
	v_add_nc_u16 v6 /*v262*/, 0xf000, v6 /*v262*/
	s_set_vgpr_msb 0                        ;  msbs: dst=0 src0=0 src1=0 src2=0
	v_or3_b32 v44, v44, v133, v45
	v_add_nc_u16 v40, 0xf000, v40
	v_cvt_f16_i16_e32 v41, v41
	s_set_vgpr_msb 0x41                     ;  msbs: dst=1 src0=1 src1=0 src2=0
	v_cvt_f16_i16_e64 v7 /*v263*/, v7 /*v263*/
	s_set_vgpr_msb 20                       ;  msbs: dst=0 src0=0 src1=1 src2=1
	v_or3_b32 v133, v133, v9 /*v265*/, v10 /*v266*/
	s_set_vgpr_msb 64                       ;  msbs: dst=1 src0=0 src1=0 src2=0
	v_lshlrev_b16 v8 /*v264*/, 8, v44
	s_set_vgpr_msb 0                        ;  msbs: dst=0 src0=0 src1=0 src2=0
	v_lshrrev_b32_e32 v40, 8, v40
	s_set_vgpr_msb 4                        ;  msbs: dst=0 src0=0 src1=1 src2=0
	v_mul_u32_u24_e32 v45, 0x10001, v46 /*v302*/
	s_set_vgpr_msb 0x44                     ;  msbs: dst=1 src0=0 src1=1 src2=0
	v_ashrrev_i16 v6 /*v262*/, 8, v6 /*v262*/
	s_set_vgpr_msb 4                        ;  msbs: dst=0 src0=0 src1=1 src2=0
	v_pack_b32_f16 v41, v41, v7 /*v263*/
	s_set_vgpr_msb 0x44                     ;  msbs: dst=1 src0=0 src1=1 src2=0
	v_add_nc_u16 v8 /*v264*/, 0xf000, v8 /*v264*/
	s_set_vgpr_msb 0                        ;  msbs: dst=0 src0=0 src1=0 src2=0
	v_lshrrev_b32_e32 v133, 16, v133
	v_bfe_i32 v40, v40, 0, 8
	s_set_vgpr_msb 0x55                     ;  msbs: dst=1 src0=1 src1=1 src2=1
	v_pk_fma_f16 v21 /*v277*/, v53 /*v309*/, v34 /*v290*/, v13 /*v269*/
	v_cvt_f16_i16_e64 v6 /*v262*/, v6 /*v262*/
	v_lshrrev_b16 v8 /*v264*/, 8, v8 /*v264*/
	v_mul_u32_u24_e32 v13 /*v269*/, 0x10001, v42 /*v298*/
	s_set_vgpr_msb 0                        ;  msbs: dst=0 src0=0 src1=0 src2=0
	v_cvt_f16_i16_e32 v40, v40
	v_pk_mul_f16 v41, v41, v45
	s_set_vgpr_msb 0x44                     ;  msbs: dst=1 src0=0 src1=1 src2=0
	v_mul_u32_u24_e32 v22 /*v278*/, 0x10001, v51 /*v307*/
	s_set_vgpr_msb 4                        ;  msbs: dst=0 src0=0 src1=1 src2=0
	v_bitop3_b16 v44, v44, v8 /*v264*/, 0x1f00 bitop3:0xec
	s_set_vgpr_msb 0x44                     ;  msbs: dst=1 src0=0 src1=1 src2=0
	v_mul_u32_u24_e32 v8 /*v264*/, 0x10001, v44 /*v300*/
	s_set_vgpr_msb 1                        ;  msbs: dst=0 src0=1 src1=0 src2=0
	v_pack_b32_f16 v40, v6 /*v262*/, v40
	s_set_vgpr_msb 0x54                     ;  msbs: dst=1 src0=0 src1=1 src2=1
	v_pk_fma_f16 v6 /*v262*/, v41, v13 /*v269*/, v14 /*v270*/
	v_pk_fma_f16 v10 /*v266*/, v41, v22 /*v278*/, v18 /*v274*/
	s_set_vgpr_msb 0                        ;  msbs: dst=0 src0=0 src1=0 src2=0
	v_add_nc_u16 v44, 0xf000, v44
	v_lshlrev_b16 v41, 8, v133
	v_and_b32_e32 v133, 0x1f00, v133
	v_pk_mul_f16 v40, v40, v45
	s_wait_loadcnt 0x12
	s_set_vgpr_msb 0x45                     ;  msbs: dst=1 src0=1 src1=1 src2=0
	v_lshrrev_b32_e32 v11 /*v267*/, v3 /*v259*/, v60 /*v316*/
	s_set_vgpr_msb 0x44                     ;  msbs: dst=1 src0=0 src1=1 src2=0
	v_lshrrev_b32_e32 v9 /*v265*/, v254, v60 /*v316*/
	s_set_vgpr_msb 0                        ;  msbs: dst=0 src0=0 src1=0 src2=0
	v_add_nc_u16 v41, 0xf000, v41
	v_add_nc_u16 v133, 0xf000, v133
	v_lshrrev_b32_e32 v45, 8, v44
	v_bfe_i32 v44, v44, 0, 8
	s_set_vgpr_msb 0x44                     ;  msbs: dst=1 src0=0 src1=1 src2=0
	v_lshlrev_b32_e32 v11 /*v267*/, 12, v11 /*v267*/
	s_set_vgpr_msb 0                        ;  msbs: dst=0 src0=0 src1=0 src2=0
	v_ashrrev_i16 v41, 8, v41
	v_lshrrev_b32_e32 v133, 8, v133
	v_bfe_i32 v45, v45, 0, 8
	v_cvt_f16_i16_e32 v44, v44
	s_set_vgpr_msb 0x44                     ;  msbs: dst=1 src0=0 src1=1 src2=0
	v_lshlrev_b32_e32 v9 /*v265*/, 4, v9 /*v265*/
	s_set_vgpr_msb 4                        ;  msbs: dst=0 src0=0 src1=1 src2=0
	v_cvt_f16_i16_e32 v41, v41
	v_bfe_i32 v133, v133, 0, 8
	v_cvt_f16_i16_e32 v45, v45
	ds_store_b128 v239, v[14:17] /*v[270:273]*/
	ds_store_b128 v239, v[18:21] /*v[274:277]*/ offset:16
	s_set_vgpr_msb 0x45                     ;  msbs: dst=1 src0=1 src1=1 src2=0
	v_dual_lshrrev_b32 v12 /*v268*/, v4 /*v260*/, v60 /*v316*/ :: v_dual_bitop2_b32 v9 /*v265*/, 16, v9 /*v265*/ bitop3:0x40
	s_set_vgpr_msb 0                        ;  msbs: dst=0 src0=0 src1=0 src2=0
	v_cvt_f16_i16_e64 v133, v133
	v_pack_b32_f16 v44, v44, v45
	s_set_vgpr_msb 5                        ;  msbs: dst=0 src0=1 src1=1 src2=0
	v_ashrrev_i32_e32 v45, v2 /*v258*/, v55 /*v311*/
	s_set_vgpr_msb 0x45                     ;  msbs: dst=1 src0=1 src1=1 src2=0
	v_and_b32_e32 v11 /*v267*/, 0x1000, v11 /*v267*/
	v_lshrrev_b32_e32 v14 /*v270*/, v5 /*v261*/, v60 /*v316*/
	s_set_vgpr_msb 0                        ;  msbs: dst=0 src0=0 src1=0 src2=0
	v_pack_b32_f16 v41, v41, v133
	s_set_vgpr_msb 4                        ;  msbs: dst=0 src0=0 src1=1 src2=0
	v_pk_mul_f16 v44, v44, v8 /*v264*/
	s_set_vgpr_msb 0                        ;  msbs: dst=0 src0=0 src1=0 src2=0
	v_and_b32_e32 v45, 0xf0f0f0f, v45
	s_set_vgpr_msb 0x54                     ;  msbs: dst=1 src0=0 src1=1 src2=1
	v_pk_fma_f16 v7 /*v263*/, v40, v13 /*v269*/, v15 /*v271*/
	v_mul_u32_u24_e32 v26 /*v282*/, 0x10001, v59 /*v315*/
	s_wait_dscnt 0x6
	s_set_vgpr_msb 0x51                     ;  msbs: dst=1 src0=1 src1=0 src2=1
	v_dual_lshrrev_b32 v44 /*v300*/, 16, v32 :: v_dual_lshrrev_b32 v45 /*v301*/, 16, v33
	v_or3_b32 v15 /*v271*/, v9 /*v265*/, v45, v11 /*v267*/
	s_set_vgpr_msb 0x54                     ;  msbs: dst=1 src0=0 src1=1 src2=1
	v_pk_fma_f16 v11 /*v267*/, v40, v22 /*v278*/, v19 /*v275*/
	s_set_vgpr_msb 4                        ;  msbs: dst=0 src0=0 src1=1 src2=0
	v_pk_mul_f16 v40, v41, v8 /*v264*/
	s_set_vgpr_msb 0x54                     ;  msbs: dst=1 src0=0 src1=1 src2=1
	v_pk_fma_f16 v8 /*v264*/, v44, v13 /*v269*/, v16 /*v272*/
	s_set_vgpr_msb 0x45                     ;  msbs: dst=1 src0=1 src1=1 src2=0
	v_dual_lshrrev_b32 v16 /*v272*/, v4 /*v260*/, v58 /*v314*/ :: v_dual_lshlrev_b32 v12 /*v268*/, 20, v12 /*v268*/
	v_lshlrev_b32_e32 v9 /*v265*/, 28, v14 /*v270*/
	s_set_vgpr_msb 0                        ;  msbs: dst=0 src0=0 src1=0 src2=0
	v_and_b32_e32 v32, 0xffff, v32
	v_and_b32_e32 v33, 0xffff, v33
	s_set_vgpr_msb 4                        ;  msbs: dst=0 src0=0 src1=1 src2=0
	v_and_b32_e32 v133, 0x100000, v12 /*v268*/
	s_set_vgpr_msb 0x44                     ;  msbs: dst=1 src0=0 src1=1 src2=0
	v_lshlrev_b16 v12 /*v268*/, 8, v15 /*v271*/
	v_and_b32_e32 v9 /*v265*/, 0x10000000, v9 /*v265*/
	s_set_vgpr_msb 0                        ;  msbs: dst=0 src0=0 src1=0 src2=0
	v_mul_u32_u24_e32 v32, 0x10001, v32
	s_set_vgpr_msb 4                        ;  msbs: dst=0 src0=0 src1=1 src2=0
	v_add_nc_u16 v41, 0xf000, v12 /*v268*/
	s_set_vgpr_msb 16                       ;  msbs: dst=0 src0=0 src1=0 src2=1
	v_or3_b32 v45, v45, v133, v9 /*v265*/
	s_set_vgpr_msb 0x54                     ;  msbs: dst=1 src0=0 src1=1 src2=1
	v_pk_fma_f16 v9 /*v265*/, v40, v13 /*v269*/, v17 /*v273*/
	v_pk_fma_f16 v13 /*v269*/, v40, v22 /*v278*/, v21 /*v277*/
	;; [unrolled: 1-line block ×3, first 2 shown]
	s_set_vgpr_msb 0                        ;  msbs: dst=0 src0=0 src1=0 src2=0
	v_lshrrev_b16 v40, 8, v41
	v_lshrrev_b32_e32 v41, 16, v45
	v_and_b32_e32 v44, 0xffff, v46
	s_set_vgpr_msb 5                        ;  msbs: dst=0 src0=1 src1=1 src2=0
	v_lshrrev_b32_e32 v133, v3 /*v259*/, v58 /*v314*/
	s_set_vgpr_msb 0x45                     ;  msbs: dst=1 src0=1 src1=1 src2=0
	v_lshrrev_b32_e32 v17 /*v273*/, v5 /*v261*/, v58 /*v314*/
	s_set_vgpr_msb 1                        ;  msbs: dst=0 src0=1 src1=0 src2=0
	v_bitop3_b16 v40, v15 /*v271*/, v40, 0x1f00 bitop3:0xec
	v_lshlrev_b16 v45, 8, v41
	v_mul_u32_u24_e32 v46, 0x10001, v44
	s_set_vgpr_msb 0x45                     ;  msbs: dst=1 src0=1 src1=1 src2=0
	v_ashrrev_i32_e32 v15 /*v271*/, v2 /*v258*/, v56 /*v312*/
	s_set_vgpr_msb 0                        ;  msbs: dst=0 src0=0 src1=0 src2=0
	v_lshlrev_b32_e32 v133, 12, v133
	v_add_nc_u16 v40, 0xf000, v40
	v_add_nc_u16 v44, 0xf000, v45
	s_set_vgpr_msb 4                        ;  msbs: dst=0 src0=0 src1=1 src2=0
	v_lshrrev_b32_e32 v45, v254, v58 /*v314*/
	s_set_vgpr_msb 0x44                     ;  msbs: dst=1 src0=0 src1=1 src2=0
	v_and_b32_e32 v15 /*v271*/, 0xf0f0f0f, v15 /*v271*/
	s_set_vgpr_msb 0                        ;  msbs: dst=0 src0=0 src1=0 src2=0
	v_and_b32_e32 v133, 0x1000, v133
	s_set_vgpr_msb 64                       ;  msbs: dst=1 src0=0 src1=0 src2=0
	v_lshrrev_b32_e32 v14 /*v270*/, 8, v40
	s_set_vgpr_msb 0                        ;  msbs: dst=0 src0=0 src1=0 src2=0
	v_bfe_i32 v40, v40, 0, 8
	v_lshlrev_b32_e32 v45, 4, v45
	v_and_b32_e32 v41, 0x1f00, v41
	v_ashrrev_i16 v44, 8, v44
	s_set_vgpr_msb 0x41                     ;  msbs: dst=1 src0=1 src1=0 src2=0
	v_bfe_i32 v14 /*v270*/, v14 /*v270*/, 0, 8
	s_set_vgpr_msb 0                        ;  msbs: dst=0 src0=0 src1=0 src2=0
	v_cvt_f16_i16_e32 v40, v40
	v_and_b32_e32 v45, 16, v45
	v_add_nc_u16 v41, 0xf000, v41
	v_cvt_f16_i16_e32 v44, v44
	s_set_vgpr_msb 0x41                     ;  msbs: dst=1 src0=1 src1=0 src2=0
	v_cvt_f16_i16_e64 v14 /*v270*/, v14 /*v270*/
	s_wait_loadcnt 0x11
	s_set_vgpr_msb 0x44                     ;  msbs: dst=1 src0=0 src1=1 src2=0
	v_lshrrev_b32_e32 v27 /*v283*/, v254, v30 /*v286*/
	s_set_vgpr_msb 4                        ;  msbs: dst=0 src0=0 src1=1 src2=0
	v_or3_b32 v45, v45, v15 /*v271*/, v133
	s_set_vgpr_msb 0                        ;  msbs: dst=0 src0=0 src1=0 src2=0
	v_lshrrev_b32_e32 v41, 8, v41
	s_set_vgpr_msb 4                        ;  msbs: dst=0 src0=0 src1=1 src2=0
	v_lshlrev_b32_e32 v133, 20, v16 /*v272*/
	s_set_vgpr_msb 0x44                     ;  msbs: dst=1 src0=0 src1=1 src2=0
	v_lshlrev_b32_e32 v16 /*v272*/, 28, v17 /*v273*/
	s_wait_loadcnt 0x10
	v_mul_u32_u24_e32 v18 /*v274*/, 0x10001, v38 /*v294*/
	s_set_vgpr_msb 64                       ;  msbs: dst=1 src0=0 src1=0 src2=0
	v_lshlrev_b16 v17 /*v273*/, 8, v45
	s_set_vgpr_msb 0                        ;  msbs: dst=0 src0=0 src1=0 src2=0
	v_bfe_i32 v41, v41, 0, 8
	v_and_b32_e32 v133, 0x100000, v133
	s_set_vgpr_msb 0x44                     ;  msbs: dst=1 src0=0 src1=1 src2=0
	v_and_b32_e32 v16 /*v272*/, 0x10000000, v16 /*v272*/
	s_set_vgpr_msb 4                        ;  msbs: dst=0 src0=0 src1=1 src2=0
	v_pack_b32_f16 v40, v40, v14 /*v270*/
	s_set_vgpr_msb 0x44                     ;  msbs: dst=1 src0=0 src1=1 src2=0
	v_add_nc_u16 v17 /*v273*/, 0xf000, v17 /*v273*/
	s_set_vgpr_msb 4                        ;  msbs: dst=0 src0=0 src1=1 src2=0
	v_cvt_f16_i16_e32 v41, v41
	ds_store_b128 v239, v[6:9] /*v[262:265]*/
	ds_store_b128 v239, v[10:13] /*v[266:269]*/ offset:16
	s_set_vgpr_msb 64                       ;  msbs: dst=1 src0=0 src1=0 src2=0
	v_add_nc_u64_e32 v[22:23] /*v[278:279]*/, s[10:11], v[194:195]
	s_set_vgpr_msb 0x44                     ;  msbs: dst=1 src0=0 src1=1 src2=0
	v_pk_mul_f16 v14 /*v270*/, v40, v18 /*v274*/
	s_set_vgpr_msb 0                        ;  msbs: dst=0 src0=0 src1=0 src2=0
	v_pack_b32_f16 v41, v44, v41
	s_set_vgpr_msb 17                       ;  msbs: dst=0 src0=1 src1=0 src2=1
	v_or3_b32 v44, v15 /*v271*/, v133, v16 /*v272*/
	s_set_vgpr_msb 4                        ;  msbs: dst=0 src0=0 src1=1 src2=0
	v_lshrrev_b16 v133, 8, v17 /*v273*/
	s_set_vgpr_msb 0x51                     ;  msbs: dst=1 src0=1 src1=0 src2=1
	v_pk_fma_f16 v6 /*v262*/, v14 /*v270*/, v46, v6 /*v262*/
	v_pk_fma_f16 v10 /*v266*/, v14 /*v270*/, v42, v10 /*v266*/
	s_set_vgpr_msb 0x44                     ;  msbs: dst=1 src0=0 src1=1 src2=0
	v_pk_mul_f16 v18 /*v274*/, v41, v18 /*v274*/
	s_set_vgpr_msb 0                        ;  msbs: dst=0 src0=0 src1=0 src2=0
	v_add_nc_u64_e32 v[40:41], s[10:11], v[192:193]
	v_lshrrev_b32_e32 v44, 16, v44
	v_bitop3_b16 v45, v45, v133, 0x1f00 bitop3:0xec
	s_set_vgpr_msb 0x51                     ;  msbs: dst=1 src0=1 src1=0 src2=1
	v_add_nc_u64_e32 v[20:21] /*v[276:277]*/, v[22:23] /*v[278:279]*/, v[232:233]
	v_pk_fma_f16 v7 /*v263*/, v18 /*v274*/, v46, v7 /*v263*/
	v_pk_fma_f16 v11 /*v267*/, v18 /*v274*/, v42, v11 /*v267*/
	v_lshlrev_b16 v14 /*v270*/, 8, v44
	s_set_vgpr_msb 0                        ;  msbs: dst=0 src0=0 src1=0 src2=0
	v_add_nc_u16 v133, 0xf000, v45
	s_set_vgpr_msb 64                       ;  msbs: dst=1 src0=0 src1=0 src2=0
	v_and_b32_e32 v15 /*v271*/, 0x1f00, v44
	s_set_vgpr_msb 0                        ;  msbs: dst=0 src0=0 src1=0 src2=0
	v_add_nc_u64_e32 v[44:45], v[40:41], v[232:233]
	v_add_nc_u64_e32 v[40:41], v[40:41], v[230:231]
	s_set_vgpr_msb 0x44                     ;  msbs: dst=1 src0=0 src1=1 src2=0
	v_add_nc_u16 v19 /*v275*/, 0xf000, v14 /*v270*/
	s_set_vgpr_msb 64                       ;  msbs: dst=1 src0=0 src1=0 src2=0
	v_lshrrev_b32_e32 v25 /*v281*/, 8, v133
	s_set_vgpr_msb 0x44                     ;  msbs: dst=1 src0=0 src1=1 src2=0
	v_add_nc_u16 v24 /*v280*/, 0xf000, v15 /*v271*/
	s_set_vgpr_msb 0                        ;  msbs: dst=0 src0=0 src1=0 src2=0
	v_bfe_i32 v133, v133, 0, 8
	s_set_vgpr_msb 0x45                     ;  msbs: dst=1 src0=1 src1=1 src2=0
	v_lshrrev_b32_e32 v28 /*v284*/, v3 /*v259*/, v30 /*v286*/
	s_set_vgpr_msb 64                       ;  msbs: dst=1 src0=0 src1=0 src2=0
	v_add_nc_u64_e32 v[14:15] /*v[270:271]*/, v[44:45], v[188:189]
	v_add_nc_u64_e32 v[16:17] /*v[272:273]*/, v[40:41], v[190:191]
	s_set_vgpr_msb 0x41                     ;  msbs: dst=1 src0=1 src1=0 src2=0
	s_clause 0x6
	global_load_b32 v29 /*v285*/, v[14:15] /*v[270:271]*/, off offset:6
	global_load_b32 v31 /*v287*/, v[16:17] /*v[272:273]*/, off offset:6
	global_load_u16 v34 /*v290*/, v[20:21] /*v[276:277]*/, off
	s_set_vgpr_msb 64                       ;  msbs: dst=1 src0=0 src1=0 src2=0
	global_load_b32 v35 /*v291*/, v[40:41], off offset:2
	global_load_u16 v37 /*v293*/, v[40:41], off
	global_load_b32 v38 /*v294*/, v[44:45], off offset:2
	s_wait_xcnt 0x1
	s_set_vgpr_msb 0                        ;  msbs: dst=0 src0=0 src1=0 src2=0
	v_cvt_f16_i16_e64 v40, v133
	s_wait_loadcnt 0x15
	s_set_vgpr_msb 5                        ;  msbs: dst=0 src0=1 src1=1 src2=0
	v_dual_ashrrev_i32 v41, v2 /*v258*/, v33 /*v289*/ :: v_dual_lshlrev_b32 v133, 4, v27 /*v283*/
	s_set_vgpr_msb 0x44                     ;  msbs: dst=1 src0=0 src1=1 src2=0
	v_lshrrev_b32_e32 v16 /*v272*/, 8, v24 /*v280*/
	v_lshlrev_b32_e32 v14 /*v270*/, 12, v28 /*v284*/
	s_set_vgpr_msb 0x41                     ;  msbs: dst=1 src0=1 src1=0 src2=0
	v_bfe_i32 v25 /*v281*/, v25 /*v281*/, 0, 8
	s_set_vgpr_msb 0                        ;  msbs: dst=0 src0=0 src1=0 src2=0
	v_and_b32_e32 v41, 0xf0f0f0f, v41
	v_and_b32_e32 v133, 16, v133
	s_set_vgpr_msb 0x44                     ;  msbs: dst=1 src0=0 src1=1 src2=0
	v_ashrrev_i16 v17 /*v273*/, 8, v19 /*v275*/
	s_set_vgpr_msb 0x45                     ;  msbs: dst=1 src0=1 src1=1 src2=0
	v_bfe_i32 v16 /*v272*/, v16 /*v272*/, 0, 8
	v_lshrrev_b32_e32 v19 /*v275*/, v4 /*v260*/, v30 /*v286*/
	v_and_b32_e32 v14 /*v270*/, 0x1000, v14 /*v270*/
	v_cvt_f16_i16_e64 v15 /*v271*/, v25 /*v281*/
	v_lshrrev_b32_e32 v24 /*v280*/, v5 /*v261*/, v30 /*v286*/
	v_cvt_f16_i16_e64 v16 /*v272*/, v16 /*v272*/
	s_set_vgpr_msb 16                       ;  msbs: dst=0 src0=0 src1=0 src2=1
	v_or3_b32 v133, v133, v41, v14 /*v270*/
	s_set_vgpr_msb 0x41                     ;  msbs: dst=1 src0=1 src1=0 src2=0
	v_cvt_f16_i16_e64 v14 /*v270*/, v17 /*v273*/
	s_set_vgpr_msb 4                        ;  msbs: dst=0 src0=0 src1=1 src2=0
	v_pack_b32_f16 v40, v40, v15 /*v271*/
	s_set_vgpr_msb 0x44                     ;  msbs: dst=1 src0=0 src1=1 src2=0
	v_dual_lshlrev_b32 v17 /*v273*/, 20, v19 /*v275*/ :: v_dual_lshlrev_b32 v19 /*v275*/, 28, v24 /*v280*/
	s_set_vgpr_msb 64                       ;  msbs: dst=1 src0=0 src1=0 src2=0
	v_lshlrev_b16 v24 /*v280*/, 8, v133
	s_set_vgpr_msb 0x45                     ;  msbs: dst=1 src0=1 src1=1 src2=0
	v_pack_b32_f16 v14 /*v270*/, v14 /*v270*/, v16 /*v272*/
	s_set_vgpr_msb 4                        ;  msbs: dst=0 src0=0 src1=1 src2=0
	v_pk_mul_f16 v40, v40, v26 /*v282*/
	s_set_vgpr_msb 0x45                     ;  msbs: dst=1 src0=1 src1=1 src2=0
	v_and_b32_e32 v15 /*v271*/, 0x100000, v17 /*v273*/
	v_and_b32_e32 v16 /*v272*/, 0x10000000, v19 /*v275*/
	v_add_nc_u16 v17 /*v273*/, 0xf000, v24 /*v280*/
	v_pk_mul_f16 v14 /*v270*/, v14 /*v270*/, v26 /*v282*/
	s_set_vgpr_msb 0x50                     ;  msbs: dst=1 src0=0 src1=0 src2=1
	v_pk_fma_f16 v8 /*v264*/, v40, v46, v8 /*v264*/
	v_pk_fma_f16 v12 /*v268*/, v40, v42, v12 /*v268*/
	s_set_vgpr_msb 20                       ;  msbs: dst=0 src0=0 src1=1 src2=1
	v_or3_b32 v41, v41, v15 /*v271*/, v16 /*v272*/
	s_set_vgpr_msb 0x44                     ;  msbs: dst=1 src0=0 src1=1 src2=0
	v_lshrrev_b16 v15 /*v271*/, 8, v17 /*v273*/
	s_set_vgpr_msb 0x51                     ;  msbs: dst=1 src0=1 src1=0 src2=1
	v_pk_fma_f16 v9 /*v265*/, v14 /*v270*/, v46, v9 /*v265*/
	v_pk_fma_f16 v13 /*v269*/, v14 /*v270*/, v42, v13 /*v269*/
	s_wait_loadcnt 0x12
	s_set_vgpr_msb 4                        ;  msbs: dst=0 src0=0 src1=1 src2=0
	v_lshrrev_b32_e32 v42, v254, v39 /*v295*/
	s_set_vgpr_msb 5                        ;  msbs: dst=0 src0=1 src1=1 src2=0
	v_lshrrev_b32_e32 v46, v3 /*v259*/, v39 /*v295*/
	s_set_vgpr_msb 0x45                     ;  msbs: dst=1 src0=1 src1=1 src2=0
	v_dual_ashrrev_i32 v14 /*v270*/, v2 /*v258*/, v32 /*v288*/ :: v_dual_lshrrev_b32 v17 /*v273*/, v5 /*v261*/, v39 /*v295*/
	s_clause 0x2
	global_load_b32 v24 /*v280*/, v[20:21] /*v[276:277]*/, off offset:2
	s_set_vgpr_msb 64                       ;  msbs: dst=1 src0=0 src1=0 src2=0
	global_load_u16 v25 /*v281*/, v[44:45], off
	s_set_vgpr_msb 0                        ;  msbs: dst=0 src0=0 src1=0 src2=0
	v_lshlrev_b32_e32 v42, 4, v42
	v_dual_lshlrev_b32 v46, 12, v46 :: v_dual_lshrrev_b32 v40, 16, v41
	s_set_vgpr_msb 4                        ;  msbs: dst=0 src0=0 src1=1 src2=0
	v_bitop3_b16 v41, v133, v15 /*v271*/, 0x1f00 bitop3:0xec
	s_set_vgpr_msb 0x44                     ;  msbs: dst=1 src0=0 src1=1 src2=0
	v_and_b32_e32 v14 /*v270*/, 0xf0f0f0f, v14 /*v270*/
	s_set_vgpr_msb 0                        ;  msbs: dst=0 src0=0 src1=0 src2=0
	v_and_b32_e32 v42, 16, v42
	v_and_b32_e32 v46, 0x1000, v46
	v_lshlrev_b16 v133, 8, v40
	v_add_nc_u16 v41, 0xf000, v41
	v_and_b32_e32 v40, 0x1f00, v40
	s_set_vgpr_msb 0x44                     ;  msbs: dst=1 src0=0 src1=1 src2=0
	v_lshlrev_b32_e32 v17 /*v273*/, 28, v17 /*v273*/
	s_set_vgpr_msb 4                        ;  msbs: dst=0 src0=0 src1=1 src2=0
	v_or3_b32 v42, v42, v14 /*v270*/, v46
	s_set_vgpr_msb 0                        ;  msbs: dst=0 src0=0 src1=0 src2=0
	v_add_nc_u16 v133, 0xf000, v133
	s_set_vgpr_msb 64                       ;  msbs: dst=1 src0=0 src1=0 src2=0
	v_lshrrev_b32_e32 v15 /*v271*/, 8, v41
	s_set_vgpr_msb 0                        ;  msbs: dst=0 src0=0 src1=0 src2=0
	v_add_nc_u16 v40, 0xf000, v40
	v_bfe_i32 v41, v41, 0, 8
	s_set_vgpr_msb 64                       ;  msbs: dst=1 src0=0 src1=0 src2=0
	v_lshlrev_b16 v18 /*v274*/, 8, v42
	s_set_vgpr_msb 1                        ;  msbs: dst=0 src0=1 src1=0 src2=0
	v_ashrrev_i16 v133, 8, v133
	v_bfe_i32 v46, v15 /*v271*/, 0, 8
	s_set_vgpr_msb 0x45                     ;  msbs: dst=1 src0=1 src1=1 src2=0
	v_lshrrev_b32_e32 v15 /*v271*/, v4 /*v260*/, v39 /*v295*/
	s_set_vgpr_msb 0                        ;  msbs: dst=0 src0=0 src1=0 src2=0
	v_lshrrev_b32_e32 v40, 8, v40
	s_set_vgpr_msb 0x44                     ;  msbs: dst=1 src0=0 src1=1 src2=0
	v_add_nc_u16 v18 /*v274*/, 0xf000, v18 /*v274*/
	s_set_vgpr_msb 0                        ;  msbs: dst=0 src0=0 src1=0 src2=0
	v_cvt_f16_i16_e32 v41, v41
	v_cvt_f16_i16_e32 v46, v46
	s_set_vgpr_msb 0x44                     ;  msbs: dst=1 src0=0 src1=1 src2=0
	v_lshlrev_b32_e32 v15 /*v271*/, 20, v15 /*v271*/
	s_set_vgpr_msb 0                        ;  msbs: dst=0 src0=0 src1=0 src2=0
	v_bfe_i32 v40, v40, 0, 8
	s_set_vgpr_msb 0x44                     ;  msbs: dst=1 src0=0 src1=1 src2=0
	v_lshrrev_b16 v18 /*v274*/, 8, v18 /*v274*/
	v_and_b32_e32 v17 /*v273*/, 0x10000000, v17 /*v273*/
	v_mul_u32_u24_e32 v16 /*v272*/, 0x10001, v57 /*v313*/
	v_and_b32_e32 v15 /*v271*/, 0x100000, v15 /*v271*/
	s_set_vgpr_msb 0                        ;  msbs: dst=0 src0=0 src1=0 src2=0
	v_pack_b32_f16 v41, v41, v46
	s_set_vgpr_msb 4                        ;  msbs: dst=0 src0=0 src1=1 src2=0
	v_bitop3_b16 v42, v42, v18 /*v274*/, 0x1f00 bitop3:0xec
	v_cvt_f16_i16_e64 v46, v133
	v_cvt_f16_i16_e32 v40, v40
	s_set_vgpr_msb 21                       ;  msbs: dst=0 src0=1 src1=1 src2=1
	v_or3_b32 v133, v14 /*v270*/, v15 /*v271*/, v17 /*v273*/
	s_wait_xcnt 0x0
	v_mul_u32_u24_e32 v44, 0x10001, v48 /*v304*/
	s_set_vgpr_msb 0                        ;  msbs: dst=0 src0=0 src1=0 src2=0
	v_add_nc_u16 v42, 0xf000, v42
	s_set_vgpr_msb 4                        ;  msbs: dst=0 src0=0 src1=1 src2=0
	v_pk_mul_f16 v41, v41, v16 /*v272*/
	s_set_vgpr_msb 0                        ;  msbs: dst=0 src0=0 src1=0 src2=0
	v_pack_b32_f16 v40, v46, v40
	v_lshrrev_b32_e32 v45, 16, v133
	s_set_vgpr_msb 4                        ;  msbs: dst=0 src0=0 src1=1 src2=0
	v_mul_u32_u24_e32 v46, 0x10001, v52 /*v308*/
	s_set_vgpr_msb 0                        ;  msbs: dst=0 src0=0 src1=0 src2=0
	v_lshrrev_b32_e32 v133, 8, v42
	s_set_vgpr_msb 0x50                     ;  msbs: dst=1 src0=0 src1=0 src2=1
	v_pk_fma_f16 v14 /*v270*/, v41, v44, v6 /*v262*/
	s_set_vgpr_msb 4                        ;  msbs: dst=0 src0=0 src1=1 src2=0
	v_pk_mul_f16 v40, v40, v16 /*v272*/
	s_set_vgpr_msb 0x50                     ;  msbs: dst=1 src0=0 src1=0 src2=1
	v_and_b32_e32 v16 /*v272*/, 0x1f00, v45
	v_pk_fma_f16 v18 /*v274*/, v41, v46, v10 /*v266*/
	s_set_vgpr_msb 0                        ;  msbs: dst=0 src0=0 src1=0 src2=0
	v_bfe_i32 v41, v42, 0, 8
	v_bfe_i32 v42, v133, 0, 8
	v_lshlrev_b16 v45, 8, v45
	s_set_vgpr_msb 4                        ;  msbs: dst=0 src0=0 src1=1 src2=0
	v_add_nc_u16 v133, 0xf000, v16 /*v272*/
	s_set_vgpr_msb 0x50                     ;  msbs: dst=1 src0=0 src1=0 src2=1
	v_pk_fma_f16 v15 /*v271*/, v40, v44, v7 /*v263*/
	s_set_vgpr_msb 0                        ;  msbs: dst=0 src0=0 src1=0 src2=0
	v_cvt_f16_i16_e32 v41, v41
	v_cvt_f16_i16_e32 v42, v42
	s_set_vgpr_msb 0x50                     ;  msbs: dst=1 src0=0 src1=0 src2=1
	v_pk_fma_f16 v19 /*v275*/, v40, v46, v11 /*v267*/
	s_set_vgpr_msb 0                        ;  msbs: dst=0 src0=0 src1=0 src2=0
	v_lshrrev_b32_e32 v40, 8, v133
	v_add_nc_u16 v45, 0xf000, v45
	s_wait_loadcnt 0x11
	s_set_vgpr_msb 0x45                     ;  msbs: dst=1 src0=1 src1=1 src2=0
	v_dual_lshrrev_b32 v17 /*v273*/, v3 /*v259*/, v47 /*v303*/ :: v_dual_ashrrev_i32 v26 /*v282*/, v2 /*v258*/, v40 /*v296*/
	s_set_vgpr_msb 0                        ;  msbs: dst=0 src0=0 src1=0 src2=0
	v_pack_b32_f16 v42, v41, v42
	s_set_vgpr_msb 4                        ;  msbs: dst=0 src0=0 src1=1 src2=0
	v_lshrrev_b32_e32 v41, v254, v47 /*v303*/
	s_set_vgpr_msb 64                       ;  msbs: dst=1 src0=0 src1=0 src2=0
	v_bfe_i32 v16 /*v272*/, v40, 0, 8
	s_set_vgpr_msb 0                        ;  msbs: dst=0 src0=0 src1=0 src2=0
	v_ashrrev_i16 v45, 8, v45
	s_wait_loadcnt 0x10
	s_set_vgpr_msb 4                        ;  msbs: dst=0 src0=0 src1=1 src2=0
	v_mul_u32_u24_e32 v133, 0x10001, v50 /*v306*/
	s_set_vgpr_msb 0x44                     ;  msbs: dst=1 src0=0 src1=1 src2=0
	v_and_b32_e32 v26 /*v282*/, 0xf0f0f0f, v26 /*v282*/
	s_set_vgpr_msb 64                       ;  msbs: dst=1 src0=0 src1=0 src2=0
	v_lshlrev_b32_e32 v27 /*v283*/, 4, v41
	s_set_vgpr_msb 1                        ;  msbs: dst=0 src0=1 src1=0 src2=0
	v_add_nc_u64_e32 v[40:41], v[20:21] /*v[276:277]*/, v[188:189]
	s_set_vgpr_msb 0x44                     ;  msbs: dst=1 src0=0 src1=1 src2=0
	v_lshlrev_b32_e32 v17 /*v273*/, 12, v17 /*v273*/
	s_set_vgpr_msb 0                        ;  msbs: dst=0 src0=0 src1=0 src2=0
	v_cvt_f16_i16_e32 v45, v45
	s_set_vgpr_msb 0x41                     ;  msbs: dst=1 src0=1 src1=0 src2=0
	v_cvt_f16_i16_e64 v16 /*v272*/, v16 /*v272*/
	s_set_vgpr_msb 0x44                     ;  msbs: dst=1 src0=0 src1=1 src2=0
	v_and_b32_e32 v20 /*v276*/, 16, v27 /*v283*/
	v_and_b32_e32 v17 /*v273*/, 0x1000, v17 /*v273*/
	global_load_b32 v27 /*v283*/, v[40:41], off offset:6
	s_wait_xcnt 0x0
	s_set_vgpr_msb 4                        ;  msbs: dst=0 src0=0 src1=1 src2=0
	v_pack_b32_f16 v40, v45, v16 /*v272*/
	s_set_vgpr_msb 0                        ;  msbs: dst=0 src0=0 src1=0 src2=0
	v_pk_mul_f16 v41, v42, v133
	s_set_vgpr_msb 21                       ;  msbs: dst=0 src0=1 src1=1 src2=1
	v_lshrrev_b32_e32 v42, v4 /*v260*/, v47 /*v303*/
	v_or3_b32 v45, v20 /*v276*/, v26 /*v282*/, v17 /*v273*/
	s_set_vgpr_msb 0x45                     ;  msbs: dst=1 src0=1 src1=1 src2=0
	v_lshrrev_b32_e32 v17 /*v273*/, v5 /*v261*/, v47 /*v303*/
	s_set_vgpr_msb 0                        ;  msbs: dst=0 src0=0 src1=0 src2=0
	v_pk_mul_f16 v40, v40, v133
	s_set_vgpr_msb 0x50                     ;  msbs: dst=1 src0=0 src1=0 src2=1
	v_pk_fma_f16 v16 /*v272*/, v41, v44, v8 /*v264*/
	s_set_vgpr_msb 0                        ;  msbs: dst=0 src0=0 src1=0 src2=0
	v_lshlrev_b32_e32 v42, 20, v42
	v_lshlrev_b16 v133, 8, v45
	s_set_vgpr_msb 0x50                     ;  msbs: dst=1 src0=0 src1=0 src2=1
	v_pk_fma_f16 v20 /*v276*/, v41, v46, v12 /*v268*/
	s_set_vgpr_msb 4                        ;  msbs: dst=0 src0=0 src1=1 src2=0
	ds_store_b128 v239, v[6:9] /*v[262:265]*/
	ds_store_b128 v239, v[10:13] /*v[266:269]*/ offset:16
	s_set_vgpr_msb 64                       ;  msbs: dst=1 src0=0 src1=0 src2=0
	v_add_nc_u64_e32 v[6:7] /*v[262:263]*/, s[10:11], v[196:197]
	s_set_vgpr_msb 0                        ;  msbs: dst=0 src0=0 src1=0 src2=0
	v_and_b32_e32 v41, 0x100000, v42
	v_add_nc_u16 v42, 0xf000, v133
	s_wait_loadcnt 0x9
	s_set_vgpr_msb 0x45                     ;  msbs: dst=1 src0=1 src1=1 src2=0
	v_dual_lshrrev_b32 v11 /*v267*/, v3 /*v259*/, v68 /*v324*/ :: v_dual_lshlrev_b32 v21 /*v277*/, 28, v17 /*v273*/
	s_set_vgpr_msb 0x44                     ;  msbs: dst=1 src0=0 src1=1 src2=0
	v_lshrrev_b32_e32 v10 /*v266*/, v254, v68 /*v324*/
	s_set_vgpr_msb 0x50                     ;  msbs: dst=1 src0=0 src1=0 src2=1
	v_pk_fma_f16 v17 /*v273*/, v40, v44, v9 /*v265*/
	s_set_vgpr_msb 0x41                     ;  msbs: dst=1 src0=1 src1=0 src2=0
	v_add_nc_u64_e32 v[8:9] /*v[264:265]*/, v[6:7] /*v[262:263]*/, v[232:233]
	s_set_vgpr_msb 0x45                     ;  msbs: dst=1 src0=1 src1=1 src2=0
	v_ashrrev_i32_e32 v12 /*v268*/, v2 /*v258*/, v61 /*v317*/
	s_set_vgpr_msb 4                        ;  msbs: dst=0 src0=0 src1=1 src2=0
	v_and_b32_e32 v44, 0x10000000, v21 /*v277*/
	s_set_vgpr_msb 0x50                     ;  msbs: dst=1 src0=0 src1=0 src2=1
	v_pk_fma_f16 v21 /*v277*/, v40, v46, v13 /*v269*/
	s_set_vgpr_msb 1                        ;  msbs: dst=0 src0=1 src1=0 src2=0
	v_lshrrev_b16 v40, 8, v42
	v_and_b32_e32 v42, 0xffff, v47
	v_add_nc_u64_e32 v[46:47], v[22:23] /*v[278:279]*/, v[230:231]
	v_or3_b32 v41, v26 /*v282*/, v41, v44
	s_set_vgpr_msb 0x44                     ;  msbs: dst=1 src0=0 src1=1 src2=0
	v_lshlrev_b32_e32 v10 /*v266*/, 4, v10 /*v266*/
	s_set_vgpr_msb 0                        ;  msbs: dst=0 src0=0 src1=0 src2=0
	v_bitop3_b16 v40, v45, v40, 0x1f00 bitop3:0xec
	v_mul_u32_u24_e32 v133, 0x10001, v42
	s_set_vgpr_msb 0x44                     ;  msbs: dst=1 src0=0 src1=1 src2=0
	v_lshlrev_b32_e32 v11 /*v267*/, 12, v11 /*v267*/
	ds_store_b128 v239, v[14:17] /*v[270:273]*/
	ds_store_b128 v239, v[18:21] /*v[274:277]*/ offset:16
	v_and_b32_e32 v10 /*v266*/, 16, v10 /*v266*/
	s_set_vgpr_msb 0                        ;  msbs: dst=0 src0=0 src1=0 src2=0
	v_add_nc_u16 v42, 0xf000, v40
	v_lshrrev_b32_e32 v44, 16, v41
	v_add_nc_u64_e32 v[40:41], v[46:47], v[190:191]
	s_set_vgpr_msb 64                       ;  msbs: dst=1 src0=0 src1=0 src2=0
	s_clause 0x4
	global_load_b32 v22 /*v278*/, v[40:41], off offset:6
	s_set_vgpr_msb 0x41                     ;  msbs: dst=1 src0=1 src1=0 src2=0
	global_load_u16 v23 /*v279*/, v[8:9] /*v[264:265]*/, off
	s_set_vgpr_msb 64                       ;  msbs: dst=1 src0=0 src1=0 src2=0
	global_load_b32 v26 /*v282*/, v[46:47], off offset:2
	s_wait_xcnt 0x2
	s_set_vgpr_msb 0                        ;  msbs: dst=0 src0=0 src1=0 src2=0
	v_lshrrev_b32_e32 v40, 8, v42
	v_bfe_i32 v41, v42, 0, 8
	s_set_vgpr_msb 4                        ;  msbs: dst=0 src0=0 src1=1 src2=0
	v_and_b32_e32 v42, 0xf0f0f0f, v12 /*v268*/
	s_set_vgpr_msb 0x45                     ;  msbs: dst=1 src0=1 src1=1 src2=0
	v_and_b32_e32 v11 /*v267*/, 0x1000, v11 /*v267*/
	v_lshrrev_b32_e32 v13 /*v269*/, v5 /*v261*/, v68 /*v324*/
	s_set_vgpr_msb 0                        ;  msbs: dst=0 src0=0 src1=0 src2=0
	v_lshlrev_b16 v45, 8, v44
	v_and_b32_e32 v44, 0x1f00, v44
	v_bfe_i32 v40, v40, 0, 8
	s_set_vgpr_msb 0x51                     ;  msbs: dst=1 src0=1 src1=0 src2=1
	v_or3_b32 v10 /*v266*/, v10 /*v266*/, v42, v11 /*v267*/
	s_set_vgpr_msb 0x45                     ;  msbs: dst=1 src0=1 src1=1 src2=0
	v_dual_lshrrev_b32 v11 /*v267*/, v4 /*v260*/, v68 /*v324*/ :: v_dual_lshlrev_b32 v13 /*v269*/, 28, v13 /*v269*/
	s_set_vgpr_msb 0                        ;  msbs: dst=0 src0=0 src1=0 src2=0
	v_add_nc_u16 v44, 0xf000, v44
	v_cvt_f16_i16_e32 v41, v41
	v_cvt_f16_i16_e32 v40, v40
	s_set_vgpr_msb 0x44                     ;  msbs: dst=1 src0=0 src1=1 src2=0
	v_lshlrev_b32_e32 v11 /*v267*/, 20, v11 /*v267*/
	v_and_b32_e32 v13 /*v269*/, 0x10000000, v13 /*v269*/
	s_set_vgpr_msb 0                        ;  msbs: dst=0 src0=0 src1=0 src2=0
	v_add_nc_u16 v45, 0xf000, v45
	s_set_vgpr_msb 0x44                     ;  msbs: dst=1 src0=0 src1=1 src2=0
	v_lshlrev_b16 v28 /*v284*/, 8, v10 /*v266*/
	s_set_vgpr_msb 0                        ;  msbs: dst=0 src0=0 src1=0 src2=0
	v_pack_b32_f16 v40, v41, v40
	s_set_vgpr_msb 0x44                     ;  msbs: dst=1 src0=0 src1=1 src2=0
	v_and_b32_e32 v11 /*v267*/, 0x100000, v11 /*v267*/
	v_mul_u32_u24_e32 v12 /*v268*/, 0x10001, v36 /*v292*/
	s_set_vgpr_msb 0                        ;  msbs: dst=0 src0=0 src1=0 src2=0
	v_ashrrev_i16 v45, 8, v45
	s_set_vgpr_msb 0x44                     ;  msbs: dst=1 src0=0 src1=1 src2=0
	v_add_nc_u16 v28 /*v284*/, 0xf000, v28 /*v284*/
	s_set_vgpr_msb 0x41                     ;  msbs: dst=1 src0=1 src1=0 src2=0
	v_add_nc_u64_e32 v[6:7] /*v[262:263]*/, v[6:7] /*v[262:263]*/, v[230:231]
	s_set_vgpr_msb 20                       ;  msbs: dst=0 src0=0 src1=1 src2=1
	v_or3_b32 v41, v42, v11 /*v267*/, v13 /*v269*/
	s_set_vgpr_msb 0                        ;  msbs: dst=0 src0=0 src1=0 src2=0
	v_lshrrev_b32_e32 v44, 8, v44
	v_cvt_f16_i16_e32 v45, v45
	s_set_vgpr_msb 0x44                     ;  msbs: dst=1 src0=0 src1=1 src2=0
	v_lshrrev_b16 v28 /*v284*/, 8, v28 /*v284*/
	s_set_vgpr_msb 0                        ;  msbs: dst=0 src0=0 src1=0 src2=0
	v_and_b32_e32 v42, 0xffff, v43
	v_lshrrev_b32_e32 v41, 16, v41
	v_bfe_i32 v44, v44, 0, 8
	s_set_vgpr_msb 64                       ;  msbs: dst=1 src0=0 src1=0 src2=0
	s_delay_alu instid0(VALU_DEP_2) | instskip(SKIP_1) | instid1(VALU_DEP_2)
	v_and_b32_e32 v11 /*v267*/, 0x1f00, v41
	s_set_vgpr_msb 0                        ;  msbs: dst=0 src0=0 src1=0 src2=0
	v_cvt_f16_i16_e32 v44, v44
	s_set_vgpr_msb 0x44                     ;  msbs: dst=1 src0=0 src1=1 src2=0
	s_delay_alu instid0(VALU_DEP_2) | instskip(SKIP_1) | instid1(VALU_DEP_2)
	v_add_nc_u16 v11 /*v267*/, 0xf000, v11 /*v267*/
	s_set_vgpr_msb 0                        ;  msbs: dst=0 src0=0 src1=0 src2=0
	v_pack_b32_f16 v43, v45, v44
	s_set_vgpr_msb 5                        ;  msbs: dst=0 src0=1 src1=1 src2=0
	v_bitop3_b16 v44, v10 /*v266*/, v28 /*v284*/, 0x1f00 bitop3:0xec
	s_set_vgpr_msb 4                        ;  msbs: dst=0 src0=0 src1=1 src2=0
	v_pk_mul_f16 v45, v40, v12 /*v268*/
	s_set_vgpr_msb 64                       ;  msbs: dst=1 src0=0 src1=0 src2=0
	v_mul_u32_u24_e32 v28 /*v284*/, 0x10001, v42
	s_set_vgpr_msb 0x44                     ;  msbs: dst=1 src0=0 src1=1 src2=0
	v_lshrrev_b32_e32 v11 /*v267*/, 8, v11 /*v267*/
	v_pk_mul_f16 v10 /*v266*/, v43, v12 /*v268*/
	s_set_vgpr_msb 16                       ;  msbs: dst=0 src0=0 src1=0 src2=1
	v_add_nc_u16 v42, 0xf000, v44
	v_lshlrev_b16 v43, 8, v41
	v_pk_fma_f16 v40, v45, v133, v14 /*v270*/
	s_set_vgpr_msb 20                       ;  msbs: dst=0 src0=0 src1=1 src2=1
	v_pk_fma_f16 v44, v45, v28 /*v284*/, v18 /*v274*/
	s_set_vgpr_msb 0x44                     ;  msbs: dst=1 src0=0 src1=1 src2=0
	v_mul_u32_u24_e32 v14 /*v270*/, 0x10001, v41 /*v297*/
	s_set_vgpr_msb 0                        ;  msbs: dst=0 src0=0 src1=0 src2=0
	v_lshrrev_b32_e32 v45, 8, v42
	s_set_vgpr_msb 64                       ;  msbs: dst=1 src0=0 src1=0 src2=0
	v_add_nc_u16 v12 /*v268*/, 0xf000, v43
	v_bfe_i32 v13 /*v269*/, v42, 0, 8
	s_set_vgpr_msb 1                        ;  msbs: dst=0 src0=1 src1=0 src2=0
	v_add_nc_u64_e32 v[42:43], v[8:9] /*v[264:265]*/, v[188:189]
	s_set_vgpr_msb 64                       ;  msbs: dst=1 src0=0 src1=0 src2=0
	s_clause 0x5
	global_load_b32 v30 /*v286*/, v[42:43], off offset:6
	s_set_vgpr_msb 0x41                     ;  msbs: dst=1 src0=1 src1=0 src2=0
	global_load_u16 v32 /*v288*/, v[6:7] /*v[262:263]*/, off
	global_load_b32 v33 /*v289*/, v[8:9] /*v[264:265]*/, off offset:2
	s_set_vgpr_msb 64                       ;  msbs: dst=1 src0=0 src1=0 src2=0
	global_load_u16 v36 /*v292*/, v[46:47], off
	s_wait_xcnt 0x3
	s_set_vgpr_msb 4                        ;  msbs: dst=0 src0=0 src1=1 src2=0
	v_lshrrev_b32_e32 v42, v254, v66 /*v322*/
	s_set_vgpr_msb 5                        ;  msbs: dst=0 src0=1 src1=1 src2=0
	v_lshrrev_b32_e32 v43, v3 /*v259*/, v66 /*v322*/
	s_wait_xcnt 0x0
	v_ashrrev_i32_e32 v46, v2 /*v258*/, v62 /*v318*/
	s_set_vgpr_msb 0x45                     ;  msbs: dst=1 src0=1 src1=1 src2=0
	v_ashrrev_i16 v12 /*v268*/, 8, v12 /*v268*/
	v_lshrrev_b32_e32 v9 /*v265*/, v4 /*v260*/, v66 /*v322*/
	s_set_vgpr_msb 0                        ;  msbs: dst=0 src0=0 src1=0 src2=0
	v_dual_lshlrev_b32 v42, 4, v42 :: v_dual_lshlrev_b32 v43, 12, v43
	v_bfe_i32 v45, v45, 0, 8
	s_set_vgpr_msb 1                        ;  msbs: dst=0 src0=1 src1=0 src2=0
	v_bfe_i32 v47, v11 /*v267*/, 0, 8
	v_and_b32_e32 v46, 0xf0f0f0f, v46
	s_set_vgpr_msb 0x45                     ;  msbs: dst=1 src0=1 src1=1 src2=0
	v_dual_lshrrev_b32 v11 /*v267*/, v5 /*v261*/, v66 /*v322*/ :: v_dual_lshlrev_b32 v9 /*v265*/, 20, v9 /*v265*/
	s_set_vgpr_msb 0                        ;  msbs: dst=0 src0=0 src1=0 src2=0
	v_and_b32_e32 v42, 16, v42
	v_and_b32_e32 v43, 0x1000, v43
	s_set_vgpr_msb 0x41                     ;  msbs: dst=1 src0=1 src1=0 src2=0
	v_cvt_f16_i16_e64 v13 /*v269*/, v13 /*v269*/
	s_set_vgpr_msb 0                        ;  msbs: dst=0 src0=0 src1=0 src2=0
	v_cvt_f16_i16_e32 v45, v45
	s_set_vgpr_msb 0x41                     ;  msbs: dst=1 src0=1 src1=0 src2=0
	v_cvt_f16_i16_e64 v8 /*v264*/, v12 /*v268*/
	s_set_vgpr_msb 0                        ;  msbs: dst=0 src0=0 src1=0 src2=0
	v_cvt_f16_i16_e32 v47, v47
	s_set_vgpr_msb 0x44                     ;  msbs: dst=1 src0=0 src1=1 src2=0
	v_lshlrev_b32_e32 v11 /*v267*/, 28, v11 /*v267*/
	s_set_vgpr_msb 64                       ;  msbs: dst=1 src0=0 src1=0 src2=0
	v_or3_b32 v39 /*v295*/, v42, v46, v43
	s_set_vgpr_msb 0x41                     ;  msbs: dst=1 src0=1 src1=0 src2=0
	v_pack_b32_f16 v12 /*v268*/, v13 /*v269*/, v45
	s_set_vgpr_msb 1                        ;  msbs: dst=0 src0=1 src1=0 src2=0
	v_add_nc_u64_e32 v[42:43], s[10:11], v[198:199]
	v_pack_b32_f16 v47, v8 /*v264*/, v47
	s_set_vgpr_msb 0x45                     ;  msbs: dst=1 src0=1 src1=1 src2=0
	v_and_b32_e32 v8 /*v264*/, 0x100000, v9 /*v265*/
	v_and_b32_e32 v9 /*v265*/, 0x10000000, v11 /*v267*/
	v_lshlrev_b16 v11 /*v267*/, 8, v39 /*v295*/
	v_pk_mul_f16 v12 /*v268*/, v12 /*v268*/, v14 /*v270*/
	s_set_vgpr_msb 4                        ;  msbs: dst=0 src0=0 src1=1 src2=0
	v_pk_mul_f16 v47, v47, v14 /*v270*/
	s_set_vgpr_msb 17                       ;  msbs: dst=0 src0=1 src1=0 src2=1
	v_pk_fma_f16 v41, v10 /*v266*/, v133, v15 /*v271*/
	s_set_vgpr_msb 0x54                     ;  msbs: dst=1 src0=0 src1=1 src2=1
	v_or3_b32 v13 /*v269*/, v46, v8 /*v264*/, v9 /*v265*/
	v_add_nc_u16 v14 /*v270*/, 0xf000, v11 /*v267*/
	s_set_vgpr_msb 64                       ;  msbs: dst=1 src0=0 src1=0 src2=0
	v_add_nc_u64_e32 v[8:9] /*v[264:265]*/, v[42:43], v[232:233]
	s_set_vgpr_msb 21                       ;  msbs: dst=0 src0=1 src1=1 src2=1
	v_pk_fma_f16 v45, v10 /*v266*/, v28 /*v284*/, v19 /*v275*/
	s_set_vgpr_msb 64                       ;  msbs: dst=1 src0=0 src1=0 src2=0
	v_add_nc_u64_e32 v[10:11] /*v[266:267]*/, v[42:43], v[230:231]
	s_set_vgpr_msb 21                       ;  msbs: dst=0 src0=1 src1=1 src2=1
	v_pk_fma_f16 v46, v12 /*v268*/, v28 /*v284*/, v20 /*v276*/
	s_set_vgpr_msb 0x44                     ;  msbs: dst=1 src0=0 src1=1 src2=0
	v_lshrrev_b16 v20 /*v276*/, 8, v14 /*v270*/
	s_set_vgpr_msb 17                       ;  msbs: dst=0 src0=1 src1=0 src2=1
	v_pk_fma_f16 v42, v12 /*v268*/, v133, v16 /*v272*/
	s_set_vgpr_msb 0x44                     ;  msbs: dst=1 src0=0 src1=1 src2=0
	v_lshrrev_b32_e32 v16 /*v272*/, 16, v13 /*v269*/
	s_set_vgpr_msb 0x41                     ;  msbs: dst=1 src0=1 src1=0 src2=0
	v_add_nc_u64_e32 v[12:13] /*v[268:269]*/, v[6:7] /*v[262:263]*/, v[190:191]
	v_add_nc_u64_e32 v[14:15] /*v[270:271]*/, v[8:9] /*v[264:265]*/, v[188:189]
	;; [unrolled: 1-line block ×3, first 2 shown]
	s_set_vgpr_msb 16                       ;  msbs: dst=0 src0=0 src1=0 src2=1
	v_pk_fma_f16 v43, v47, v133, v17 /*v273*/
	s_set_vgpr_msb 5                        ;  msbs: dst=0 src0=1 src1=1 src2=0
	v_bitop3_b16 v133, v39 /*v295*/, v20 /*v276*/, 0x1f00 bitop3:0xec
	s_set_vgpr_msb 20                       ;  msbs: dst=0 src0=0 src1=1 src2=1
	v_pk_fma_f16 v47, v47, v28 /*v284*/, v21 /*v277*/
	s_set_vgpr_msb 0x41                     ;  msbs: dst=1 src0=1 src1=0 src2=0
	s_clause 0x7
	global_load_b32 v20 /*v276*/, v[12:13] /*v[268:269]*/, off offset:6
	global_load_b32 v21 /*v277*/, v[14:15] /*v[270:271]*/, off offset:6
	;; [unrolled: 1-line block ×4, first 2 shown]
	global_load_u16 v40 /*v296*/, v[10:11] /*v[266:267]*/, off
	global_load_b32 v41 /*v297*/, v[8:9] /*v[264:265]*/, off offset:2
	global_load_u16 v42 /*v298*/, v[8:9] /*v[264:265]*/, off
	global_load_b32 v43 /*v299*/, v[6:7] /*v[262:263]*/, off offset:2
	s_wait_xcnt 0x0
	s_set_vgpr_msb 0x44                     ;  msbs: dst=1 src0=0 src1=1 src2=0
	v_and_b32_e32 v6 /*v262*/, 0x1f00, v16 /*v272*/
	s_set_vgpr_msb 0                        ;  msbs: dst=0 src0=0 src1=0 src2=0
	v_add_nc_u16 v133, 0xf000, v133
	s_set_vgpr_msb 0x45                     ;  msbs: dst=1 src0=1 src1=1 src2=0
	v_dual_lshrrev_b32 v9 /*v265*/, v3 /*v259*/, v64 /*v320*/ :: v_dual_ashrrev_i32 v11 /*v267*/, v2 /*v258*/, v63 /*v319*/
	s_set_vgpr_msb 0x44                     ;  msbs: dst=1 src0=0 src1=1 src2=0
	v_lshrrev_b32_e32 v8 /*v264*/, v254, v64 /*v320*/
	v_add_nc_u16 v6 /*v262*/, 0xf000, v6 /*v262*/
	s_set_vgpr_msb 64                       ;  msbs: dst=1 src0=0 src1=0 src2=0
	v_lshrrev_b32_e32 v12 /*v268*/, 8, v133
	s_set_vgpr_msb 0x44                     ;  msbs: dst=1 src0=0 src1=1 src2=0
	v_lshlrev_b32_e32 v9 /*v265*/, 12, v9 /*v265*/
	v_lshlrev_b16 v17 /*v273*/, 8, v16 /*v272*/
	v_dual_lshlrev_b32 v8 /*v264*/, 4, v8 /*v264*/ :: v_dual_lshrrev_b32 v6 /*v262*/, 8, v6 /*v262*/
	v_and_b32_e32 v11 /*v267*/, 0xf0f0f0f, v11 /*v267*/
	s_delay_alu instid0(VALU_DEP_4)
	v_and_b32_e32 v9 /*v265*/, 0x1000, v9 /*v265*/
	s_set_vgpr_msb 0x45                     ;  msbs: dst=1 src0=1 src1=1 src2=0
	v_bfe_i32 v12 /*v268*/, v12 /*v268*/, 0, 8
	v_dual_lshrrev_b32 v13 /*v269*/, v4 /*v260*/, v64 /*v320*/ :: v_dual_lshrrev_b32 v14 /*v270*/, v5 /*v261*/, v64 /*v320*/
	v_and_b32_e32 v8 /*v264*/, 16, v8 /*v264*/
	v_add_nc_u16 v7 /*v263*/, 0xf000, v17 /*v273*/
	s_set_vgpr_msb 0                        ;  msbs: dst=0 src0=0 src1=0 src2=0
	v_bfe_i32 v133, v133, 0, 8
	s_set_vgpr_msb 0x41                     ;  msbs: dst=1 src0=1 src1=0 src2=0
	v_bfe_i32 v6 /*v262*/, v6 /*v262*/, 0, 8
	s_set_vgpr_msb 0x55                     ;  msbs: dst=1 src0=1 src1=1 src2=1
	v_mul_u32_u24_e32 v10 /*v266*/, 0x10001, v67 /*v323*/
	v_or3_b32 v8 /*v264*/, v8 /*v264*/, v11 /*v267*/, v9 /*v265*/
	v_cvt_f16_i16_e64 v9 /*v265*/, v12 /*v268*/
	v_dual_lshlrev_b32 v12 /*v268*/, 20, v13 /*v269*/ :: v_dual_lshlrev_b32 v13 /*v269*/, 28, v14 /*v270*/
	s_set_vgpr_msb 0                        ;  msbs: dst=0 src0=0 src1=0 src2=0
	v_cvt_f16_i16_e64 v133, v133
	s_set_vgpr_msb 0x44                     ;  msbs: dst=1 src0=0 src1=1 src2=0
	v_lshlrev_b16 v14 /*v270*/, 8, v8 /*v264*/
	v_ashrrev_i16 v7 /*v263*/, 8, v7 /*v263*/
	v_and_b32_e32 v12 /*v268*/, 0x100000, v12 /*v268*/
	v_and_b32_e32 v13 /*v269*/, 0x10000000, v13 /*v269*/
	s_set_vgpr_msb 0x41                     ;  msbs: dst=1 src0=1 src1=0 src2=0
	v_cvt_f16_i16_e64 v6 /*v262*/, v6 /*v262*/
	s_set_vgpr_msb 0x44                     ;  msbs: dst=1 src0=0 src1=1 src2=0
	v_add_nc_u16 v14 /*v270*/, 0xf000, v14 /*v270*/
	s_set_vgpr_msb 0x41                     ;  msbs: dst=1 src0=1 src1=0 src2=0
	v_cvt_f16_i16_e64 v7 /*v263*/, v7 /*v263*/
	s_set_vgpr_msb 4                        ;  msbs: dst=0 src0=0 src1=1 src2=0
	v_pack_b32_f16 v133, v133, v9 /*v265*/
	s_set_vgpr_msb 0x55                     ;  msbs: dst=1 src0=1 src1=1 src2=1
	v_or3_b32 v9 /*v265*/, v11 /*v267*/, v12 /*v268*/, v13 /*v269*/
	v_mul_u32_u24_e32 v12 /*v268*/, 0x10001, v49 /*v305*/
	v_lshrrev_b16 v11 /*v267*/, 8, v14 /*v270*/
	v_pack_b32_f16 v6 /*v262*/, v7 /*v263*/, v6 /*v262*/
	s_set_vgpr_msb 4                        ;  msbs: dst=0 src0=0 src1=1 src2=0
	v_pk_mul_f16 v133, v133, v10 /*v266*/
	s_set_vgpr_msb 0x44                     ;  msbs: dst=1 src0=0 src1=1 src2=0
	v_lshrrev_b32_e32 v7 /*v263*/, 16, v9 /*v265*/
	s_set_vgpr_msb 0                        ;  msbs: dst=0 src0=0 src1=0 src2=0
	ds_store_b128 v239, v[40:43]
	ds_store_b128 v239, v[44:47] offset:16
	s_set_vgpr_msb 0x45                     ;  msbs: dst=1 src0=1 src1=1 src2=0
	v_bitop3_b16 v8 /*v264*/, v8 /*v264*/, v11 /*v267*/, 0x1f00 bitop3:0xec
	v_pk_mul_f16 v6 /*v262*/, v6 /*v262*/, v10 /*v266*/
	s_set_vgpr_msb 4                        ;  msbs: dst=0 src0=0 src1=1 src2=0
	v_pk_fma_f16 v40, v133, v12 /*v268*/, v40
	s_set_vgpr_msb 0x44                     ;  msbs: dst=1 src0=0 src1=1 src2=0
	v_and_b32_e32 v9 /*v265*/, 0x1f00, v7 /*v263*/
	s_set_vgpr_msb 0                        ;  msbs: dst=0 src0=0 src1=0 src2=0
	v_pk_fma_f16 v44, v133, v227, v44
	s_set_vgpr_msb 0x44                     ;  msbs: dst=1 src0=0 src1=1 src2=0
	v_add_nc_u16 v8 /*v264*/, 0xf000, v8 /*v264*/
	s_set_vgpr_msb 5                        ;  msbs: dst=0 src0=1 src1=1 src2=0
	v_lshlrev_b16 v133, 8, v7 /*v263*/
	v_pk_fma_f16 v41, v6 /*v262*/, v12 /*v268*/, v41
	s_set_vgpr_msb 0x44                     ;  msbs: dst=1 src0=0 src1=1 src2=0
	v_add_nc_u16 v7 /*v263*/, 0xf000, v9 /*v265*/
	s_set_vgpr_msb 1                        ;  msbs: dst=0 src0=1 src1=0 src2=0
	v_pk_fma_f16 v45, v6 /*v262*/, v227, v45
	s_set_vgpr_msb 0x44                     ;  msbs: dst=1 src0=0 src1=1 src2=0
	v_lshrrev_b32_e32 v9 /*v265*/, 8, v8 /*v264*/
	s_set_vgpr_msb 0                        ;  msbs: dst=0 src0=0 src1=0 src2=0
	v_add_nc_u16 v133, 0xf000, v133
	s_set_vgpr_msb 0x45                     ;  msbs: dst=1 src0=1 src1=1 src2=0
	v_bfe_i32 v6 /*v262*/, v8 /*v264*/, 0, 8
	s_wait_loadcnt 0x12
	v_dual_lshrrev_b32 v7 /*v263*/, 8, v7 /*v263*/ :: v_dual_lshrrev_b32 v11 /*v267*/, v3 /*v259*/, v38 /*v294*/
	v_ashrrev_i32_e32 v13 /*v269*/, v2 /*v258*/, v29 /*v285*/
	v_bfe_i32 v8 /*v264*/, v9 /*v265*/, 0, 8
	s_set_vgpr_msb 0                        ;  msbs: dst=0 src0=0 src1=0 src2=0
	v_ashrrev_i16 v133, 8, v133
	s_set_vgpr_msb 0x41                     ;  msbs: dst=1 src0=1 src1=0 src2=0
	v_bfe_i32 v7 /*v263*/, v7 /*v263*/, 0, 8
	v_cvt_f16_i16_e64 v6 /*v262*/, v6 /*v262*/
	s_set_vgpr_msb 0x44                     ;  msbs: dst=1 src0=0 src1=1 src2=0
	v_mul_u32_u24_e32 v9 /*v265*/, 0x10001, v65 /*v321*/
	s_set_vgpr_msb 0x41                     ;  msbs: dst=1 src0=1 src1=0 src2=0
	v_cvt_f16_i16_e64 v8 /*v264*/, v8 /*v264*/
	s_set_vgpr_msb 0                        ;  msbs: dst=0 src0=0 src1=0 src2=0
	v_cvt_f16_i16_e64 v133, v133
	s_set_vgpr_msb 0x41                     ;  msbs: dst=1 src0=1 src1=0 src2=0
	v_cvt_f16_i16_e64 v7 /*v263*/, v7 /*v263*/
	s_set_vgpr_msb 0x44                     ;  msbs: dst=1 src0=0 src1=1 src2=0
	v_dual_lshrrev_b32 v10 /*v266*/, v254, v38 /*v294*/ :: v_dual_lshlrev_b32 v11 /*v267*/, 12, v11 /*v267*/
	s_set_vgpr_msb 0x45                     ;  msbs: dst=1 src0=1 src1=1 src2=0
	v_pack_b32_f16 v6 /*v262*/, v6 /*v262*/, v8 /*v264*/
	s_set_vgpr_msb 64                       ;  msbs: dst=1 src0=0 src1=0 src2=0
	v_dual_lshrrev_b32 v18 /*v274*/, 16, v36 :: v_dual_lshrrev_b32 v19 /*v275*/, 16, v37
	s_set_vgpr_msb 4                        ;  msbs: dst=0 src0=0 src1=1 src2=0
	v_pack_b32_f16 v133, v133, v7 /*v263*/
	s_set_vgpr_msb 0x45                     ;  msbs: dst=1 src0=1 src1=1 src2=0
	v_and_b32_e32 v7 /*v263*/, 0xf0f0f0f, v13 /*v269*/
	v_pk_mul_f16 v6 /*v262*/, v6 /*v262*/, v9 /*v265*/
	s_set_vgpr_msb 0                        ;  msbs: dst=0 src0=0 src1=0 src2=0
	v_and_b32_e32 v36, 0xffff, v36
	s_set_vgpr_msb 0x44                     ;  msbs: dst=1 src0=0 src1=1 src2=0
	v_mul_u32_u24_e32 v18 /*v274*/, 0x10001, v18 /*v274*/
	s_set_vgpr_msb 4                        ;  msbs: dst=0 src0=0 src1=1 src2=0
	v_pk_mul_f16 v133, v133, v9 /*v265*/
	s_set_vgpr_msb 0x45                     ;  msbs: dst=1 src0=1 src1=1 src2=0
	v_lshrrev_b32_e32 v9 /*v265*/, v4 /*v260*/, v38 /*v294*/
	v_lshlrev_b32_e32 v10 /*v266*/, 4, v10 /*v266*/
	s_set_vgpr_msb 5                        ;  msbs: dst=0 src0=1 src1=1 src2=0
	v_pk_fma_f16 v42, v6 /*v262*/, v12 /*v268*/, v42
	s_set_vgpr_msb 1                        ;  msbs: dst=0 src0=1 src1=0 src2=0
	v_pk_fma_f16 v46, v6 /*v262*/, v227, v46
	s_set_vgpr_msb 4                        ;  msbs: dst=0 src0=0 src1=1 src2=0
	v_pk_fma_f16 v43, v133, v12 /*v268*/, v43
	s_set_vgpr_msb 0x45                     ;  msbs: dst=1 src0=1 src1=1 src2=0
	v_dual_lshlrev_b32 v6 /*v262*/, 20, v9 /*v265*/ :: v_dual_bitop2_b32 v8 /*v264*/, 16, v10 /*v266*/ bitop3:0x40
	v_and_b32_e32 v10 /*v266*/, 0x1000, v11 /*v267*/
	v_lshrrev_b32_e32 v11 /*v267*/, v5 /*v261*/, v38 /*v294*/
	s_set_vgpr_msb 0                        ;  msbs: dst=0 src0=0 src1=0 src2=0
	v_pk_fma_f16 v47, v133, v227, v47
	s_set_vgpr_msb 4                        ;  msbs: dst=0 src0=0 src1=1 src2=0
	v_and_b32_e32 v133, 0x100000, v6 /*v262*/
	s_set_vgpr_msb 0x45                     ;  msbs: dst=1 src0=1 src1=1 src2=0
	v_lshrrev_b32_e32 v12 /*v268*/, v5 /*v261*/, v35 /*v291*/
	s_set_vgpr_msb 0                        ;  msbs: dst=0 src0=0 src1=0 src2=0
	v_mul_u32_u24_e32 v36, 0x10001, v36
	s_set_vgpr_msb 0x55                     ;  msbs: dst=1 src0=1 src1=1 src2=1
	v_lshlrev_b32_e32 v9 /*v265*/, 28, v11 /*v267*/
	v_or3_b32 v8 /*v264*/, v8 /*v264*/, v7 /*v263*/, v10 /*v266*/
	v_lshrrev_b32_e32 v11 /*v267*/, v4 /*v260*/, v35 /*v291*/
	s_wait_loadcnt 0x10
	v_mul_u32_u24_e32 v13 /*v269*/, 0x10001, v25 /*v281*/
	s_set_vgpr_msb 0                        ;  msbs: dst=0 src0=0 src1=0 src2=0
	ds_store_b128 v239, v[40:43]
	ds_store_b128 v239, v[44:47] offset:16
	s_set_vgpr_msb 4                        ;  msbs: dst=0 src0=0 src1=1 src2=0
	v_and_b32_e32 v227, 0x10000000, v9 /*v265*/
	s_set_vgpr_msb 0x45                     ;  msbs: dst=1 src0=1 src1=1 src2=0
	v_lshlrev_b16 v10 /*v266*/, 8, v8 /*v264*/
	v_lshrrev_b32_e32 v9 /*v265*/, v3 /*v259*/, v35 /*v291*/
	s_set_vgpr_msb 0                        ;  msbs: dst=0 src0=0 src1=0 src2=0
	v_and_b32_e32 v37, 0xffff, v37
	s_set_vgpr_msb 64                       ;  msbs: dst=1 src0=0 src1=0 src2=0
	v_dual_lshrrev_b32 v29 /*v285*/, 16, v38 :: v_dual_lshrrev_b32 v38 /*v294*/, 16, v39
	s_set_vgpr_msb 0x44                     ;  msbs: dst=1 src0=0 src1=1 src2=0
	v_add_nc_u16 v6 /*v262*/, 0xf000, v10 /*v266*/
	s_set_vgpr_msb 1                        ;  msbs: dst=0 src0=1 src1=0 src2=0
	v_or3_b32 v133, v7 /*v263*/, v133, v227
	s_set_vgpr_msb 0x44                     ;  msbs: dst=1 src0=0 src1=1 src2=0
	v_lshlrev_b32_e32 v9 /*v265*/, 12, v9 /*v265*/
	s_set_vgpr_msb 4                        ;  msbs: dst=0 src0=0 src1=1 src2=0
	v_lshrrev_b16 v227, 8, v6 /*v262*/
	s_set_vgpr_msb 0                        ;  msbs: dst=0 src0=0 src1=0 src2=0
	v_lshrrev_b32_e32 v133, 16, v133
	s_set_vgpr_msb 0x44                     ;  msbs: dst=1 src0=0 src1=1 src2=0
	v_and_b32_e32 v9 /*v265*/, 0x1000, v9 /*v265*/
	s_set_vgpr_msb 1                        ;  msbs: dst=0 src0=1 src1=0 src2=0
	v_bitop3_b16 v227, v8 /*v264*/, v227, 0x1f00 bitop3:0xec
	s_set_vgpr_msb 0x44                     ;  msbs: dst=1 src0=0 src1=1 src2=0
	v_lshrrev_b32_e32 v8 /*v264*/, v254, v35 /*v291*/
	s_set_vgpr_msb 64                       ;  msbs: dst=1 src0=0 src1=0 src2=0
	v_lshlrev_b16 v6 /*v262*/, 8, v133
	s_set_vgpr_msb 0                        ;  msbs: dst=0 src0=0 src1=0 src2=0
	v_and_b32_e32 v133, 0x1f00, v133
	v_add_nc_u16 v227, 0xf000, v227
	s_set_vgpr_msb 0x45                     ;  msbs: dst=1 src0=1 src1=1 src2=0
	v_dual_lshlrev_b32 v8 /*v264*/, 4, v8 /*v264*/ :: v_dual_ashrrev_i32 v10 /*v266*/, v2 /*v258*/, v31 /*v287*/
	s_set_vgpr_msb 0                        ;  msbs: dst=0 src0=0 src1=0 src2=0
	v_add_nc_u16 v133, 0xf000, v133
	s_set_vgpr_msb 64                       ;  msbs: dst=1 src0=0 src1=0 src2=0
	v_dual_lshrrev_b32 v46 /*v302*/, 16, v34 :: v_dual_lshrrev_b32 v7 /*v263*/, 8, v227
	s_set_vgpr_msb 0x44                     ;  msbs: dst=1 src0=0 src1=1 src2=0
	v_and_b32_e32 v8 /*v264*/, 16, v8 /*v264*/
	v_and_b32_e32 v10 /*v266*/, 0xf0f0f0f, v10 /*v266*/
	v_add_nc_u16 v6 /*v262*/, 0xf000, v6 /*v262*/
	s_set_vgpr_msb 0                        ;  msbs: dst=0 src0=0 src1=0 src2=0
	v_lshrrev_b32_e32 v133, 8, v133
	v_bfe_i32 v227, v227, 0, 8
	s_set_vgpr_msb 0x55                     ;  msbs: dst=1 src0=1 src1=1 src2=1
	v_bfe_i32 v7 /*v263*/, v7 /*v263*/, 0, 8
	v_or3_b32 v8 /*v264*/, v8 /*v264*/, v10 /*v266*/, v9 /*v265*/
	v_ashrrev_i16 v6 /*v262*/, 8, v6 /*v262*/
	s_set_vgpr_msb 0                        ;  msbs: dst=0 src0=0 src1=0 src2=0
	v_bfe_i32 v133, v133, 0, 8
	s_set_vgpr_msb 0x44                     ;  msbs: dst=1 src0=0 src1=1 src2=0
	v_dual_lshlrev_b32 v9 /*v265*/, 20, v11 /*v267*/ :: v_dual_lshlrev_b32 v11 /*v267*/, 28, v12 /*v268*/
	v_lshlrev_b16 v12 /*v268*/, 8, v8 /*v264*/
	s_set_vgpr_msb 0                        ;  msbs: dst=0 src0=0 src1=0 src2=0
	v_cvt_f16_i16_e64 v227, v227
	s_set_vgpr_msb 0x41                     ;  msbs: dst=1 src0=1 src1=0 src2=0
	v_cvt_f16_i16_e64 v7 /*v263*/, v7 /*v263*/
	v_cvt_f16_i16_e64 v6 /*v262*/, v6 /*v262*/
	s_set_vgpr_msb 0                        ;  msbs: dst=0 src0=0 src1=0 src2=0
	v_cvt_f16_i16_e64 v133, v133
	s_set_vgpr_msb 0x44                     ;  msbs: dst=1 src0=0 src1=1 src2=0
	v_and_b32_e32 v9 /*v265*/, 0x100000, v9 /*v265*/
	v_and_b32_e32 v11 /*v267*/, 0x10000000, v11 /*v267*/
	v_add_nc_u16 v12 /*v268*/, 0xf000, v12 /*v268*/
	s_set_vgpr_msb 4                        ;  msbs: dst=0 src0=0 src1=1 src2=0
	v_pack_b32_f16 v227, v227, v7 /*v263*/
	s_set_vgpr_msb 1                        ;  msbs: dst=0 src0=1 src1=0 src2=0
	v_pack_b32_f16 v133, v6 /*v262*/, v133
	s_set_vgpr_msb 64                       ;  msbs: dst=1 src0=0 src1=0 src2=0
	v_add_nc_u64_e32 v[6:7] /*v[262:263]*/, s[10:11], v[200:201]
	s_set_vgpr_msb 0x55                     ;  msbs: dst=1 src0=1 src1=1 src2=1
	v_or3_b32 v9 /*v265*/, v10 /*v266*/, v9 /*v265*/, v11 /*v267*/
	v_lshrrev_b16 v10 /*v266*/, 8, v12 /*v268*/
	s_set_vgpr_msb 4                        ;  msbs: dst=0 src0=0 src1=1 src2=0
	v_pk_mul_f16 v227, v227, v13 /*v269*/
	v_pk_mul_f16 v133, v133, v13 /*v269*/
	s_set_vgpr_msb 0                        ;  msbs: dst=0 src0=0 src1=0 src2=0
	v_and_b32_e32 v34, 0xffff, v34
	s_set_vgpr_msb 0x45                     ;  msbs: dst=1 src0=1 src1=1 src2=0
	v_lshrrev_b32_e32 v25 /*v281*/, 16, v9 /*v265*/
	v_bitop3_b16 v12 /*v268*/, v8 /*v264*/, v10 /*v266*/, 0x1f00 bitop3:0xec
	s_set_vgpr_msb 0x41                     ;  msbs: dst=1 src0=1 src1=0 src2=0
	v_add_nc_u64_e32 v[8:9] /*v[264:265]*/, v[6:7] /*v[262:263]*/, v[232:233]
	v_add_nc_u64_e32 v[6:7] /*v[262:263]*/, v[6:7] /*v[262:263]*/, v[230:231]
	v_add_nc_u64_e32 v[10:11] /*v[266:267]*/, s[10:11], v[202:203]
	s_set_vgpr_msb 0                        ;  msbs: dst=0 src0=0 src1=0 src2=0
	v_pk_fma_f16 v40, v227, v36, v40
	v_pk_fma_f16 v44, v227, v32, v44
	s_set_vgpr_msb 4                        ;  msbs: dst=0 src0=0 src1=1 src2=0
	v_add_nc_u16 v227, 0xf000, v12 /*v268*/
	s_set_vgpr_msb 0                        ;  msbs: dst=0 src0=0 src1=0 src2=0
	v_pk_fma_f16 v41, v133, v36, v41
	s_set_vgpr_msb 0x41                     ;  msbs: dst=1 src0=1 src1=0 src2=0
	v_add_nc_u64_e32 v[12:13] /*v[268:269]*/, v[8:9] /*v[264:265]*/, v[188:189]
	v_add_nc_u64_e32 v[14:15] /*v[270:271]*/, v[6:7] /*v[262:263]*/, v[190:191]
	;; [unrolled: 1-line block ×3, first 2 shown]
	s_clause 0x5
	global_load_b32 v47 /*v303*/, v[12:13] /*v[268:269]*/, off offset:6
	global_load_b32 v48 /*v304*/, v[14:15] /*v[270:271]*/, off offset:6
	global_load_u16 v49 /*v305*/, v[16:17] /*v[272:273]*/, off
	global_load_b32 v50 /*v306*/, v[6:7] /*v[262:263]*/, off offset:2
	global_load_u16 v51 /*v307*/, v[6:7] /*v[262:263]*/, off
	global_load_b32 v52 /*v308*/, v[8:9] /*v[264:265]*/, off offset:2
	s_wait_xcnt 0x1
	s_set_vgpr_msb 0x44                     ;  msbs: dst=1 src0=0 src1=1 src2=0
	v_lshrrev_b32_e32 v7 /*v263*/, v254, v24 /*v280*/
	s_wait_loadcnt 0x15
	s_set_vgpr_msb 0x45                     ;  msbs: dst=1 src0=1 src1=1 src2=0
	v_dual_lshrrev_b32 v12 /*v268*/, v3 /*v259*/, v24 /*v280*/ :: v_dual_ashrrev_i32 v14 /*v270*/, v2 /*v258*/, v27 /*v283*/
	v_lshlrev_b16 v31 /*v287*/, 8, v25 /*v281*/
	v_and_b32_e32 v25 /*v281*/, 0x1f00, v25 /*v281*/
	s_set_vgpr_msb 64                       ;  msbs: dst=1 src0=0 src1=0 src2=0
	v_lshrrev_b32_e32 v35 /*v291*/, 8, v227
	s_set_vgpr_msb 0x44                     ;  msbs: dst=1 src0=0 src1=1 src2=0
	v_dual_lshlrev_b32 v7 /*v263*/, 4, v7 /*v263*/ :: v_dual_lshlrev_b32 v12 /*v268*/, 12, v12 /*v268*/
	s_set_vgpr_msb 0                        ;  msbs: dst=0 src0=0 src1=0 src2=0
	v_bfe_i32 v227, v227, 0, 8
	s_set_vgpr_msb 0x44                     ;  msbs: dst=1 src0=0 src1=1 src2=0
	v_add_nc_u16 v6 /*v262*/, 0xf000, v25 /*v281*/
	s_set_vgpr_msb 0x41                     ;  msbs: dst=1 src0=1 src1=0 src2=0
	v_bfe_i32 v13 /*v269*/, v35 /*v291*/, 0, 8
	s_set_vgpr_msb 0x44                     ;  msbs: dst=1 src0=0 src1=1 src2=0
	v_and_b32_e32 v14 /*v270*/, 0xf0f0f0f, v14 /*v270*/
	v_and_b32_e32 v7 /*v263*/, 16, v7 /*v263*/
	;; [unrolled: 1-line block ×3, first 2 shown]
	v_add_nc_u16 v31 /*v287*/, 0xf000, v31 /*v287*/
	s_set_vgpr_msb 0                        ;  msbs: dst=0 src0=0 src1=0 src2=0
	v_cvt_f16_i16_e64 v227, v227
	s_set_vgpr_msb 0x41                     ;  msbs: dst=1 src0=1 src1=0 src2=0
	v_cvt_f16_i16_e64 v13 /*v269*/, v13 /*v269*/
	s_set_vgpr_msb 0x55                     ;  msbs: dst=1 src0=1 src1=1 src2=1
	v_lshrrev_b32_e32 v6 /*v262*/, 8, v6 /*v262*/
	v_or3_b32 v7 /*v263*/, v7 /*v263*/, v14 /*v270*/, v12 /*v268*/
	v_mul_u32_u24_e32 v15 /*v271*/, 0x10001, v37 /*v293*/
	s_set_vgpr_msb 0                        ;  msbs: dst=0 src0=0 src1=0 src2=0
	v_pk_fma_f16 v45, v133, v32, v45
	s_set_vgpr_msb 4                        ;  msbs: dst=0 src0=0 src1=1 src2=0
	v_pack_b32_f16 v227, v227, v13 /*v269*/
	s_set_vgpr_msb 0x44                     ;  msbs: dst=1 src0=0 src1=1 src2=0
	v_ashrrev_i16 v13 /*v269*/, 8, v31 /*v287*/
	s_set_vgpr_msb 0x41                     ;  msbs: dst=1 src0=1 src1=0 src2=0
	v_bfe_i32 v6 /*v262*/, v6 /*v262*/, 0, 8
	s_set_vgpr_msb 0x45                     ;  msbs: dst=1 src0=1 src1=1 src2=0
	v_lshlrev_b16 v25 /*v281*/, 8, v7 /*v263*/
	v_dual_lshrrev_b32 v12 /*v268*/, v4 /*v260*/, v24 /*v280*/ :: v_dual_lshrrev_b32 v24 /*v280*/, v5 /*v261*/, v24 /*v280*/
	v_cvt_f16_i16_e64 v13 /*v269*/, v13 /*v269*/
	v_cvt_f16_i16_e64 v6 /*v262*/, v6 /*v262*/
	s_delay_alu instid0(VALU_DEP_4)
	v_add_nc_u16 v25 /*v281*/, 0xf000, v25 /*v281*/
	s_set_vgpr_msb 4                        ;  msbs: dst=0 src0=0 src1=1 src2=0
	v_pk_mul_f16 v227, v227, v15 /*v271*/
	s_set_vgpr_msb 0x45                     ;  msbs: dst=1 src0=1 src1=1 src2=0
	v_lshlrev_b32_e32 v12 /*v268*/, 20, v12 /*v268*/
	v_lshlrev_b32_e32 v24 /*v280*/, 28, v24 /*v280*/
	v_pack_b32_f16 v6 /*v262*/, v13 /*v269*/, v6 /*v262*/
	s_set_vgpr_msb 4                        ;  msbs: dst=0 src0=0 src1=1 src2=0
	v_lshrrev_b16 v133, 8, v25 /*v281*/
	s_set_vgpr_msb 0                        ;  msbs: dst=0 src0=0 src1=0 src2=0
	v_pk_fma_f16 v42, v227, v36, v42
	v_pk_fma_f16 v46, v227, v32, v46
	s_set_vgpr_msb 0x45                     ;  msbs: dst=1 src0=1 src1=1 src2=0
	v_and_b32_e32 v13 /*v269*/, 0x10000000, v24 /*v280*/
	v_pk_mul_f16 v6 /*v262*/, v6 /*v262*/, v15 /*v271*/
	s_set_vgpr_msb 1                        ;  msbs: dst=0 src0=1 src1=0 src2=0
	v_bitop3_b16 v133, v7 /*v263*/, v133, 0x1f00 bitop3:0xec
	v_mul_u32_u24_e32 v34, 0x10001, v34
	v_lshrrev_b32_e32 v227, 16, v35
	v_and_b32_e32 v35, 0xffff, v35
	v_pk_fma_f16 v43, v6 /*v262*/, v36, v43
	v_add_nc_u16 v36, 0xf000, v133
	v_pk_fma_f16 v47, v6 /*v262*/, v32, v47
	s_wait_loadcnt 0x12
	s_set_vgpr_msb 0x44                     ;  msbs: dst=1 src0=0 src1=1 src2=0
	v_lshrrev_b32_e32 v6 /*v262*/, v254, v26 /*v282*/
	v_and_b32_e32 v12 /*v268*/, 0x100000, v12 /*v268*/
	s_set_vgpr_msb 64                       ;  msbs: dst=1 src0=0 src1=0 src2=0
	ds_store_b128 v239, v[40:43]
	ds_store_b128 v239, v[44:47] offset:16
	v_lshrrev_b32_e32 v7 /*v263*/, 8, v36
	s_set_vgpr_msb 0                        ;  msbs: dst=0 src0=0 src1=0 src2=0
	v_bfe_i32 v36, v36, 0, 8
	s_set_vgpr_msb 0x55                     ;  msbs: dst=1 src0=1 src1=1 src2=1
	v_or3_b32 v12 /*v268*/, v14 /*v270*/, v12 /*v268*/, v13 /*v269*/
	s_clause 0x1
	global_load_b32 v14 /*v270*/, v[16:17] /*v[272:273]*/, off offset:2
	global_load_u16 v15 /*v271*/, v[8:9] /*v[264:265]*/, off
	v_bfe_i32 v7 /*v263*/, v7 /*v263*/, 0, 8
	s_set_vgpr_msb 4                        ;  msbs: dst=0 src0=0 src1=1 src2=0
	v_cvt_f16_i16_e32 v36, v36
	v_lshrrev_b32_e32 v32, 16, v12 /*v268*/
	s_set_vgpr_msb 0x45                     ;  msbs: dst=1 src0=1 src1=1 src2=0
	v_lshrrev_b32_e32 v12 /*v268*/, v3 /*v259*/, v26 /*v282*/
	v_ashrrev_i32_e32 v13 /*v269*/, v2 /*v258*/, v22 /*v278*/
	v_cvt_f16_i16_e64 v7 /*v263*/, v7 /*v263*/
	v_mul_u32_u24_e32 v22 /*v278*/, 0x10001, v44 /*v300*/
	s_set_vgpr_msb 0                        ;  msbs: dst=0 src0=0 src1=0 src2=0
	v_lshlrev_b16 v133, 8, v32
	v_and_b32_e32 v32, 0x1f00, v32
	s_wait_xcnt 0x0
	s_set_vgpr_msb 0x44                     ;  msbs: dst=1 src0=0 src1=1 src2=0
	v_lshlrev_b32_e32 v8 /*v264*/, 12, v12 /*v268*/
	s_set_vgpr_msb 4                        ;  msbs: dst=0 src0=0 src1=1 src2=0
	v_pack_b32_f16 v36, v36, v7 /*v263*/
	s_set_vgpr_msb 0x45                     ;  msbs: dst=1 src0=1 src1=1 src2=0
	v_lshrrev_b32_e32 v7 /*v263*/, v4 /*v260*/, v26 /*v282*/
	v_lshlrev_b32_e32 v6 /*v262*/, 4, v6 /*v262*/
	v_and_b32_e32 v9 /*v265*/, 0xf0f0f0f, v13 /*v269*/
	v_and_b32_e32 v8 /*v264*/, 0x1000, v8 /*v264*/
	s_set_vgpr_msb 0                        ;  msbs: dst=0 src0=0 src1=0 src2=0
	v_add_nc_u16 v32, 0xf000, v32
	s_set_vgpr_msb 0x44                     ;  msbs: dst=1 src0=0 src1=1 src2=0
	v_dual_lshlrev_b32 v7 /*v263*/, 20, v7 /*v263*/ :: v_dual_bitop2_b32 v6 /*v262*/, 16, v6 /*v262*/ bitop3:0x40
	s_set_vgpr_msb 0                        ;  msbs: dst=0 src0=0 src1=0 src2=0
	v_add_nc_u16 v133, 0xf000, v133
	s_set_vgpr_msb 0x44                     ;  msbs: dst=1 src0=0 src1=1 src2=0
	v_mul_u32_u24_e32 v12 /*v268*/, 0x10001, v34 /*v290*/
	s_set_vgpr_msb 0                        ;  msbs: dst=0 src0=0 src1=0 src2=0
	v_lshrrev_b32_e32 v32, 8, v32
	s_set_vgpr_msb 0x55                     ;  msbs: dst=1 src0=1 src1=1 src2=1
	v_and_b32_e32 v7 /*v263*/, 0x100000, v7 /*v263*/
	v_or3_b32 v6 /*v262*/, v6 /*v262*/, v9 /*v265*/, v8 /*v264*/
	v_lshrrev_b32_e32 v8 /*v264*/, v5 /*v261*/, v26 /*v282*/
	s_set_vgpr_msb 0                        ;  msbs: dst=0 src0=0 src1=0 src2=0
	v_ashrrev_i16 v133, 8, v133
	v_bfe_i32 v32, v32, 0, 8
	s_set_vgpr_msb 4                        ;  msbs: dst=0 src0=0 src1=1 src2=0
	v_pk_mul_f16 v36, v36, v12 /*v268*/
	s_set_vgpr_msb 0x44                     ;  msbs: dst=1 src0=0 src1=1 src2=0
	v_lshlrev_b16 v13 /*v269*/, 8, v6 /*v262*/
	v_lshlrev_b32_e32 v8 /*v264*/, 28, v8 /*v264*/
	s_set_vgpr_msb 4                        ;  msbs: dst=0 src0=0 src1=1 src2=0
	v_cvt_f16_i16_e64 v133, v133
	v_cvt_f16_i16_e32 v32, v32
	v_pk_fma_f16 v40, v36, v18 /*v274*/, v40
	s_set_vgpr_msb 0x44                     ;  msbs: dst=1 src0=0 src1=1 src2=0
	v_add_nc_u16 v13 /*v269*/, 0xf000, v13 /*v269*/
	v_and_b32_e32 v8 /*v264*/, 0x10000000, v8 /*v264*/
	s_set_vgpr_msb 4                        ;  msbs: dst=0 src0=0 src1=1 src2=0
	v_pk_fma_f16 v44, v36, v22 /*v278*/, v44
	s_set_vgpr_msb 0                        ;  msbs: dst=0 src0=0 src1=0 src2=0
	v_pack_b32_f16 v32, v133, v32
	s_set_vgpr_msb 0x44                     ;  msbs: dst=1 src0=0 src1=1 src2=0
	v_lshrrev_b16 v13 /*v269*/, 8, v13 /*v269*/
	s_set_vgpr_msb 21                       ;  msbs: dst=0 src0=1 src1=1 src2=1
	v_or3_b32 v133, v9 /*v265*/, v7 /*v263*/, v8 /*v264*/
	s_set_vgpr_msb 4                        ;  msbs: dst=0 src0=0 src1=1 src2=0
	v_pk_mul_f16 v32, v32, v12 /*v268*/
	s_set_vgpr_msb 0x45                     ;  msbs: dst=1 src0=1 src1=1 src2=0
	v_bitop3_b16 v6 /*v262*/, v6 /*v262*/, v13 /*v269*/, 0x1f00 bitop3:0xec
	s_set_vgpr_msb 0                        ;  msbs: dst=0 src0=0 src1=0 src2=0
	v_lshrrev_b32_e32 v133, 16, v133
	s_set_vgpr_msb 4                        ;  msbs: dst=0 src0=0 src1=1 src2=0
	v_pk_fma_f16 v41, v32, v18 /*v274*/, v41
	v_pk_fma_f16 v45, v32, v22 /*v278*/, v45
	s_set_vgpr_msb 0x44                     ;  msbs: dst=1 src0=0 src1=1 src2=0
	v_add_nc_u16 v8 /*v264*/, 0xf000, v6 /*v262*/
	s_set_vgpr_msb 0                        ;  msbs: dst=0 src0=0 src1=0 src2=0
	v_and_b32_e32 v32, 0x1f00, v133
	s_set_vgpr_msb 0x41                     ;  msbs: dst=1 src0=1 src1=0 src2=0
	v_add_nc_u64_e32 v[6:7] /*v[262:263]*/, v[16:17] /*v[272:273]*/, v[188:189]
	s_set_vgpr_msb 4                        ;  msbs: dst=0 src0=0 src1=1 src2=0
	v_lshrrev_b32_e32 v36, 8, v8 /*v264*/
	s_set_vgpr_msb 0                        ;  msbs: dst=0 src0=0 src1=0 src2=0
	v_add_nc_u16 v32, 0xf000, v32
	s_wait_loadcnt 0x11
	s_set_vgpr_msb 0x45                     ;  msbs: dst=1 src0=1 src1=1 src2=0
	v_dual_lshrrev_b32 v26 /*v282*/, v4 /*v260*/, v33 /*v289*/ :: v_dual_lshrrev_b32 v27 /*v283*/, v5 /*v261*/, v33 /*v289*/
	global_load_b32 v16 /*v272*/, v[6:7] /*v[262:263]*/, off offset:6
	s_wait_xcnt 0x0
	v_bfe_i32 v6 /*v262*/, v8 /*v264*/, 0, 8
	s_set_vgpr_msb 0                        ;  msbs: dst=0 src0=0 src1=0 src2=0
	v_lshrrev_b32_e32 v32, 8, v32
	v_lshlrev_b16 v133, 8, v133
	s_set_vgpr_msb 0x45                     ;  msbs: dst=1 src0=1 src1=1 src2=0
	v_dual_lshrrev_b32 v7 /*v263*/, v3 /*v259*/, v33 /*v289*/ :: v_dual_ashrrev_i32 v8 /*v264*/, v2 /*v258*/, v30 /*v286*/
	v_cvt_f16_i16_e64 v12 /*v268*/, v6 /*v262*/
	s_set_vgpr_msb 0x44                     ;  msbs: dst=1 src0=0 src1=1 src2=0
	v_lshrrev_b32_e32 v6 /*v262*/, v254, v33 /*v289*/
	s_set_vgpr_msb 0                        ;  msbs: dst=0 src0=0 src1=0 src2=0
	v_add_nc_u16 v133, 0xf000, v133
	v_bfe_i32 v36, v36, 0, 8
	v_bfe_i32 v32, v32, 0, 8
	s_set_vgpr_msb 0x44                     ;  msbs: dst=1 src0=0 src1=1 src2=0
	v_dual_lshlrev_b32 v7 /*v263*/, 12, v7 /*v263*/ :: v_dual_lshlrev_b32 v6 /*v262*/, 4, v6 /*v262*/
	s_set_vgpr_msb 0                        ;  msbs: dst=0 src0=0 src1=0 src2=0
	v_ashrrev_i16 v133, 8, v133
	v_cvt_f16_i16_e32 v36, v36
	v_cvt_f16_i16_e32 v32, v32
	s_set_vgpr_msb 0x44                     ;  msbs: dst=1 src0=0 src1=1 src2=0
	v_and_b32_e32 v24 /*v280*/, 0xf0f0f0f, v8 /*v264*/
	v_and_b32_e32 v13 /*v269*/, 16, v6 /*v262*/
	s_set_vgpr_msb 0                        ;  msbs: dst=0 src0=0 src1=0 src2=0
	v_cvt_f16_i16_e64 v133, v133
	s_set_vgpr_msb 0x44                     ;  msbs: dst=1 src0=0 src1=1 src2=0
	v_and_b32_e32 v25 /*v281*/, 0x1000, v7 /*v263*/
	s_set_vgpr_msb 0x41                     ;  msbs: dst=1 src0=1 src1=0 src2=0
	v_add_nc_u64_e32 v[6:7] /*v[262:263]*/, v[10:11] /*v[266:267]*/, v[230:231]
	v_add_nc_u64_e32 v[8:9] /*v[264:265]*/, s[10:11], v[204:205]
	s_wait_loadcnt 0x11
	s_set_vgpr_msb 0x44                     ;  msbs: dst=1 src0=0 src1=1 src2=0
	v_mul_u32_u24_e32 v17 /*v273*/, 0x10001, v36 /*v292*/
	s_set_vgpr_msb 1                        ;  msbs: dst=0 src0=1 src1=0 src2=0
	v_pack_b32_f16 v36, v12 /*v268*/, v36
	s_set_vgpr_msb 0                        ;  msbs: dst=0 src0=0 src1=0 src2=0
	v_pack_b32_f16 v32, v133, v32
	s_set_vgpr_msb 21                       ;  msbs: dst=0 src0=1 src1=1 src2=1
	v_or3_b32 v133, v13 /*v269*/, v24 /*v280*/, v25 /*v281*/
	s_set_vgpr_msb 0x44                     ;  msbs: dst=1 src0=0 src1=1 src2=0
	v_dual_lshlrev_b32 v25 /*v281*/, 20, v26 /*v282*/ :: v_dual_lshlrev_b32 v26 /*v282*/, 28, v27 /*v283*/
	s_set_vgpr_msb 0x41                     ;  msbs: dst=1 src0=1 src1=0 src2=0
	v_add_nc_u64_e32 v[10:11] /*v[266:267]*/, v[6:7] /*v[262:263]*/, v[190:191]
	v_add_nc_u64_e32 v[12:13] /*v[268:269]*/, v[8:9] /*v[264:265]*/, v[232:233]
	s_set_vgpr_msb 4                        ;  msbs: dst=0 src0=0 src1=1 src2=0
	v_pk_mul_f16 v36, v36, v17 /*v273*/
	v_pk_mul_f16 v32, v32, v17 /*v273*/
	s_set_vgpr_msb 0x44                     ;  msbs: dst=1 src0=0 src1=1 src2=0
	v_and_b32_e32 v17 /*v273*/, 0x100000, v25 /*v281*/
	v_and_b32_e32 v25 /*v281*/, 0x10000000, v26 /*v282*/
	s_set_vgpr_msb 0x41                     ;  msbs: dst=1 src0=1 src1=0 src2=0
	v_lshlrev_b16 v26 /*v282*/, 8, v133
	s_clause 0x2
	global_load_b32 v27 /*v283*/, v[10:11] /*v[266:267]*/, off offset:6
	global_load_u16 v30 /*v286*/, v[12:13] /*v[268:269]*/, off
	global_load_b32 v31 /*v287*/, v[6:7] /*v[262:263]*/, off offset:2
	s_set_vgpr_msb 4                        ;  msbs: dst=0 src0=0 src1=1 src2=0
	v_pk_fma_f16 v42, v36, v18 /*v274*/, v42
	v_pk_fma_f16 v46, v36, v22 /*v278*/, v46
	s_wait_xcnt 0x2
	s_set_vgpr_msb 0x55                     ;  msbs: dst=1 src0=1 src1=1 src2=1
	v_or3_b32 v11 /*v267*/, v24 /*v280*/, v17 /*v273*/, v25 /*v281*/
	v_add_nc_u16 v10 /*v266*/, 0xf000, v26 /*v282*/
	s_set_vgpr_msb 4                        ;  msbs: dst=0 src0=0 src1=1 src2=0
	v_pk_fma_f16 v43, v32, v18 /*v274*/, v43
	v_pk_fma_f16 v47, v32, v22 /*v278*/, v47
	s_wait_loadcnt 0x13
	s_set_vgpr_msb 0x45                     ;  msbs: dst=1 src0=1 src1=1 src2=0
	v_ashrrev_i32_e32 v17 /*v273*/, v2 /*v258*/, v20 /*v276*/
	s_set_vgpr_msb 4                        ;  msbs: dst=0 src0=0 src1=1 src2=0
	v_lshrrev_b32_e32 v36, 16, v11 /*v267*/
	v_lshrrev_b16 v32, 8, v10 /*v266*/
	s_set_vgpr_msb 64                       ;  msbs: dst=1 src0=0 src1=0 src2=0
	v_mul_u32_u24_e32 v10 /*v266*/, 0x10001, v37
	s_wait_loadcnt 0xc
	s_set_vgpr_msb 4                        ;  msbs: dst=0 src0=0 src1=1 src2=0
	v_lshrrev_b32_e32 v37, v254, v43 /*v299*/
	s_set_vgpr_msb 0x45                     ;  msbs: dst=1 src0=1 src1=1 src2=0
	v_dual_lshrrev_b32 v11 /*v267*/, v3 /*v259*/, v43 /*v299*/ :: v_dual_lshrrev_b32 v22 /*v278*/, v5 /*v261*/, v43 /*v299*/
	v_ashrrev_i32_e32 v21 /*v277*/, v2 /*v258*/, v21 /*v277*/
	s_set_vgpr_msb 0                        ;  msbs: dst=0 src0=0 src1=0 src2=0
	v_bitop3_b16 v32, v133, v32, 0x1f00 bitop3:0xec
	v_lshlrev_b32_e32 v37, 4, v37
	s_set_vgpr_msb 0x44                     ;  msbs: dst=1 src0=0 src1=1 src2=0
	v_dual_lshlrev_b32 v11 /*v267*/, 12, v11 /*v267*/ :: v_dual_lshlrev_b32 v22 /*v278*/, 28, v22 /*v278*/
	s_set_vgpr_msb 0                        ;  msbs: dst=0 src0=0 src1=0 src2=0
	v_lshlrev_b16 v133, 8, v36
	v_and_b32_e32 v36, 0x1f00, v36
	s_set_vgpr_msb 0x44                     ;  msbs: dst=1 src0=0 src1=1 src2=0
	v_and_b32_e32 v17 /*v273*/, 0xf0f0f0f, v17 /*v273*/
	s_set_vgpr_msb 0                        ;  msbs: dst=0 src0=0 src1=0 src2=0
	v_and_b32_e32 v37, 16, v37
	s_set_vgpr_msb 0x44                     ;  msbs: dst=1 src0=0 src1=1 src2=0
	v_and_b32_e32 v11 /*v267*/, 0x1000, v11 /*v267*/
	s_set_vgpr_msb 0                        ;  msbs: dst=0 src0=0 src1=0 src2=0
	v_add_nc_u16 v32, 0xf000, v32
	v_add_nc_u16 v36, 0xf000, v36
	s_set_vgpr_msb 0x41                     ;  msbs: dst=1 src0=1 src1=0 src2=0
	v_add_nc_u64_e32 v[8:9] /*v[264:265]*/, v[8:9] /*v[264:265]*/, v[230:231]
	s_set_vgpr_msb 0                        ;  msbs: dst=0 src0=0 src1=0 src2=0
	ds_store_b128 v239, v[40:43]
	ds_store_b128 v239, v[44:47] offset:16
	s_set_vgpr_msb 0x54                     ;  msbs: dst=1 src0=0 src1=1 src2=1
	v_or3_b32 v11 /*v267*/, v37, v17 /*v273*/, v11 /*v267*/
	s_set_vgpr_msb 5                        ;  msbs: dst=0 src0=1 src1=1 src2=0
	v_lshrrev_b32_e32 v37, v4 /*v260*/, v43 /*v299*/
	s_set_vgpr_msb 64                       ;  msbs: dst=1 src0=0 src1=0 src2=0
	v_lshrrev_b32_e32 v18 /*v274*/, 8, v32
	v_lshrrev_b32_e32 v24 /*v280*/, 8, v36
	s_set_vgpr_msb 0x44                     ;  msbs: dst=1 src0=0 src1=1 src2=0
	v_mul_u32_u24_e32 v20 /*v276*/, 0x10001, v23 /*v279*/
	v_lshlrev_b16 v23 /*v279*/, 8, v11 /*v267*/
	s_set_vgpr_msb 64                       ;  msbs: dst=1 src0=0 src1=0 src2=0
	v_lshlrev_b32_e32 v25 /*v281*/, 20, v37
	s_set_vgpr_msb 1                        ;  msbs: dst=0 src0=1 src1=0 src2=0
	v_add_nc_u64_e32 v[36:37], v[12:13] /*v[268:269]*/, v[188:189]
	s_set_vgpr_msb 64                       ;  msbs: dst=1 src0=0 src1=0 src2=0
	s_clause 0x4
	global_load_b32 v26 /*v282*/, v[36:37], off offset:6
	s_set_vgpr_msb 0x41                     ;  msbs: dst=1 src0=1 src1=0 src2=0
	global_load_u16 v33 /*v289*/, v[8:9] /*v[264:265]*/, off
	global_load_b32 v34 /*v290*/, v[12:13] /*v[268:269]*/, off offset:2
	global_load_u16 v35 /*v291*/, v[6:7] /*v[262:263]*/, off
	s_set_vgpr_msb 0                        ;  msbs: dst=0 src0=0 src1=0 src2=0
	v_add_nc_u16 v133, 0xf000, v133
	s_set_vgpr_msb 0x44                     ;  msbs: dst=1 src0=0 src1=1 src2=0
	v_add_nc_u16 v23 /*v279*/, 0xf000, v23 /*v279*/
	s_set_vgpr_msb 0                        ;  msbs: dst=0 src0=0 src1=0 src2=0
	v_bfe_i32 v32, v32, 0, 8
	s_set_vgpr_msb 0x41                     ;  msbs: dst=1 src0=1 src1=0 src2=0
	v_bfe_i32 v18 /*v274*/, v18 /*v274*/, 0, 8
	v_bfe_i32 v24 /*v280*/, v24 /*v280*/, 0, 8
	s_set_vgpr_msb 0                        ;  msbs: dst=0 src0=0 src1=0 src2=0
	v_ashrrev_i16 v133, 8, v133
	s_set_vgpr_msb 0x44                     ;  msbs: dst=1 src0=0 src1=1 src2=0
	v_lshrrev_b16 v23 /*v279*/, 8, v23 /*v279*/
	s_set_vgpr_msb 0                        ;  msbs: dst=0 src0=0 src1=0 src2=0
	v_cvt_f16_i16_e32 v32, v32
	s_set_vgpr_msb 0x41                     ;  msbs: dst=1 src0=1 src1=0 src2=0
	v_cvt_f16_i16_e64 v18 /*v274*/, v18 /*v274*/
	s_set_vgpr_msb 0x44                     ;  msbs: dst=1 src0=0 src1=1 src2=0
	v_and_b32_e32 v25 /*v281*/, 0x100000, v25 /*v281*/
	v_and_b32_e32 v22 /*v278*/, 0x10000000, v22 /*v278*/
	s_set_vgpr_msb 0                        ;  msbs: dst=0 src0=0 src1=0 src2=0
	v_cvt_f16_i16_e64 v133, v133
	s_wait_xcnt 0x3
	s_set_vgpr_msb 5                        ;  msbs: dst=0 src0=1 src1=1 src2=0
	v_cvt_f16_i16_e64 v36, v24 /*v280*/
	v_bitop3_b16 v37, v11 /*v267*/, v23 /*v279*/, 0x1f00 bitop3:0xec
	s_set_vgpr_msb 4                        ;  msbs: dst=0 src0=0 src1=1 src2=0
	v_pack_b32_f16 v32, v32, v18 /*v274*/
	s_wait_xcnt 0x0
	s_set_vgpr_msb 0x55                     ;  msbs: dst=1 src0=1 src1=1 src2=1
	v_or3_b32 v6 /*v262*/, v17 /*v273*/, v25 /*v281*/, v22 /*v278*/
	v_mul_u32_u24_e32 v17 /*v273*/, 0x10001, v32 /*v288*/
	s_set_vgpr_msb 0                        ;  msbs: dst=0 src0=0 src1=0 src2=0
	v_pack_b32_f16 v36, v133, v36
	v_add_nc_u16 v37, 0xf000, v37
	s_set_vgpr_msb 4                        ;  msbs: dst=0 src0=0 src1=1 src2=0
	v_pk_mul_f16 v32, v32, v20 /*v276*/
	s_set_vgpr_msb 0                        ;  msbs: dst=0 src0=0 src1=0 src2=0
	v_mul_u32_u24_e32 v133, 0x10001, v33
	s_set_vgpr_msb 4                        ;  msbs: dst=0 src0=0 src1=1 src2=0
	v_lshrrev_b32_e32 v33, 16, v6 /*v262*/
	s_set_vgpr_msb 0x44                     ;  msbs: dst=1 src0=0 src1=1 src2=0
	v_pk_mul_f16 v11 /*v267*/, v36, v20 /*v276*/
	s_set_vgpr_msb 0                        ;  msbs: dst=0 src0=0 src1=0 src2=0
	v_lshrrev_b32_e32 v36, 8, v37
	s_set_vgpr_msb 4                        ;  msbs: dst=0 src0=0 src1=1 src2=0
	v_pk_fma_f16 v40, v32, v10 /*v266*/, v40
	s_set_vgpr_msb 0                        ;  msbs: dst=0 src0=0 src1=0 src2=0
	v_pk_fma_f16 v44, v32, v133, v44
	s_set_vgpr_msb 64                       ;  msbs: dst=1 src0=0 src1=0 src2=0
	v_lshlrev_b16 v6 /*v262*/, 8, v33
	v_and_b32_e32 v7 /*v263*/, 0x1f00, v33
	s_set_vgpr_msb 0                        ;  msbs: dst=0 src0=0 src1=0 src2=0
	v_add_nc_u64_e32 v[32:33], s[10:11], v[206:207]
	v_bfe_i32 v37, v37, 0, 8
	v_bfe_i32 v36, v36, 0, 8
	s_set_vgpr_msb 0x45                     ;  msbs: dst=1 src0=1 src1=1 src2=0
	v_add_nc_u16 v12 /*v268*/, 0xf000, v6 /*v262*/
	v_add_nc_u16 v13 /*v269*/, 0xf000, v7 /*v263*/
	v_lshrrev_b32_e32 v22 /*v278*/, v3 /*v259*/, v41 /*v297*/
	s_set_vgpr_msb 64                       ;  msbs: dst=1 src0=0 src1=0 src2=0
	v_cvt_f16_i16_e64 v6 /*v262*/, v37
	v_cvt_f16_i16_e64 v7 /*v263*/, v36
	s_set_vgpr_msb 0                        ;  msbs: dst=0 src0=0 src1=0 src2=0
	v_add_nc_u64_e32 v[36:37], v[32:33], v[232:233]
	v_add_nc_u64_e32 v[32:33], v[32:33], v[230:231]
	s_set_vgpr_msb 1                        ;  msbs: dst=0 src0=1 src1=0 src2=0
	v_add_nc_u64_e32 v[230:231], v[8:9] /*v[264:265]*/, v[190:191]
	s_set_vgpr_msb 0x44                     ;  msbs: dst=1 src0=0 src1=1 src2=0
	v_dual_lshrrev_b32 v18 /*v274*/, v254, v41 /*v297*/ :: v_dual_lshlrev_b32 v22 /*v278*/, 12, v22 /*v278*/
	s_set_vgpr_msb 0x45                     ;  msbs: dst=1 src0=1 src1=1 src2=0
	v_pack_b32_f16 v20 /*v276*/, v6 /*v262*/, v7 /*v263*/
	v_lshrrev_b32_e32 v13 /*v269*/, 8, v13 /*v269*/
	s_set_vgpr_msb 0                        ;  msbs: dst=0 src0=0 src1=0 src2=0
	v_add_nc_u64_e32 v[232:233], v[36:37], v[188:189]
	s_set_vgpr_msb 64                       ;  msbs: dst=1 src0=0 src1=0 src2=0
	v_add_nc_u64_e32 v[6:7] /*v[262:263]*/, v[32:33], v[190:191]
	s_clause 0xa
	global_load_b32 v23 /*v279*/, v[230:231], off offset:6
	global_load_b32 v24 /*v280*/, v[232:233], off offset:6
	s_set_vgpr_msb 0x41                     ;  msbs: dst=1 src0=1 src1=0 src2=0
	global_load_b32 v25 /*v281*/, v[6:7] /*v[262:263]*/, off offset:6
	s_set_vgpr_msb 64                       ;  msbs: dst=1 src0=0 src1=0 src2=0
	global_load_b32 v32 /*v288*/, v[32:33], off offset:2
	global_load_u16 v36 /*v292*/, v[32:33], off
	global_load_b32 v37 /*v293*/, v[36:37], off offset:2
	global_load_u16 v43 /*v299*/, v[36:37], off
	s_set_vgpr_msb 0x41                     ;  msbs: dst=1 src0=1 src1=0 src2=0
	global_load_b32 v44 /*v300*/, v[8:9] /*v[264:265]*/, off offset:2
	s_set_vgpr_msb 0x44                     ;  msbs: dst=1 src0=0 src1=1 src2=0
	v_lshlrev_b32_e32 v18 /*v274*/, 4, v18 /*v274*/
	v_and_b32_e32 v21 /*v277*/, 0xf0f0f0f, v21 /*v277*/
	s_wait_xcnt 0x3
	s_set_vgpr_msb 5                        ;  msbs: dst=0 src0=1 src1=1 src2=0
	v_and_b32_e32 v33, 0x1000, v22 /*v278*/
	s_wait_xcnt 0x1
	v_dual_lshrrev_b32 v32, v4 /*v260*/, v41 /*v297*/ :: v_dual_lshrrev_b32 v36, v5 /*v261*/, v41 /*v297*/
	s_set_vgpr_msb 0x44                     ;  msbs: dst=1 src0=0 src1=1 src2=0
	v_and_b32_e32 v18 /*v274*/, 16, v18 /*v274*/
	s_set_vgpr_msb 4                        ;  msbs: dst=0 src0=0 src1=1 src2=0
	v_ashrrev_i16 v37, 8, v12 /*v268*/
	s_set_vgpr_msb 1                        ;  msbs: dst=0 src0=1 src1=0 src2=0
	v_bfe_i32 v230, v13 /*v269*/, 0, 8
	v_lshlrev_b32_e32 v32, 20, v32
	v_lshlrev_b32_e32 v36, 28, v36
	s_set_vgpr_msb 5                        ;  msbs: dst=0 src0=1 src1=1 src2=0
	v_or3_b32 v33, v18 /*v274*/, v21 /*v277*/, v33
	s_set_vgpr_msb 0                        ;  msbs: dst=0 src0=0 src1=0 src2=0
	v_cvt_f16_i16_e32 v37, v37
	v_cvt_f16_i16_e64 v230, v230
	v_and_b32_e32 v32, 0x100000, v32
	v_and_b32_e32 v36, 0x10000000, v36
	v_lshlrev_b16 v231, 8, v33
	s_set_vgpr_msb 1                        ;  msbs: dst=0 src0=1 src1=0 src2=0
	v_pk_fma_f16 v45, v11 /*v267*/, v133, v45
	s_set_vgpr_msb 0                        ;  msbs: dst=0 src0=0 src1=0 src2=0
	v_pack_b32_f16 v37, v37, v230
	s_set_vgpr_msb 5                        ;  msbs: dst=0 src0=1 src1=1 src2=0
	v_pk_mul_f16 v230, v20 /*v276*/, v17 /*v273*/
	s_set_vgpr_msb 1                        ;  msbs: dst=0 src0=1 src1=0 src2=0
	v_or3_b32 v32, v21 /*v277*/, v32, v36
	v_add_nc_u16 v231, 0xf000, v231
	s_set_vgpr_msb 0x45                     ;  msbs: dst=1 src0=1 src1=1 src2=0
	v_lshrrev_b32_e32 v6 /*v262*/, v5 /*v261*/, v39 /*v295*/
	s_set_vgpr_msb 4                        ;  msbs: dst=0 src0=0 src1=1 src2=0
	v_pk_mul_f16 v36, v37, v17 /*v273*/
	s_set_vgpr_msb 0                        ;  msbs: dst=0 src0=0 src1=0 src2=0
	v_pk_fma_f16 v46, v230, v133, v46
	v_lshrrev_b32_e32 v32, 16, v32
	v_lshrrev_b16 v37, 8, v231
	s_set_vgpr_msb 5                        ;  msbs: dst=0 src0=1 src1=1 src2=0
	v_dual_ashrrev_i32 v232, v2 /*v258*/, v28 /*v284*/ :: v_dual_lshrrev_b32 v233, v4 /*v260*/, v39 /*v295*/
	s_set_vgpr_msb 0                        ;  msbs: dst=0 src0=0 src1=0 src2=0
	v_pk_fma_f16 v47, v36, v133, v47
	s_set_vgpr_msb 5                        ;  msbs: dst=0 src0=1 src1=1 src2=0
	v_lshrrev_b32_e32 v133, v3 /*v259*/, v39 /*v295*/
	s_set_vgpr_msb 0                        ;  msbs: dst=0 src0=0 src1=0 src2=0
	v_bitop3_b16 v33, v33, v37, 0x1f00 bitop3:0xec
	s_set_vgpr_msb 4                        ;  msbs: dst=0 src0=0 src1=1 src2=0
	v_pk_fma_f16 v43, v36, v10 /*v266*/, v43
	s_set_vgpr_msb 0                        ;  msbs: dst=0 src0=0 src1=0 src2=0
	v_lshlrev_b16 v36, 8, v32
	v_and_b32_e32 v32, 0x1f00, v32
	v_lshlrev_b32_e32 v133, 12, v133
	v_add_nc_u16 v33, 0xf000, v33
	v_and_b32_e32 v232, 0xf0f0f0f, v232
	v_add_nc_u16 v36, 0xf000, v36
	v_add_nc_u16 v32, 0xf000, v32
	v_and_b32_e32 v133, 0x1000, v133
	v_lshrrev_b32_e32 v231, 8, v33
	v_bfe_i32 v33, v33, 0, 8
	v_ashrrev_i16 v36, 8, v36
	v_lshrrev_b32_e32 v32, 8, v32
	s_set_vgpr_msb 4                        ;  msbs: dst=0 src0=0 src1=1 src2=0
	v_pk_fma_f16 v42, v230, v10 /*v266*/, v42
	v_bfe_i32 v231, v231, 0, 8
	v_cvt_f16_i16_e32 v33, v33
	v_cvt_f16_i16_e32 v36, v36
	v_bfe_i32 v32, v32, 0, 8
	v_mul_u32_u24_e32 v230, 0x10001, v42 /*v298*/
	v_cvt_f16_i16_e64 v231, v231
	s_set_vgpr_msb 5                        ;  msbs: dst=0 src0=1 src1=1 src2=0
	v_pk_fma_f16 v41, v11 /*v267*/, v10 /*v266*/, v41
	s_set_vgpr_msb 0                        ;  msbs: dst=0 src0=0 src1=0 src2=0
	ds_store_b128 v239, v[40:43]
	ds_store_b128 v239, v[44:47] offset:16
	v_cvt_f16_i16_e32 v32, v32
	v_pack_b32_f16 v33, v33, v231
	s_set_vgpr_msb 4                        ;  msbs: dst=0 src0=0 src1=1 src2=0
	v_mul_u32_u24_e32 v231, 0x10001, v19 /*v275*/
	s_add_nc_u64 s[10:11], s[10:11], s[18:19]
	s_set_vgpr_msb 0                        ;  msbs: dst=0 src0=0 src1=0 src2=0
	v_pack_b32_f16 v32, v36, v32
	v_pk_mul_f16 v33, v33, v230
	s_delay_alu instid0(VALU_DEP_2) | instskip(NEXT) | instid1(VALU_DEP_2)
	v_pk_mul_f16 v32, v32, v230
	v_pk_fma_f16 v40, v33, v231, v40
	s_delay_alu instid0(VALU_DEP_2)
	v_pk_fma_f16 v41, v32, v231, v41
	s_wait_loadcnt 0x12
	s_wait_xcnt 0x0
	s_set_vgpr_msb 0x45                     ;  msbs: dst=1 src0=1 src1=1 src2=0
	v_dual_ashrrev_i32 v7 /*v263*/, v2 /*v258*/, v47 /*v303*/ :: v_dual_lshrrev_b32 v8 /*v264*/, v4 /*v260*/, v52 /*v308*/
	s_set_vgpr_msb 4                        ;  msbs: dst=0 src0=0 src1=1 src2=0
	v_lshrrev_b32_e32 v37, v254, v39 /*v295*/
	s_set_vgpr_msb 0x45                     ;  msbs: dst=1 src0=1 src1=1 src2=0
	s_delay_alu instid0(VALU_DEP_2) | instskip(SKIP_3) | instid1(VALU_DEP_1)
	v_and_b32_e32 v7 /*v263*/, 0xf0f0f0f, v7 /*v263*/
	v_lshrrev_b32_e32 v9 /*v265*/, v5 /*v261*/, v52 /*v308*/
	s_set_vgpr_msb 0                        ;  msbs: dst=0 src0=0 src1=0 src2=0
	v_lshlrev_b32_e32 v37, 4, v37
	v_and_b32_e32 v37, 16, v37
	s_delay_alu instid0(VALU_DEP_1)
	v_or3_b32 v37, v37, v232, v133
	v_lshlrev_b32_e32 v133, 20, v233
	s_set_vgpr_msb 4                        ;  msbs: dst=0 src0=0 src1=1 src2=0
	v_lshlrev_b32_e32 v233, 28, v6 /*v262*/
	s_set_vgpr_msb 64                       ;  msbs: dst=1 src0=0 src1=0 src2=0
	v_lshlrev_b16 v6 /*v262*/, 8, v37
	s_set_vgpr_msb 0                        ;  msbs: dst=0 src0=0 src1=0 src2=0
	v_and_b32_e32 v133, 0x100000, v133
	v_and_b32_e32 v233, 0x10000000, v233
	s_set_vgpr_msb 0x44                     ;  msbs: dst=1 src0=0 src1=1 src2=0
	v_add_nc_u16 v6 /*v262*/, 0xf000, v6 /*v262*/
	s_set_vgpr_msb 0                        ;  msbs: dst=0 src0=0 src1=0 src2=0
	s_delay_alu instid0(VALU_DEP_2)
	v_or3_b32 v133, v232, v133, v233
	s_set_vgpr_msb 4                        ;  msbs: dst=0 src0=0 src1=1 src2=0
	v_lshrrev_b32_e32 v233, v254, v52 /*v308*/
	v_lshrrev_b16 v232, 8, v6 /*v262*/
	s_set_vgpr_msb 0x45                     ;  msbs: dst=1 src0=1 src1=1 src2=0
	v_lshrrev_b32_e32 v6 /*v262*/, v3 /*v259*/, v52 /*v308*/
	s_set_vgpr_msb 0                        ;  msbs: dst=0 src0=0 src1=0 src2=0
	v_lshrrev_b32_e32 v36, 16, v133
	s_set_vgpr_msb 4                        ;  msbs: dst=0 src0=0 src1=1 src2=0
	v_mul_u32_u24_e32 v133, 0x10001, v45 /*v301*/
	s_set_vgpr_msb 0                        ;  msbs: dst=0 src0=0 src1=0 src2=0
	v_lshlrev_b32_e32 v233, 4, v233
	v_bitop3_b16 v37, v37, v232, 0x1f00 bitop3:0xec
	s_set_vgpr_msb 0x44                     ;  msbs: dst=1 src0=0 src1=1 src2=0
	v_lshlrev_b32_e32 v6 /*v262*/, 12, v6 /*v262*/
	s_set_vgpr_msb 0                        ;  msbs: dst=0 src0=0 src1=0 src2=0
	v_lshlrev_b16 v230, 8, v36
	v_and_b32_e32 v36, 0x1f00, v36
	v_pk_fma_f16 v44, v33, v133, v44
	v_and_b32_e32 v233, 16, v233
	s_set_vgpr_msb 0x44                     ;  msbs: dst=1 src0=0 src1=1 src2=0
	v_and_b32_e32 v6 /*v262*/, 0x1000, v6 /*v262*/
	s_set_vgpr_msb 0                        ;  msbs: dst=0 src0=0 src1=0 src2=0
	v_add_nc_u16 v33, 0xf000, v230
	v_add_nc_u16 v36, 0xf000, v36
	;; [unrolled: 1-line block ×3, first 2 shown]
	s_set_vgpr_msb 20                       ;  msbs: dst=0 src0=0 src1=1 src2=1
	v_mul_u32_u24_e32 v232, 0x10001, v40 /*v296*/
	v_or3_b32 v233, v233, v7 /*v263*/, v6 /*v262*/
	s_set_vgpr_msb 0                        ;  msbs: dst=0 src0=0 src1=0 src2=0
	v_ashrrev_i16 v33, 8, v33
	v_lshrrev_b32_e32 v36, 8, v36
	s_set_vgpr_msb 0x44                     ;  msbs: dst=1 src0=0 src1=1 src2=0
	v_dual_lshlrev_b32 v6 /*v262*/, 20, v8 /*v264*/ :: v_dual_lshlrev_b32 v8 /*v264*/, 28, v9 /*v265*/
	s_set_vgpr_msb 64                       ;  msbs: dst=1 src0=0 src1=0 src2=0
	v_lshlrev_b16 v9 /*v265*/, 8, v233
	s_set_vgpr_msb 0                        ;  msbs: dst=0 src0=0 src1=0 src2=0
	v_cvt_f16_i16_e32 v33, v33
	v_bfe_i32 v36, v36, 0, 8
	v_pk_fma_f16 v45, v32, v133, v45
	s_wait_loadcnt 0x11
	s_set_vgpr_msb 0x45                     ;  msbs: dst=1 src0=1 src1=1 src2=0
	v_lshrrev_b32_e32 v10 /*v266*/, v5 /*v261*/, v14 /*v270*/
	s_set_vgpr_msb 0                        ;  msbs: dst=0 src0=0 src1=0 src2=0
	v_cvt_f16_i16_e32 v36, v36
	s_delay_alu instid0(VALU_DEP_1)
	v_pack_b32_f16 v33, v33, v36
	s_set_vgpr_msb 4                        ;  msbs: dst=0 src0=0 src1=1 src2=0
	v_add_nc_u16 v36, 0xf000, v9 /*v265*/
	s_set_vgpr_msb 0x45                     ;  msbs: dst=1 src0=1 src1=1 src2=0
	v_lshrrev_b32_e32 v9 /*v265*/, v4 /*v260*/, v14 /*v270*/
	s_set_vgpr_msb 0                        ;  msbs: dst=0 src0=0 src1=0 src2=0
	v_pk_mul_f16 v33, v33, v232
	v_lshrrev_b16 v36, 8, v36
	s_delay_alu instid0(VALU_DEP_2) | instskip(NEXT) | instid1(VALU_DEP_2)
	v_pk_fma_f16 v47, v33, v133, v47
	v_bitop3_b16 v36, v233, v36, 0x1f00 bitop3:0xec
	v_pk_fma_f16 v43, v33, v231, v43
	s_set_vgpr_msb 5                        ;  msbs: dst=0 src0=1 src1=1 src2=0
	v_lshrrev_b32_e32 v233, v5 /*v261*/, v50 /*v306*/
	s_set_vgpr_msb 0                        ;  msbs: dst=0 src0=0 src1=0 src2=0
	v_add_nc_u16 v36, 0xf000, v36
	v_lshrrev_b32_e32 v230, 8, v37
	v_bfe_i32 v37, v37, 0, 8
	v_lshlrev_b32_e32 v233, 28, v233
	s_delay_alu instid0(VALU_DEP_3) | instskip(NEXT) | instid1(VALU_DEP_3)
	v_bfe_i32 v230, v230, 0, 8
	v_cvt_f16_i16_e32 v37, v37
	s_delay_alu instid0(VALU_DEP_3) | instskip(NEXT) | instid1(VALU_DEP_3)
	v_and_b32_e32 v233, 0x10000000, v233
	v_cvt_f16_i16_e64 v230, v230
	s_delay_alu instid0(VALU_DEP_1)
	v_pack_b32_f16 v37, v37, v230
	s_set_vgpr_msb 4                        ;  msbs: dst=0 src0=0 src1=1 src2=0
	v_and_b32_e32 v230, 0x100000, v6 /*v262*/
	s_set_vgpr_msb 0x44                     ;  msbs: dst=1 src0=0 src1=1 src2=0
	v_and_b32_e32 v6 /*v262*/, 0x10000000, v8 /*v264*/
	s_set_vgpr_msb 0                        ;  msbs: dst=0 src0=0 src1=0 src2=0
	v_pk_mul_f16 v37, v37, v232
	s_wait_loadcnt 0x10
	s_set_vgpr_msb 4                        ;  msbs: dst=0 src0=0 src1=1 src2=0
	v_mul_u32_u24_e32 v232, 0x10001, v15 /*v271*/
	s_set_vgpr_msb 17                       ;  msbs: dst=0 src0=1 src1=0 src2=1
	v_or3_b32 v32, v7 /*v263*/, v230, v6 /*v262*/
	s_set_vgpr_msb 5                        ;  msbs: dst=0 src0=1 src1=1 src2=0
	v_ashrrev_i32_e32 v230, v2 /*v258*/, v48 /*v304*/
	s_set_vgpr_msb 0x45                     ;  msbs: dst=1 src0=1 src1=1 src2=0
	v_lshrrev_b32_e32 v7 /*v263*/, v3 /*v259*/, v14 /*v270*/
	s_set_vgpr_msb 0                        ;  msbs: dst=0 src0=0 src1=0 src2=0
	v_pk_fma_f16 v42, v37, v231, v42
	v_pk_fma_f16 v46, v37, v133, v46
	v_and_b32_e32 v37, 0xffff, v38
	s_set_vgpr_msb 4                        ;  msbs: dst=0 src0=0 src1=1 src2=0
	v_lshrrev_b32_e32 v38, v254, v50 /*v306*/
	s_set_vgpr_msb 5                        ;  msbs: dst=0 src0=1 src1=1 src2=0
	v_lshrrev_b32_e32 v133, v3 /*v259*/, v50 /*v306*/
	s_set_vgpr_msb 0                        ;  msbs: dst=0 src0=0 src1=0 src2=0
	v_lshrrev_b32_e32 v32, 16, v32
	v_and_b32_e32 v230, 0xf0f0f0f, v230
	v_dual_lshrrev_b32 v231, 8, v36 :: v_dual_lshlrev_b32 v38, 4, v38
	v_lshlrev_b32_e32 v133, 12, v133
	s_delay_alu instid0(VALU_DEP_4)
	v_lshlrev_b16 v33, 8, v32
	v_and_b32_e32 v32, 0x1f00, v32
	v_bfe_i32 v36, v36, 0, 8
	v_and_b32_e32 v38, 16, v38
	v_and_b32_e32 v133, 0x1000, v133
	v_add_nc_u16 v33, 0xf000, v33
	v_add_nc_u16 v32, 0xf000, v32
	v_bfe_i32 v231, v231, 0, 8
	s_wait_loadcnt 0xf
	s_set_vgpr_msb 0x45                     ;  msbs: dst=1 src0=1 src1=1 src2=0
	v_ashrrev_i32_e32 v8 /*v264*/, v2 /*v258*/, v16 /*v272*/
	s_set_vgpr_msb 0                        ;  msbs: dst=0 src0=0 src1=0 src2=0
	v_or3_b32 v38, v38, v230, v133
	s_set_vgpr_msb 5                        ;  msbs: dst=0 src0=1 src1=1 src2=0
	v_lshrrev_b32_e32 v133, v4 /*v260*/, v50 /*v306*/
	s_set_vgpr_msb 0                        ;  msbs: dst=0 src0=0 src1=0 src2=0
	v_lshrrev_b32_e32 v32, 8, v32
	v_ashrrev_i16 v33, 8, v33
	s_set_vgpr_msb 0x44                     ;  msbs: dst=1 src0=0 src1=1 src2=0
	v_lshlrev_b32_e32 v7 /*v263*/, 12, v7 /*v263*/
	s_set_vgpr_msb 64                       ;  msbs: dst=1 src0=0 src1=0 src2=0
	v_lshlrev_b16 v6 /*v262*/, 8, v38
	s_set_vgpr_msb 0                        ;  msbs: dst=0 src0=0 src1=0 src2=0
	v_lshlrev_b32_e32 v133, 20, v133
	v_bfe_i32 v32, v32, 0, 8
	v_cvt_f16_i16_e32 v33, v33
	v_cvt_f16_i16_e32 v36, v36
	s_set_vgpr_msb 0x44                     ;  msbs: dst=1 src0=0 src1=1 src2=0
	v_add_nc_u16 v6 /*v262*/, 0xf000, v6 /*v262*/
	s_set_vgpr_msb 0                        ;  msbs: dst=0 src0=0 src1=0 src2=0
	v_and_b32_e32 v133, 0x100000, v133
	v_cvt_f16_i16_e32 v32, v32
	v_cvt_f16_i16_e64 v231, v231
	s_set_vgpr_msb 0x44                     ;  msbs: dst=1 src0=0 src1=1 src2=0
	v_and_b32_e32 v8 /*v264*/, 0xf0f0f0f, v8 /*v264*/
	v_lshrrev_b16 v6 /*v262*/, 8, v6 /*v262*/
	s_set_vgpr_msb 0                        ;  msbs: dst=0 src0=0 src1=0 src2=0
	v_or3_b32 v133, v230, v133, v233
	v_pack_b32_f16 v32, v33, v32
	s_set_vgpr_msb 4                        ;  msbs: dst=0 src0=0 src1=1 src2=0
	v_lshrrev_b32_e32 v233, v254, v14 /*v270*/
	s_set_vgpr_msb 0x44                     ;  msbs: dst=1 src0=0 src1=1 src2=0
	v_and_b32_e32 v7 /*v263*/, 0x1000, v7 /*v263*/
	s_set_vgpr_msb 4                        ;  msbs: dst=0 src0=0 src1=1 src2=0
	v_bitop3_b16 v33, v38, v6 /*v262*/, 0x1f00 bitop3:0xec
	s_set_vgpr_msb 0                        ;  msbs: dst=0 src0=0 src1=0 src2=0
	v_lshrrev_b32_e32 v38, 16, v133
	v_pack_b32_f16 v36, v36, v231
	v_lshlrev_b32_e32 v233, 4, v233
	v_mul_u32_u24_e32 v37, 0x10001, v37
	v_pk_mul_f16 v32, v32, v232
	v_lshlrev_b16 v133, 8, v38
	v_and_b32_e32 v38, 0x1f00, v38
	v_and_b32_e32 v233, 16, v233
	v_pk_mul_f16 v36, v36, v232
	v_add_nc_u16 v33, 0xf000, v33
	v_add_nc_u16 v133, 0xf000, v133
	;; [unrolled: 1-line block ×3, first 2 shown]
	s_set_vgpr_msb 0x54                     ;  msbs: dst=1 src0=0 src1=1 src2=1
	v_or3_b32 v11 /*v267*/, v233, v8 /*v264*/, v7 /*v263*/
	s_set_vgpr_msb 4                        ;  msbs: dst=0 src0=0 src1=1 src2=0
	v_lshlrev_b32_e32 v233, 20, v9 /*v265*/
	s_set_vgpr_msb 0x44                     ;  msbs: dst=1 src0=0 src1=1 src2=0
	v_lshlrev_b32_e32 v7 /*v263*/, 28, v10 /*v266*/
	s_set_vgpr_msb 0                        ;  msbs: dst=0 src0=0 src1=0 src2=0
	v_ashrrev_i16 v133, 8, v133
	v_lshrrev_b32_e32 v38, 8, v38
	s_set_vgpr_msb 4                        ;  msbs: dst=0 src0=0 src1=1 src2=0
	v_mul_u32_u24_e32 v232, 0x10001, v51 /*v307*/
	s_set_vgpr_msb 0                        ;  msbs: dst=0 src0=0 src1=0 src2=0
	v_pk_fma_f16 v230, v36, v37, v40
	s_set_vgpr_msb 64                       ;  msbs: dst=1 src0=0 src1=0 src2=0
	v_pk_fma_f16 v6 /*v262*/, v36, v34, v44
	s_set_vgpr_msb 0                        ;  msbs: dst=0 src0=0 src1=0 src2=0
	v_cvt_f16_i16_e64 v133, v133
	v_bfe_i32 v38, v38, 0, 8
	v_pk_fma_f16 v231, v32, v37, v41
	ds_store_b128 v239, v[40:43]
	ds_store_b128 v239, v[44:47] offset:16
	s_set_vgpr_msb 4                        ;  msbs: dst=0 src0=0 src1=1 src2=0
	v_mul_u32_u24_e32 v41, 0x10001, v49 /*v305*/
	v_cvt_f16_i16_e32 v38, v38
	s_set_vgpr_msb 0                        ;  msbs: dst=0 src0=0 src1=0 src2=0
	s_delay_alu instid0(VALU_DEP_1)
	v_pack_b32_f16 v38, v133, v38
	v_and_b32_e32 v133, 0x100000, v233
	s_set_vgpr_msb 4                        ;  msbs: dst=0 src0=0 src1=1 src2=0
	v_and_b32_e32 v233, 0x10000000, v7 /*v263*/
	s_set_vgpr_msb 64                       ;  msbs: dst=1 src0=0 src1=0 src2=0
	v_pk_fma_f16 v7 /*v263*/, v32, v34, v45
	s_set_vgpr_msb 0                        ;  msbs: dst=0 src0=0 src1=0 src2=0
	v_pk_mul_f16 v32, v38, v232
	s_set_vgpr_msb 1                        ;  msbs: dst=0 src0=1 src1=0 src2=0
	v_or3_b32 v38, v8 /*v264*/, v133, v233
	v_lshrrev_b32_e32 v36, 8, v33
	s_set_vgpr_msb 0                        ;  msbs: dst=0 src0=0 src1=0 src2=0
	v_bfe_i32 v33, v33, 0, 8
	v_pk_fma_f16 v233, v32, v37, v43
	s_set_vgpr_msb 64                       ;  msbs: dst=1 src0=0 src1=0 src2=0
	v_pk_fma_f16 v9 /*v265*/, v32, v34, v47
	s_wait_loadcnt 0x9
	s_set_vgpr_msb 4                        ;  msbs: dst=0 src0=0 src1=1 src2=0
	v_lshrrev_b32_e32 v45, v254, v34 /*v290*/
	v_bfe_i32 v36, v36, 0, 8
	v_cvt_f16_i16_e32 v33, v33
	s_set_vgpr_msb 5                        ;  msbs: dst=0 src0=1 src1=1 src2=0
	v_ashrrev_i32_e32 v47, v2 /*v258*/, v26 /*v282*/
	v_lshrrev_b32_e32 v133, v4 /*v260*/, v34 /*v290*/
	s_set_vgpr_msb 0                        ;  msbs: dst=0 src0=0 src1=0 src2=0
	v_lshlrev_b32_e32 v45, 4, v45
	v_cvt_f16_i16_e32 v36, v36
	v_and_b32_e32 v47, 0xf0f0f0f, v47
	s_delay_alu instid0(VALU_DEP_3) | instskip(NEXT) | instid1(VALU_DEP_3)
	v_and_b32_e32 v45, 16, v45
	v_pack_b32_f16 v33, v33, v36
	s_set_vgpr_msb 4                        ;  msbs: dst=0 src0=0 src1=1 src2=0
	v_lshlrev_b16 v36, 8, v11 /*v267*/
	s_set_vgpr_msb 0                        ;  msbs: dst=0 src0=0 src1=0 src2=0
	s_delay_alu instid0(VALU_DEP_2) | instskip(NEXT) | instid1(VALU_DEP_2)
	v_pk_mul_f16 v33, v33, v232
	v_add_nc_u16 v36, 0xf000, v36
	s_delay_alu instid0(VALU_DEP_2) | instskip(NEXT) | instid1(VALU_DEP_2)
	v_pk_fma_f16 v232, v33, v37, v42
	v_lshrrev_b16 v36, 8, v36
	s_set_vgpr_msb 5                        ;  msbs: dst=0 src0=1 src1=1 src2=0
	v_lshrrev_b32_e32 v37, v3 /*v259*/, v31 /*v287*/
	s_set_vgpr_msb 64                       ;  msbs: dst=1 src0=0 src1=0 src2=0
	v_pk_fma_f16 v8 /*v264*/, v33, v34, v46
	s_set_vgpr_msb 0                        ;  msbs: dst=0 src0=0 src1=0 src2=0
	v_lshrrev_b32_e32 v33, 16, v38
	s_set_vgpr_msb 5                        ;  msbs: dst=0 src0=1 src1=1 src2=0
	v_dual_ashrrev_i32 v38, v2 /*v258*/, v27 /*v283*/ :: v_dual_lshrrev_b32 v46, v3 /*v259*/, v34 /*v290*/
	s_set_vgpr_msb 1                        ;  msbs: dst=0 src0=1 src1=0 src2=0
	v_bitop3_b16 v32, v11 /*v267*/, v36, 0x1f00 bitop3:0xec
	s_set_vgpr_msb 4                        ;  msbs: dst=0 src0=0 src1=1 src2=0
	v_lshrrev_b32_e32 v36, v254, v31 /*v287*/
	s_set_vgpr_msb 0                        ;  msbs: dst=0 src0=0 src1=0 src2=0
	v_lshlrev_b16 v34, 8, v33
	v_and_b32_e32 v33, 0x1f00, v33
	v_and_b32_e32 v38, 0xf0f0f0f, v38
	v_add_nc_u16 v32, 0xf000, v32
	v_dual_lshlrev_b32 v36, 4, v36 :: v_dual_lshlrev_b32 v37, 12, v37
	s_delay_alu instid0(VALU_DEP_4)
	v_add_nc_u16 v33, 0xf000, v33
	s_set_vgpr_msb 5                        ;  msbs: dst=0 src0=1 src1=1 src2=0
	v_lshrrev_b32_e32 v42, v5 /*v261*/, v31 /*v287*/
	s_set_vgpr_msb 0                        ;  msbs: dst=0 src0=0 src1=0 src2=0
	v_lshrrev_b32_e32 v40, 8, v32
	v_and_b32_e32 v36, 16, v36
	v_and_b32_e32 v37, 0x1000, v37
	v_add_nc_u16 v34, 0xf000, v34
	v_bfe_i32 v32, v32, 0, 8
	v_bfe_i32 v40, v40, 0, 8
	v_lshrrev_b32_e32 v33, 8, v33
	v_or3_b32 v36, v36, v38, v37
	s_set_vgpr_msb 5                        ;  msbs: dst=0 src0=1 src1=1 src2=0
	v_lshrrev_b32_e32 v37, v4 /*v260*/, v31 /*v287*/
	s_set_vgpr_msb 0                        ;  msbs: dst=0 src0=0 src1=0 src2=0
	v_lshlrev_b32_e32 v42, 28, v42
	v_cvt_f16_i16_e32 v32, v32
	v_cvt_f16_i16_e32 v40, v40
	v_lshlrev_b16 v43, 8, v36
	v_lshlrev_b32_e32 v37, 20, v37
	v_ashrrev_i16 v34, 8, v34
	v_bfe_i32 v33, v33, 0, 8
	v_and_b32_e32 v42, 0x10000000, v42
	v_add_nc_u16 v43, 0xf000, v43
	v_and_b32_e32 v37, 0x100000, v37
	v_cvt_f16_i16_e32 v34, v34
	v_cvt_f16_i16_e32 v33, v33
	v_pack_b32_f16 v32, v32, v40
	v_lshrrev_b16 v43, 8, v43
	v_or3_b32 v37, v38, v37, v42
	s_set_vgpr_msb 4                        ;  msbs: dst=0 src0=0 src1=1 src2=0
	v_mul_u32_u24_e32 v38, 0x10001, v29 /*v285*/
	s_set_vgpr_msb 0                        ;  msbs: dst=0 src0=0 src1=0 src2=0
	v_pack_b32_f16 v33, v34, v33
	v_pk_mul_f16 v32, v32, v41
	v_bitop3_b16 v34, v36, v43, 0x1f00 bitop3:0xec
	v_dual_lshrrev_b32 v36, 16, v37 :: v_dual_lshlrev_b32 v46, 12, v46
	s_set_vgpr_msb 4                        ;  msbs: dst=0 src0=0 src1=1 src2=0
	v_mul_u32_u24_e32 v37, 0x10001, v46 /*v302*/
	s_set_vgpr_msb 0                        ;  msbs: dst=0 src0=0 src1=0 src2=0
	v_pk_fma_f16 v40, v32, v38, v230
	v_add_nc_u16 v34, 0xf000, v34
	v_lshlrev_b16 v42, 8, v36
	ds_store_b128 v239, v[230:233]
	s_set_vgpr_msb 4                        ;  msbs: dst=0 src0=0 src1=1 src2=0
	ds_store_b128 v239, v[6:9] /*v[262:265]*/ offset:16
	s_set_vgpr_msb 16                       ;  msbs: dst=0 src0=0 src1=0 src2=1
	v_pk_fma_f16 v44, v32, v37, v6 /*v262*/
	v_and_b32_e32 v32, 0x1f00, v36
	v_lshrrev_b32_e32 v36, 8, v34
	v_pk_mul_f16 v33, v33, v41
	v_add_nc_u16 v42, 0xf000, v42
	v_bfe_i32 v34, v34, 0, 8
	v_add_nc_u16 v32, 0xf000, v32
	v_bfe_i32 v36, v36, 0, 8
	v_and_b32_e32 v46, 0x1000, v46
	s_set_vgpr_msb 5                        ;  msbs: dst=0 src0=1 src1=1 src2=0
	v_lshrrev_b32_e32 v230, v5 /*v261*/, v34 /*v290*/
	s_set_vgpr_msb 0                        ;  msbs: dst=0 src0=0 src1=0 src2=0
	v_pk_fma_f16 v41, v33, v38, v231
	v_lshrrev_b32_e32 v32, 8, v32
	v_cvt_f16_i16_e32 v34, v34
	v_cvt_f16_i16_e32 v36, v36
	v_ashrrev_i16 v42, 8, v42
	v_lshlrev_b32_e32 v133, 20, v133
	v_bfe_i32 v32, v32, 0, 8
	v_or3_b32 v231, v45, v47, v46
	v_lshlrev_b32_e32 v45, 28, v230
	s_wait_loadcnt 0x8
	s_set_vgpr_msb 4                        ;  msbs: dst=0 src0=0 src1=1 src2=0
	v_mul_u32_u24_e32 v43, 0x10001, v35 /*v291*/
	v_cvt_f16_i16_e32 v42, v42
	v_cvt_f16_i16_e32 v32, v32
	s_set_vgpr_msb 16                       ;  msbs: dst=0 src0=0 src1=0 src2=1
	v_pack_b32_f16 v34, v34, v36
	v_and_b32_e32 v36, 0x100000, v133
	v_and_b32_e32 v133, 0x10000000, v45
	v_lshlrev_b16 v46, 8, v231
	v_pack_b32_f16 v32, v42, v32
	v_pk_mul_f16 v34, v34, v43
	v_pk_fma_f16 v45, v33, v37, v7 /*v263*/
	s_set_vgpr_msb 0                        ;  msbs: dst=0 src0=0 src1=0 src2=0
	v_or3_b32 v36, v47, v36, v133
	v_add_nc_u16 v33, 0xf000, v46
	v_pk_mul_f16 v32, v32, v43
	v_pk_fma_f16 v42, v34, v38, v232
	s_set_vgpr_msb 16                       ;  msbs: dst=0 src0=0 src1=0 src2=1
	v_pk_fma_f16 v46, v34, v37, v8 /*v264*/
	v_lshrrev_b32_e32 v34, 16, v36
	v_lshrrev_b16 v33, 8, v33
	s_set_vgpr_msb 0                        ;  msbs: dst=0 src0=0 src1=0 src2=0
	v_pk_fma_f16 v43, v32, v38, v233
	s_set_vgpr_msb 16                       ;  msbs: dst=0 src0=0 src1=0 src2=1
	v_pk_fma_f16 v47, v32, v37, v9 /*v265*/
	v_and_b32_e32 v32, 0xffff, v39
	v_lshlrev_b16 v36, 8, v34
	v_bitop3_b16 v33, v231, v33, 0x1f00 bitop3:0xec
	s_wait_loadcnt 0x0
	s_set_vgpr_msb 5                        ;  msbs: dst=0 src0=1 src1=1 src2=0
	v_dual_lshrrev_b32 v37, v3 /*v259*/, v44 /*v300*/ :: v_dual_ashrrev_i32 v133, v2 /*v258*/, v23 /*v279*/
	v_lshrrev_b32_e32 v231, v4 /*v260*/, v44 /*v300*/
	s_set_vgpr_msb 0                        ;  msbs: dst=0 src0=0 src1=0 src2=0
	v_mul_u32_u24_e32 v39, 0x10001, v32
	v_and_b32_e32 v32, 0x1f00, v34
	v_add_nc_u16 v34, 0xf000, v36
	s_set_vgpr_msb 4                        ;  msbs: dst=0 src0=0 src1=1 src2=0
	v_lshrrev_b32_e32 v36, v254, v44 /*v300*/
	s_set_vgpr_msb 0                        ;  msbs: dst=0 src0=0 src1=0 src2=0
	v_add_nc_u16 v33, 0xf000, v33
	v_and_b32_e32 v133, 0xf0f0f0f, v133
	v_add_nc_u16 v32, 0xf000, v32
	s_set_vgpr_msb 5                        ;  msbs: dst=0 src0=1 src1=1 src2=0
	v_lshrrev_b32_e32 v232, v5 /*v261*/, v44 /*v300*/
	s_set_vgpr_msb 0                        ;  msbs: dst=0 src0=0 src1=0 src2=0
	v_dual_lshlrev_b32 v36, 4, v36 :: v_dual_lshlrev_b32 v37, 12, v37
	v_dual_lshrrev_b32 v230, 8, v33 :: v_dual_lshrrev_b32 v32, 8, v32
	v_bfe_i32 v33, v33, 0, 8
	s_delay_alu instid0(VALU_DEP_3) | instskip(NEXT) | instid1(VALU_DEP_4)
	v_and_b32_e32 v36, 16, v36
	v_and_b32_e32 v37, 0x1000, v37
	s_delay_alu instid0(VALU_DEP_4)
	v_bfe_i32 v230, v230, 0, 8
	v_ashrrev_i16 v34, 8, v34
	v_cvt_f16_i16_e32 v33, v33
	v_bfe_i32 v32, v32, 0, 8
	v_or3_b32 v36, v36, v133, v37
	v_cvt_f16_i16_e64 v37, v230
	v_dual_lshlrev_b32 v230, 20, v231 :: v_dual_lshlrev_b32 v231, 28, v232
	v_cvt_f16_i16_e32 v34, v34
	s_delay_alu instid0(VALU_DEP_4) | instskip(SKIP_1) | instid1(VALU_DEP_4)
	v_lshlrev_b16 v232, 8, v36
	v_cvt_f16_i16_e32 v32, v32
	v_and_b32_e32 v230, 0x100000, v230
	v_and_b32_e32 v231, 0x10000000, v231
	v_pack_b32_f16 v33, v33, v37
	v_add_nc_u16 v232, 0xf000, v232
	s_set_vgpr_msb 4                        ;  msbs: dst=0 src0=0 src1=1 src2=0
	v_mul_u32_u24_e32 v38, 0x10001, v30 /*v286*/
	s_set_vgpr_msb 0                        ;  msbs: dst=0 src0=0 src1=0 src2=0
	v_pack_b32_f16 v32, v34, v32
	v_or3_b32 v37, v133, v230, v231
	ds_store_b128 v239, v[40:43]
	ds_store_b128 v239, v[44:47] offset:16
	v_lshrrev_b16 v133, 8, v232
	v_pk_mul_f16 v33, v33, v38
	s_delay_alu instid0(VALU_DEP_2) | instskip(SKIP_2) | instid1(VALU_DEP_4)
	v_bitop3_b16 v36, v36, v133, 0x1f00 bitop3:0xec
	v_mul_u32_u24_e32 v133, 0x10001, v35
	v_pk_mul_f16 v35, v32, v38
	v_pk_fma_f16 v32, v33, v39, v40
	s_delay_alu instid0(VALU_DEP_4)
	v_add_nc_u16 v38, 0xf000, v36
	v_lshrrev_b32_e32 v34, 16, v37
	v_pk_fma_f16 v36, v33, v133, v44
	v_pk_fma_f16 v33, v35, v39, v41
	s_set_vgpr_msb 4                        ;  msbs: dst=0 src0=0 src1=1 src2=0
	v_lshrrev_b32_e32 v44, v254, v37 /*v293*/
	s_set_vgpr_msb 0                        ;  msbs: dst=0 src0=0 src1=0 src2=0
	v_lshrrev_b32_e32 v41, 8, v38
	v_and_b32_e32 v37, 0x1f00, v34
	v_lshlrev_b16 v34, 8, v34
	s_delay_alu instid0(VALU_DEP_2) | instskip(NEXT) | instid1(VALU_DEP_2)
	v_add_nc_u16 v40, 0xf000, v37
	v_add_nc_u16 v34, 0xf000, v34
	v_pk_fma_f16 v37, v35, v133, v45
	v_bfe_i32 v35, v38, 0, 8
	s_set_vgpr_msb 5                        ;  msbs: dst=0 src0=1 src1=1 src2=0
	v_lshrrev_b32_e32 v45, v3 /*v259*/, v37 /*v293*/
	s_set_vgpr_msb 0                        ;  msbs: dst=0 src0=0 src1=0 src2=0
	v_lshrrev_b32_e32 v38, 8, v40
	v_bfe_i32 v40, v41, 0, 8
	v_ashrrev_i16 v34, 8, v34
	v_cvt_f16_i16_e32 v35, v35
	v_lshlrev_b32_e32 v45, 12, v45
	v_bfe_i32 v38, v38, 0, 8
	v_cvt_f16_i16_e32 v40, v40
	s_set_vgpr_msb 4                        ;  msbs: dst=0 src0=0 src1=1 src2=0
	v_mul_u32_u24_e32 v41, 0x10001, v33 /*v289*/
	v_cvt_f16_i16_e32 v34, v34
	s_set_vgpr_msb 0                        ;  msbs: dst=0 src0=0 src1=0 src2=0
	v_and_b32_e32 v45, 0x1000, v45
	v_cvt_f16_i16_e32 v38, v38
	v_pack_b32_f16 v35, v35, v40
	s_set_vgpr_msb 5                        ;  msbs: dst=0 src0=1 src1=1 src2=0
	v_ashrrev_i32_e32 v40, v2 /*v258*/, v24 /*v280*/
	s_set_vgpr_msb 0                        ;  msbs: dst=0 src0=0 src1=0 src2=0
	v_pack_b32_f16 v34, v34, v38
	v_pk_mul_f16 v35, v35, v41
	s_delay_alu instid0(VALU_DEP_2) | instskip(NEXT) | instid1(VALU_DEP_2)
	v_pk_mul_f16 v41, v34, v41
	v_pk_fma_f16 v34, v35, v39, v42
	s_set_vgpr_msb 5                        ;  msbs: dst=0 src0=1 src1=1 src2=0
	v_lshrrev_b32_e32 v42, v4 /*v260*/, v37 /*v293*/
	s_set_vgpr_msb 0                        ;  msbs: dst=0 src0=0 src1=0 src2=0
	v_pk_fma_f16 v38, v35, v133, v46
	s_set_vgpr_msb 4                        ;  msbs: dst=0 src0=0 src1=1 src2=0
	v_lshrrev_b32_e32 v46, v254, v32 /*v288*/
	s_set_vgpr_msb 0                        ;  msbs: dst=0 src0=0 src1=0 src2=0
	v_lshlrev_b32_e32 v44, 4, v44
	v_and_b32_e32 v40, 0xf0f0f0f, v40
	v_pk_fma_f16 v35, v41, v39, v43
	v_pk_fma_f16 v39, v41, v133, v47
	v_lshlrev_b32_e32 v41, 20, v42
	s_set_vgpr_msb 5                        ;  msbs: dst=0 src0=1 src1=1 src2=0
	v_dual_lshrrev_b32 v42, v5 /*v261*/, v37 /*v293*/ :: v_dual_lshrrev_b32 v47, v3 /*v259*/, v32 /*v288*/
	s_set_vgpr_msb 0                        ;  msbs: dst=0 src0=0 src1=0 src2=0
	v_and_b32_e32 v44, 16, v44
	s_set_vgpr_msb 5                        ;  msbs: dst=0 src0=1 src1=1 src2=0
	v_ashrrev_i32_e32 v133, v2 /*v258*/, v25 /*v281*/
	s_set_vgpr_msb 0                        ;  msbs: dst=0 src0=0 src1=0 src2=0
	v_and_b32_e32 v41, 0x100000, v41
	v_lshlrev_b32_e32 v42, 28, v42
	v_dual_lshlrev_b32 v46, 4, v46 :: v_dual_lshlrev_b32 v47, 12, v47
	v_or3_b32 v44, v44, v40, v45
	s_set_vgpr_msb 4                        ;  msbs: dst=0 src0=0 src1=1 src2=0
	v_mul_u32_u24_e32 v45, 0x10001, v38 /*v294*/
	s_set_vgpr_msb 0                        ;  msbs: dst=0 src0=0 src1=0 src2=0
	v_and_b32_e32 v42, 0x10000000, v42
	ds_store_b128 v239, v[32:35]
	ds_store_b128 v239, v[36:39] offset:16
	v_lshlrev_b16 v43, 8, v44
	v_or3_b32 v40, v40, v41, v42
	s_delay_alu instid0(VALU_DEP_2) | instskip(NEXT) | instid1(VALU_DEP_2)
	v_add_nc_u16 v43, 0xf000, v43
	v_lshrrev_b32_e32 v40, 16, v40
	s_delay_alu instid0(VALU_DEP_2) | instskip(NEXT) | instid1(VALU_DEP_2)
	v_lshrrev_b16 v43, 8, v43
	v_lshlrev_b16 v230, 8, v40
	v_and_b32_e32 v40, 0x1f00, v40
	s_delay_alu instid0(VALU_DEP_3)
	v_bitop3_b16 v41, v44, v43, 0x1f00 bitop3:0xec
	v_and_b32_e32 v43, 16, v46
	v_and_b32_e32 v44, 0x1000, v47
	s_set_vgpr_msb 5                        ;  msbs: dst=0 src0=1 src1=1 src2=0
	v_lshrrev_b32_e32 v46, v4 /*v260*/, v32 /*v288*/
	s_set_vgpr_msb 0                        ;  msbs: dst=0 src0=0 src1=0 src2=0
	v_and_b32_e32 v42, 0xf0f0f0f, v133
	s_set_vgpr_msb 5                        ;  msbs: dst=0 src0=1 src1=1 src2=0
	v_lshrrev_b32_e32 v47, v5 /*v261*/, v32 /*v288*/
	s_set_vgpr_msb 0                        ;  msbs: dst=0 src0=0 src1=0 src2=0
	v_add_nc_u16 v41, 0xf000, v41
	v_add_nc_u16 v40, 0xf000, v40
	v_or3_b32 v43, v43, v42, v44
	v_dual_lshlrev_b32 v44, 20, v46 :: v_dual_lshlrev_b32 v46, 28, v47
	s_delay_alu instid0(VALU_DEP_2) | instskip(NEXT) | instid1(VALU_DEP_2)
	v_lshlrev_b16 v133, 8, v43
	v_and_b32_e32 v44, 0x100000, v44
	s_delay_alu instid0(VALU_DEP_3) | instskip(NEXT) | instid1(VALU_DEP_3)
	v_and_b32_e32 v46, 0x10000000, v46
	v_add_nc_u16 v133, 0xf000, v133
	s_delay_alu instid0(VALU_DEP_2) | instskip(SKIP_2) | instid1(VALU_DEP_4)
	v_or3_b32 v42, v42, v44, v46
	v_lshrrev_b32_e32 v47, 8, v41
	v_bfe_i32 v41, v41, 0, 8
	v_lshrrev_b16 v46, 8, v133
	s_delay_alu instid0(VALU_DEP_4) | instskip(NEXT) | instid1(VALU_DEP_4)
	v_lshrrev_b32_e32 v42, 16, v42
	v_bfe_i32 v47, v47, 0, 8
	s_delay_alu instid0(VALU_DEP_4) | instskip(NEXT) | instid1(VALU_DEP_4)
	v_cvt_f16_i16_e32 v41, v41
	v_bitop3_b16 v43, v43, v46, 0x1f00 bitop3:0xec
	s_delay_alu instid0(VALU_DEP_4) | instskip(NEXT) | instid1(VALU_DEP_4)
	v_and_b32_e32 v46, 0x1f00, v42
	v_cvt_f16_i16_e32 v44, v47
	v_lshlrev_b16 v42, 8, v42
	s_delay_alu instid0(VALU_DEP_4)
	v_add_nc_u16 v43, 0xf000, v43
	v_lshrrev_b32_e32 v40, 8, v40
	v_add_nc_u16 v46, 0xf000, v46
	v_pack_b32_f16 v41, v41, v44
	v_add_nc_u16 v44, 0xf000, v230
	v_lshrrev_b32_e32 v133, 8, v43
	v_add_nc_u16 v42, 0xf000, v42
	v_lshrrev_b32_e32 v46, 8, v46
	v_bfe_i32 v40, v40, 0, 8
	v_ashrrev_i16 v44, 8, v44
	v_bfe_i32 v43, v43, 0, 8
	v_bfe_i32 v133, v133, 0, 8
	v_ashrrev_i16 v42, 8, v42
	v_bfe_i32 v46, v46, 0, 8
	s_set_vgpr_msb 4                        ;  msbs: dst=0 src0=0 src1=1 src2=0
	v_mul_u32_u24_e32 v47, 0x10001, v43 /*v299*/
	v_cvt_f16_i16_e32 v44, v44
	v_cvt_f16_i16_e32 v40, v40
	;; [unrolled: 1-line block ×3, first 2 shown]
	v_cvt_f16_i16_e64 v133, v133
	v_cvt_f16_i16_e32 v42, v42
	v_cvt_f16_i16_e32 v46, v46
	s_set_vgpr_msb 0                        ;  msbs: dst=0 src0=0 src1=0 src2=0
	v_pk_mul_f16 v41, v41, v47
	v_pack_b32_f16 v40, v44, v40
	s_set_vgpr_msb 4                        ;  msbs: dst=0 src0=0 src1=1 src2=0
	v_mul_u32_u24_e32 v44, 0x10001, v36 /*v292*/
	s_set_vgpr_msb 0                        ;  msbs: dst=0 src0=0 src1=0 src2=0
	v_pack_b32_f16 v43, v43, v133
	v_mul_u32_u24_e32 v133, 0x10001, v227
	v_pack_b32_f16 v42, v42, v46
	v_pk_mul_f16 v40, v40, v47
	v_pk_fma_f16 v32, v41, v45, v32
	v_pk_mul_f16 v43, v43, v44
	v_pk_fma_f16 v36, v41, v133, v36
	;; [unrolled: 2-line block ×3, first 2 shown]
	v_pk_fma_f16 v37, v40, v133, v37
	v_pk_fma_f16 v34, v43, v45, v34
	;; [unrolled: 1-line block ×5, first 2 shown]
	ds_store_b128 v239, v[32:35]
	ds_store_b128 v239, v[36:39] offset:16
	s_cbranch_scc1 .LBB31_48
; %bb.46:                               ;   in Loop: Header=BB31_21 Depth=1
	v_dual_mov_b32 v38, v228 :: v_dual_mov_b32 v39, v229
	s_branch .LBB31_21
.LBB31_47:
	v_mov_b64_e32 v[228:229], 0xfefffffffeffffff
	v_mov_b64_e32 v[50:51], 0
.LBB31_48:
	s_cmp_eq_u64 s[16:17], 0
	s_cselect_b32 s1, -1, 0
	s_cmp_lg_u32 s36, 0
	s_cselect_b32 s4, -1, 0
	s_delay_alu instid0(SALU_CYCLE_1) | instskip(NEXT) | instid1(SALU_CYCLE_1)
	s_or_b32 s1, s4, s1
	s_nor_b32 s0, s1, s0
	s_delay_alu instid0(SALU_CYCLE_1)
	s_and_saveexec_b32 s1, s0
	s_cbranch_execz .LBB31_50
; %bb.49:
	s_ashr_i32 s35, s34, 31
	v_cmp_eq_u32_e32 vcc_lo, 1, v225
	s_lshl_b64 s[4:5], s[34:35], 2
	s_delay_alu instid0(SALU_CYCLE_1) | instskip(SKIP_2) | instid1(VALU_DEP_1)
	s_add_nc_u64 s[4:5], s[16:17], s[4:5]
	s_load_b32 s0, s[4:5], 0x0
	v_cndmask_b32_e32 v0, v228, v229, vcc_lo
	v_max_num_f32_e32 v1, v0, v0
	s_wait_kmcnt 0x0
	v_max_num_f32_e64 v2, s0, s0
	s_delay_alu instid0(VALU_DEP_1) | instskip(NEXT) | instid1(VALU_DEP_1)
	v_max_num_f32_e32 v4, v2, v1
	v_sub_f32_e32 v6, s0, v4
	s_delay_alu instid0(VALU_DEP_1) | instskip(SKIP_1) | instid1(VALU_DEP_2)
	v_mul_f32_e32 v1, 0x3fb8aa3b, v6
	v_dual_sub_f32 v5, v0, v4 :: v_dual_cndmask_b32 v229, v229, v4, vcc_lo
	v_fma_f32 v7, 0x3fb8aa3b, v6, -v1
	s_delay_alu instid0(VALU_DEP_2) | instskip(SKIP_1) | instid1(VALU_DEP_3)
	v_mul_f32_e32 v0, 0x3fb8aa3b, v5
	v_rndne_f32_e32 v8, v1
	v_fmac_f32_e32 v7, 0x32a5705f, v6
	s_delay_alu instid0(VALU_DEP_3) | instskip(SKIP_1) | instid1(VALU_DEP_1)
	v_fma_f32 v2, 0x3fb8aa3b, v5, -v0
	v_rndne_f32_e32 v3, v0
	v_sub_f32_e32 v0, v0, v3
	s_delay_alu instid0(VALU_DEP_3) | instskip(SKIP_1) | instid1(VALU_DEP_2)
	v_dual_fmac_f32 v2, 0x32a5705f, v5 :: v_dual_sub_f32 v1, v1, v8
	v_cmp_ngt_f32_e64 s0, 0xc2ce8ed0, v5
	v_add_f32_e32 v0, v0, v2
	v_cvt_i32_f32_e32 v2, v3
	v_cvt_i32_f32_e32 v3, v8
	s_delay_alu instid0(VALU_DEP_3) | instskip(SKIP_1) | instid1(TRANS32_DEP_1)
	v_exp_f32_e32 v0, v0
	v_nop
	v_ldexp_f32 v0, v0, v2
	v_add_f32_e32 v1, v1, v7
	v_lshl_add_u32 v7, v225, 4, v239
	s_delay_alu instid0(VALU_DEP_3) | instskip(NEXT) | instid1(VALU_DEP_3)
	v_cndmask_b32_e64 v9, 0, v0, s0
	v_exp_f32_e32 v1, v1
	v_cmp_ngt_f32_e64 s0, 0xc2ce8ed0, v6
	s_delay_alu instid0(TRANS32_DEP_1) | instskip(SKIP_3) | instid1(VALU_DEP_1)
	v_ldexp_f32 v8, v1, v3
	ds_load_b128 v[0:3], v7
	v_cndmask_b32_e64 v8, 0, v8, s0
	v_cmp_nlt_f32_e64 s0, 0x42b17218, v5
	v_cndmask_b32_e64 v5, 0x7f800000, v9, s0
	v_cmp_nlt_f32_e64 s0, 0x42b17218, v6
	v_cndmask_b32_e32 v9, v50, v51, vcc_lo
	s_delay_alu instid0(VALU_DEP_2) | instskip(NEXT) | instid1(VALU_DEP_4)
	v_cndmask_b32_e64 v6, 0x7f800000, v8, s0
	v_cvt_f16_f32_e32 v8, v5
	v_cmp_eq_u32_e64 s0, 0, v221
	s_delay_alu instid0(VALU_DEP_2) | instskip(NEXT) | instid1(VALU_DEP_2)
	v_and_b32_e32 v8, 0xffff, v8
	v_cndmask_b32_e64 v6, 0, v6, s0
	v_cmp_eq_u32_e64 s0, 0, v225
	s_delay_alu instid0(VALU_DEP_1) | instskip(NEXT) | instid1(VALU_DEP_4)
	v_dual_fmac_f32 v6, v9, v5 :: v_dual_cndmask_b32 v228, v228, v4, s0
	v_mul_u32_u24_e32 v5, 0x10001, v8
	s_delay_alu instid0(VALU_DEP_2) | instskip(SKIP_1) | instid1(VALU_DEP_2)
	v_dual_cndmask_b32 v51, v51, v6, vcc_lo :: v_dual_cndmask_b32 v50, v50, v6, s0
	s_wait_dscnt 0x0
	v_pk_mul_f16 v0, v0, v5
	v_pk_mul_f16 v1, v1, v5
	;; [unrolled: 1-line block ×4, first 2 shown]
	ds_store_b128 v7, v[0:3]
.LBB31_50:
	s_or_b32 exec_lo, exec_lo, s1
	v_add_nc_u32_e32 v2, 0x900, v235
	v_add_nc_u32_e32 v8, 0x800, v235
	s_mov_b32 s0, exec_lo
	v_cmpx_eq_u32_e32 0, v225
	s_cbranch_execz .LBB31_52
; %bb.51:
	v_dual_mov_b32 v0, 0xfeffffff :: v_dual_mov_b32 v1, 0
	ds_store_2addr_b32 v8, v0, v0 offset1:32
	ds_store_2addr_b32 v2, v1, v1 offset1:32
.LBB31_52:
	s_or_b32 exec_lo, exec_lo, s0
	v_cmp_eq_u32_e64 s0, 0, v221
	s_wait_dscnt 0x0
	s_barrier_signal -1
	s_barrier_wait -1
	s_and_saveexec_b32 s1, s0
; %bb.53:
	v_lshlrev_b32_e32 v0, 2, v225
	s_delay_alu instid0(VALU_DEP_1)
	v_add_nc_u32_e32 v0, 0x800, v0
	ds_store_2addr_b32 v0, v228, v229 offset1:32
; %bb.54:
	s_or_b32 exec_lo, exec_lo, s1
	s_cmp_lt_i32 s33, s28
	s_wait_dscnt 0x0
	s_barrier_signal -1
	s_barrier_wait -1
	s_cbranch_scc1 .LBB31_56
; %bb.55:
	s_load_b32 s4, s[2:3], 0xd4
	s_cbranch_execz .LBB31_57
	s_branch .LBB31_64
.LBB31_56:
                                        ; implicit-def: $sgpr4
.LBB31_57:
	ds_load_b32 v0, v8
	v_xor_b32_e32 v5, 4, v240
	v_xor_b32_e32 v1, 16, v240
	ds_load_b128 v[12:15], v239
	s_wait_kmcnt 0x0
	s_load_b32 s4, s[2:3], 0xd4
	v_xor_b32_e32 v4, 8, v240
	v_xor_b32_e32 v6, 2, v240
	v_cmp_gt_i32_e32 vcc_lo, 32, v1
	v_cndmask_b32_e32 v1, v240, v1, vcc_lo
	s_delay_alu instid0(VALU_DEP_4) | instskip(NEXT) | instid1(VALU_DEP_2)
	v_cmp_gt_i32_e32 vcc_lo, 32, v4
	v_dual_cndmask_b32 v4, v240, v4 :: v_dual_lshlrev_b32 v3, 2, v1
	s_wait_dscnt 0x1
	ds_bpermute_b32 v1, v3, v0
	s_wait_dscnt 0x0
	v_dual_max_num_f32 v0, v0, v0 :: v_dual_max_num_f32 v1, v1, v1
	s_delay_alu instid0(VALU_DEP_1) | instskip(SKIP_4) | instid1(VALU_DEP_2)
	v_dual_lshlrev_b32 v4, 2, v4 :: v_dual_max_num_f32 v0, v0, v1
	ds_bpermute_b32 v1, v4, v0
	s_wait_dscnt 0x0
	v_max_num_f32_e32 v1, v1, v1
	v_cmp_gt_i32_e32 vcc_lo, 32, v5
	v_max_num_f32_e32 v0, v0, v1
	v_cndmask_b32_e32 v5, v240, v5, vcc_lo
	v_cmp_gt_i32_e32 vcc_lo, 32, v6
	s_delay_alu instid0(VALU_DEP_2) | instskip(SKIP_3) | instid1(VALU_DEP_1)
	v_dual_cndmask_b32 v6, v240, v6 :: v_dual_lshlrev_b32 v5, 2, v5
	ds_bpermute_b32 v1, v5, v0
	s_wait_dscnt 0x0
	v_dual_max_num_f32 v1, v1, v1 :: v_dual_lshlrev_b32 v7, 2, v6
	v_max_num_f32_e32 v0, v0, v1
	ds_bpermute_b32 v1, v7, v0
	s_wait_dscnt 0x0
	v_dual_max_num_f32 v1, v1, v1 :: v_dual_bitop2_b32 v6, 1, v240 bitop3:0x14
	s_delay_alu instid0(VALU_DEP_1) | instskip(NEXT) | instid1(VALU_DEP_2)
	v_max_num_f32_e32 v0, v0, v1
	v_cmp_gt_i32_e32 vcc_lo, 32, v6
	v_cndmask_b32_e32 v6, v240, v6, vcc_lo
	s_delay_alu instid0(VALU_DEP_1) | instskip(SKIP_3) | instid1(VALU_DEP_1)
	v_lshlrev_b32_e32 v6, 2, v6
	ds_bpermute_b32 v1, v6, v0
	s_wait_dscnt 0x0
	v_max_num_f32_e32 v1, v1, v1
	v_max_num_f32_e32 v0, v0, v1
	s_delay_alu instid0(VALU_DEP_1) | instskip(NEXT) | instid1(VALU_DEP_1)
	v_sub_f32_e32 v1, v228, v0
	v_mul_f32_e32 v9, 0x3fb8aa3b, v1
	s_delay_alu instid0(VALU_DEP_1) | instskip(SKIP_1) | instid1(VALU_DEP_1)
	v_fma_f32 v10, 0x3fb8aa3b, v1, -v9
	v_rndne_f32_e32 v11, v9
	v_sub_f32_e32 v9, v9, v11
	v_cmp_ngt_f32_e32 vcc_lo, 0xc2ce8ed0, v1
	s_delay_alu instid0(VALU_DEP_4) | instskip(NEXT) | instid1(VALU_DEP_1)
	v_fmamk_f32 v10, v1, 0x32a5705f, v10
	v_add_f32_e32 v9, v9, v10
	v_cvt_i32_f32_e32 v10, v11
	s_delay_alu instid0(VALU_DEP_2) | instskip(SKIP_1) | instid1(TRANS32_DEP_1)
	v_exp_f32_e32 v9, v9
	v_nop
	v_ldexp_f32 v9, v9, v10
	s_delay_alu instid0(VALU_DEP_1) | instskip(SKIP_1) | instid1(VALU_DEP_2)
	v_cndmask_b32_e32 v9, 0, v9, vcc_lo
	v_cmp_nlt_f32_e32 vcc_lo, 0x42b17218, v1
	v_cndmask_b32_e32 v1, 0x7f800000, v9, vcc_lo
	s_delay_alu instid0(VALU_DEP_1)
	v_mul_f32_e32 v9, v50, v1
	v_cvt_f16_f32_e32 v11, v1
	ds_bpermute_b32 v9, v3, v9
	s_wait_dscnt 0x0
	v_fmac_f32_e32 v9, v50, v1
	ds_bpermute_b32 v10, v4, v9
	s_wait_dscnt 0x0
	v_add_f32_e32 v9, v9, v10
	ds_bpermute_b32 v10, v5, v9
	s_wait_dscnt 0x0
	v_add_f32_e32 v9, v9, v10
	;; [unrolled: 3-line block ×3, first 2 shown]
	v_and_b32_e32 v9, 0xffff, v11
	v_lshlrev_b32_e32 v10, 3, v221
	ds_bpermute_b32 v11, v6, v1
	v_mul_u32_u24_e32 v9, 0x10001, v9
	v_add_nc_u32_e32 v10, v234, v10
	s_delay_alu instid0(VALU_DEP_2)
	v_pk_mul_f16 v12, v12, v9
	v_pk_mul_f16 v13, v13, v9
	;; [unrolled: 1-line block ×4, first 2 shown]
	v_lshl_add_u32 v9, v225, 2, 0x900
	ds_store_b128 v239, v[12:15]
	ds_store_2addr_b64 v10, v[12:13], v[14:15] offset1:32
	s_and_saveexec_b32 s1, s0
	s_cbranch_execz .LBB31_59
; %bb.58:
	s_wait_dscnt 0x2
	v_add_f32_e32 v1, v1, v11
	ds_store_b32 v9, v1
.LBB31_59:
	s_or_b32 exec_lo, exec_lo, s1
	s_wait_dscnt 0x0
	s_barrier_signal -1
	s_barrier_wait -1
	ds_load_b32 v1, v2
	ds_load_u16 v11, v238
	ds_load_u16 v12, v238 offset:1280
	ds_load_u16 v13, v238 offset:768
	ds_load_u16 v14, v238 offset:256
	ds_load_u16 v16, v238 offset:512
	ds_load_u16 v17, v238 offset:1024
	ds_load_u16 v18, v238 offset:1536
	s_wait_kmcnt 0x0
	s_cmp_eq_u32 s4, 1
	s_mul_i32 s2, s30, s28
	s_wait_dscnt 0x7
	ds_bpermute_b32 v15, v3, v1
	s_wait_dscnt 0x7
	v_cvt_f32_f16_e32 v11, v11
	s_wait_dscnt 0x6
	v_cvt_f32_f16_e32 v12, v12
	;; [unrolled: 2-line block ×3, first 2 shown]
	v_cvt_f32_f16_e32 v14, v14
	v_cvt_f32_f16_e32 v13, v13
	v_add_f32_e32 v11, 0, v11
	s_wait_dscnt 0x2
	v_cvt_f32_f16_e32 v17, v17
	s_delay_alu instid0(VALU_DEP_2) | instskip(NEXT) | instid1(VALU_DEP_1)
	v_dual_add_f32 v14, 0, v14 :: v_dual_add_f32 v11, v11, v16
	v_add_f32_e32 v13, v14, v13
	s_wait_dscnt 0x1
	v_cvt_f32_f16_e32 v14, v18
	s_delay_alu instid0(VALU_DEP_2)
	v_dual_add_f32 v11, v11, v17 :: v_dual_add_f32 v12, v13, v12
	s_wait_dscnt 0x0
	v_add_f32_e32 v1, v1, v15
	ds_bpermute_b32 v15, v4, v1
	s_wait_dscnt 0x0
	v_add_f32_e32 v1, v1, v15
	ds_bpermute_b32 v15, v5, v1
	;; [unrolled: 3-line block ×3, first 2 shown]
	s_wait_dscnt 0x0
	v_add_f32_e32 v1, v1, v15
	ds_load_u16 v15, v238 offset:1792
	ds_bpermute_b32 v19, v6, v1
	v_add_f32_e32 v11, v11, v14
	s_wait_dscnt 0x1
	v_cvt_f32_f16_e32 v15, v15
	s_wait_dscnt 0x0
	v_add_f32_e32 v50, v1, v19
	s_delay_alu instid0(VALU_DEP_2) | instskip(NEXT) | instid1(VALU_DEP_2)
	v_add_f32_e32 v1, v12, v15
	v_div_scale_f32 v12, null, v50, v50, v11
	s_delay_alu instid0(VALU_DEP_2) | instskip(SKIP_1) | instid1(VALU_DEP_3)
	v_div_scale_f32 v13, null, v50, v50, v1
	v_div_scale_f32 v18, vcc_lo, v11, v50, v11
	v_rcp_f32_e32 v14, v12
	s_delay_alu instid0(VALU_DEP_2) | instskip(NEXT) | instid1(TRANS32_DEP_2)
	v_rcp_f32_e32 v15, v13
	v_fma_f32 v16, -v12, v14, 1.0
	s_delay_alu instid0(TRANS32_DEP_1) | instskip(NEXT) | instid1(VALU_DEP_1)
	v_fma_f32 v17, -v13, v15, 1.0
	v_dual_fmac_f32 v15, v17, v15 :: v_dual_fmac_f32 v14, v16, v14
	v_div_scale_f32 v16, s1, v1, v50, v1
	s_delay_alu instid0(VALU_DEP_1) | instskip(NEXT) | instid1(VALU_DEP_1)
	v_dual_mul_f32 v19, v16, v15 :: v_dual_mul_f32 v17, v18, v14
	v_dual_fma_f32 v21, -v13, v19, v16 :: v_dual_fma_f32 v20, -v12, v17, v18
	s_delay_alu instid0(VALU_DEP_1) | instskip(NEXT) | instid1(VALU_DEP_1)
	v_dual_fmac_f32 v19, v21, v15 :: v_dual_fmac_f32 v17, v20, v14
	v_dual_fma_f32 v13, -v13, v19, v16 :: v_dual_fma_f32 v12, -v12, v17, v18
	s_delay_alu instid0(VALU_DEP_1) | instskip(SKIP_2) | instid1(VALU_DEP_2)
	v_div_fmas_f32 v12, v12, v14, v17
	s_mov_b32 vcc_lo, s1
	s_cselect_b32 s1, -1, 0
	v_div_fmas_f32 v13, v13, v15, v19
	s_add_co_i32 s2, s2, s33
	v_div_fixup_f32 v12, v12, v50, v11
	s_mul_i32 s2, s2, s29
	s_delay_alu instid0(SALU_CYCLE_1) | instskip(SKIP_4) | instid1(SALU_CYCLE_1)
	s_add_co_i32 s2, s2, s34
	v_div_fixup_f32 v13, v13, v50, v1
	s_mul_i32 s3, s4, s2
	v_cndmask_b32_e64 v11, v11, v12, s1
	s_add_co_i32 s3, s3, s36
	v_lshl_or_b32 v12, s3, 8, v236
	v_cndmask_b32_e64 v13, v1, v13, s1
	v_mov_b32_e32 v1, v229
	s_or_b32 s3, s33, 1
	s_clause 0x1
	global_store_b32 v12, v11, s[20:21] scale_offset
	global_store_b32 v12, v13, s[20:21] offset:512 scale_offset
	s_cmp_ge_i32 s3, s28
	s_wait_storecnt 0x0
	s_barrier_signal -1
	s_barrier_wait -1
	s_cbranch_scc1 .LBB31_63
; %bb.60:
	ds_load_b32 v1, v8 offset:128
	s_wait_dscnt 0x0
	ds_bpermute_b32 v8, v3, v1
	s_wait_dscnt 0x0
	v_dual_max_num_f32 v1, v1, v1 :: v_dual_max_num_f32 v8, v8, v8
	s_delay_alu instid0(VALU_DEP_1) | instskip(SKIP_3) | instid1(VALU_DEP_1)
	v_max_num_f32_e32 v1, v1, v8
	ds_bpermute_b32 v8, v4, v1
	s_wait_dscnt 0x0
	v_max_num_f32_e32 v8, v8, v8
	v_max_num_f32_e32 v1, v1, v8
	ds_bpermute_b32 v8, v5, v1
	s_wait_dscnt 0x0
	v_max_num_f32_e32 v8, v8, v8
	s_delay_alu instid0(VALU_DEP_1) | instskip(SKIP_3) | instid1(VALU_DEP_1)
	v_max_num_f32_e32 v1, v1, v8
	ds_bpermute_b32 v8, v7, v1
	s_wait_dscnt 0x0
	v_max_num_f32_e32 v8, v8, v8
	v_max_num_f32_e32 v1, v1, v8
	ds_bpermute_b32 v8, v6, v1
	s_wait_dscnt 0x0
	v_max_num_f32_e32 v8, v8, v8
	s_delay_alu instid0(VALU_DEP_1) | instskip(NEXT) | instid1(VALU_DEP_1)
	v_max_num_f32_e32 v1, v1, v8
	v_sub_f32_e32 v8, v229, v1
	s_wait_xcnt 0x1
	s_delay_alu instid0(VALU_DEP_1) | instskip(SKIP_1) | instid1(VALU_DEP_1)
	v_mul_f32_e32 v11, 0x3fb8aa3b, v8
	s_wait_xcnt 0x0
	v_fma_f32 v12, 0x3fb8aa3b, v8, -v11
	v_rndne_f32_e32 v13, v11
	s_delay_alu instid0(VALU_DEP_1) | instskip(NEXT) | instid1(VALU_DEP_1)
	v_dual_fmamk_f32 v12, v8, 0x32a5705f, v12 :: v_dual_sub_f32 v11, v11, v13
	v_add_f32_e32 v11, v11, v12
	v_cvt_i32_f32_e32 v12, v13
	v_cmp_ngt_f32_e32 vcc_lo, 0xc2ce8ed0, v8
	s_delay_alu instid0(VALU_DEP_3) | instskip(SKIP_1) | instid1(TRANS32_DEP_1)
	v_exp_f32_e32 v11, v11
	v_nop
	v_ldexp_f32 v11, v11, v12
	s_delay_alu instid0(VALU_DEP_1) | instskip(SKIP_1) | instid1(VALU_DEP_2)
	v_cndmask_b32_e32 v11, 0, v11, vcc_lo
	v_cmp_nlt_f32_e32 vcc_lo, 0x42b17218, v8
	v_cndmask_b32_e32 v8, 0x7f800000, v11, vcc_lo
	s_delay_alu instid0(VALU_DEP_1)
	v_mul_f32_e32 v11, v51, v8
	ds_bpermute_b32 v11, v3, v11
	s_wait_dscnt 0x0
	v_fmac_f32_e32 v11, v51, v8
	ds_bpermute_b32 v12, v4, v11
	s_wait_dscnt 0x0
	v_add_f32_e32 v11, v11, v12
	v_cvt_f16_f32_e32 v17, v8
	ds_bpermute_b32 v12, v5, v11
	s_wait_dscnt 0x0
	v_add_f32_e32 v11, v11, v12
	ds_load_b128 v[12:15], v239 offset:16
	ds_bpermute_b32 v16, v7, v11
	s_wait_dscnt 0x0
	v_add_f32_e32 v8, v11, v16
	v_and_b32_e32 v16, 0xffff, v17
	ds_bpermute_b32 v11, v6, v8
	v_mul_u32_u24_e32 v16, 0x10001, v16
	s_delay_alu instid0(VALU_DEP_1)
	v_pk_mul_f16 v12, v12, v16
	v_pk_mul_f16 v13, v13, v16
	;; [unrolled: 1-line block ×4, first 2 shown]
	ds_store_b128 v239, v[12:15] offset:16
	ds_store_2addr_b64 v10, v[12:13], v[14:15] offset1:32
	s_and_saveexec_b32 s3, s0
	s_cbranch_execz .LBB31_62
; %bb.61:
	s_wait_dscnt 0x2
	v_add_f32_e32 v8, v8, v11
	ds_store_b32 v9, v8 offset:128
.LBB31_62:
	s_or_b32 exec_lo, exec_lo, s3
	s_wait_dscnt 0x0
	s_barrier_signal -1
	s_barrier_wait -1
	ds_load_b32 v2, v2 offset:128
	ds_load_u16 v8, v238
	ds_load_u16 v9, v238 offset:1280
	ds_load_u16 v10, v238 offset:768
	;; [unrolled: 1-line block ×3, first 2 shown]
	s_add_co_i32 s2, s2, s29
	s_wait_dscnt 0x4
	ds_bpermute_b32 v3, v3, v2
	s_wait_dscnt 0x4
	v_cvt_f32_f16_e32 v8, v8
	s_wait_dscnt 0x2
	v_cvt_f32_f16_e32 v10, v10
	s_wait_dscnt 0x1
	v_cvt_f32_f16_e32 v11, v11
	s_delay_alu instid0(VALU_DEP_1)
	v_dual_add_f32 v8, 0, v8 :: v_dual_add_f32 v11, 0, v11
	s_wait_dscnt 0x0
	v_add_f32_e32 v2, v2, v3
	ds_bpermute_b32 v3, v4, v2
	s_wait_dscnt 0x0
	v_add_f32_e32 v2, v2, v3
	ds_bpermute_b32 v3, v5, v2
	;; [unrolled: 3-line block ×3, first 2 shown]
	ds_load_u16 v4, v238 offset:512
	ds_load_u16 v5, v238 offset:1024
	;; [unrolled: 1-line block ×3, first 2 shown]
	s_wait_dscnt 0x2
	v_cvt_f32_f16_e32 v4, v4
	s_wait_dscnt 0x1
	v_cvt_f32_f16_e32 v5, v5
	;; [unrolled: 2-line block ×3, first 2 shown]
	v_add_f32_e32 v4, v8, v4
	v_cvt_f32_f16_e32 v8, v9
	v_dual_add_f32 v9, v11, v10 :: v_dual_add_f32 v2, v2, v3
	ds_load_u16 v3, v238 offset:1792
	v_dual_add_f32 v4, v4, v5 :: v_dual_add_f32 v5, v9, v8
	ds_bpermute_b32 v6, v6, v2
	v_add_f32_e32 v4, v4, v7
	s_wait_dscnt 0x1
	v_cvt_f32_f16_e32 v3, v3
	s_wait_dscnt 0x0
	s_delay_alu instid0(VALU_DEP_1) | instskip(NEXT) | instid1(VALU_DEP_1)
	v_dual_add_f32 v51, v2, v6 :: v_dual_add_f32 v2, v5, v3
	v_div_scale_f32 v3, null, v51, v51, v4
	v_div_scale_f32 v10, vcc_lo, v4, v51, v4
	s_delay_alu instid0(VALU_DEP_2) | instskip(SKIP_1) | instid1(TRANS32_DEP_1)
	v_rcp_f32_e32 v6, v3
	v_nop
	v_fma_f32 v8, -v3, v6, 1.0
	s_delay_alu instid0(VALU_DEP_1) | instskip(SKIP_2) | instid1(VALU_DEP_2)
	v_fmac_f32_e32 v6, v8, v6
	v_div_scale_f32 v5, null, v51, v51, v2
	v_div_scale_f32 v8, s0, v2, v51, v2
	v_rcp_f32_e32 v7, v5
	v_nop
	s_delay_alu instid0(TRANS32_DEP_1) | instskip(NEXT) | instid1(VALU_DEP_1)
	v_fma_f32 v9, -v5, v7, 1.0
	v_dual_fmac_f32 v7, v9, v7 :: v_dual_mul_f32 v9, v10, v6
	s_delay_alu instid0(VALU_DEP_1) | instskip(NEXT) | instid1(VALU_DEP_1)
	v_dual_mul_f32 v11, v8, v7 :: v_dual_fma_f32 v12, -v3, v9, v10
	v_dual_fma_f32 v13, -v5, v11, v8 :: v_dual_fmac_f32 v9, v12, v6
	s_delay_alu instid0(VALU_DEP_1) | instskip(NEXT) | instid1(VALU_DEP_1)
	v_dual_fmac_f32 v11, v13, v7 :: v_dual_fma_f32 v3, -v3, v9, v10
	v_fma_f32 v5, -v5, v11, v8
	s_delay_alu instid0(VALU_DEP_2) | instskip(SKIP_2) | instid1(VALU_DEP_2)
	v_div_fmas_f32 v3, v3, v6, v9
	s_mov_b32 vcc_lo, s0
	s_mul_i32 s0, s4, s2
	v_div_fmas_f32 v5, v5, v7, v11
	s_delay_alu instid0(VALU_DEP_2) | instskip(SKIP_1) | instid1(SALU_CYCLE_1)
	v_div_fixup_f32 v3, v3, v51, v4
	s_add_co_i32 s0, s0, s36
	v_lshl_or_b32 v6, s0, 8, v236
	s_delay_alu instid0(VALU_DEP_3) | instskip(NEXT) | instid1(VALU_DEP_1)
	v_div_fixup_f32 v5, v5, v51, v2
	v_dual_cndmask_b32 v3, v4, v3, s1 :: v_dual_cndmask_b32 v2, v2, v5, s1
	s_clause 0x1
	global_store_b32 v6, v3, s[20:21] scale_offset
	global_store_b32 v6, v2, s[20:21] offset:512 scale_offset
.LBB31_63:
	v_mov_b64_e32 v[228:229], v[0:1]
.LBB31_64:
	v_or_b32_e32 v0, s33, v221
	v_cmp_gt_u32_e32 vcc_lo, 2, v236
	s_wait_kmcnt 0x0
	s_cmp_lg_u32 s4, 1
	s_cselect_b32 s1, -1, 0
	v_cmp_gt_i32_e64 s0, s28, v0
	s_and_b32 s1, s1, vcc_lo
	s_delay_alu instid0(SALU_CYCLE_1) | instskip(NEXT) | instid1(SALU_CYCLE_1)
	s_and_b32 s0, s1, s0
	s_and_saveexec_b32 s1, s0
	s_cbranch_execz .LBB31_66
; %bb.65:
	v_mad_u32 v0, s30, s28, v0
	v_cmp_eq_u32_e32 vcc_lo, 1, v236
	v_cndmask_b32_e32 v1, v50, v51, vcc_lo
	s_delay_alu instid0(VALU_DEP_3) | instskip(NEXT) | instid1(VALU_DEP_1)
	v_mad_u32 v0, v0, s29, s34
	v_mad_u32 v2, s4, v0, s36
	v_cndmask_b32_e32 v0, v228, v229, vcc_lo
	global_store_b64 v2, v[0:1], s[22:23] scale_offset
.LBB31_66:
	s_sendmsg sendmsg(MSG_DEALLOC_VGPRS)
	s_endpgm
	.section	.rodata,"a",@progbits
	.p2align	6, 0x0
	.amdhsa_kernel _ZL18flash_attn_ext_vecILi256ELi2EL9ggml_type6ELS0_6ELb1EEvPKcS2_S2_S2_S2_PKiPfP15HIP_vector_typeIfLj2EEffffjfiS6_IjLj3EEiiiiiiiiiiiliiliiiiil
		.amdhsa_group_segment_fixed_size 6656
		.amdhsa_private_segment_fixed_size 0
		.amdhsa_kernarg_size 464
		.amdhsa_user_sgpr_count 4
		.amdhsa_user_sgpr_dispatch_ptr 1
		.amdhsa_user_sgpr_queue_ptr 0
		.amdhsa_user_sgpr_kernarg_segment_ptr 1
		.amdhsa_user_sgpr_dispatch_id 0
		.amdhsa_user_sgpr_kernarg_preload_length 0
		.amdhsa_user_sgpr_kernarg_preload_offset 0
		.amdhsa_user_sgpr_private_segment_size 0
		.amdhsa_wavefront_size32 1
		.amdhsa_uses_dynamic_stack 0
		.amdhsa_enable_private_segment 0
		.amdhsa_system_sgpr_workgroup_id_x 1
		.amdhsa_system_sgpr_workgroup_id_y 1
		.amdhsa_system_sgpr_workgroup_id_z 1
		.amdhsa_system_sgpr_workgroup_info 0
		.amdhsa_system_vgpr_workitem_id 2
		.amdhsa_next_free_vgpr 335
		.amdhsa_next_free_sgpr 51
		.amdhsa_named_barrier_count 0
		.amdhsa_reserve_vcc 1
		.amdhsa_float_round_mode_32 0
		.amdhsa_float_round_mode_16_64 0
		.amdhsa_float_denorm_mode_32 3
		.amdhsa_float_denorm_mode_16_64 3
		.amdhsa_fp16_overflow 0
		.amdhsa_memory_ordered 1
		.amdhsa_forward_progress 1
		.amdhsa_inst_pref_size 255
		.amdhsa_round_robin_scheduling 0
		.amdhsa_exception_fp_ieee_invalid_op 0
		.amdhsa_exception_fp_denorm_src 0
		.amdhsa_exception_fp_ieee_div_zero 0
		.amdhsa_exception_fp_ieee_overflow 0
		.amdhsa_exception_fp_ieee_underflow 0
		.amdhsa_exception_fp_ieee_inexact 0
		.amdhsa_exception_int_div_zero 0
	.end_amdhsa_kernel
	.section	.text._ZL18flash_attn_ext_vecILi256ELi2EL9ggml_type6ELS0_6ELb1EEvPKcS2_S2_S2_S2_PKiPfP15HIP_vector_typeIfLj2EEffffjfiS6_IjLj3EEiiiiiiiiiiiliiliiiiil,"axG",@progbits,_ZL18flash_attn_ext_vecILi256ELi2EL9ggml_type6ELS0_6ELb1EEvPKcS2_S2_S2_S2_PKiPfP15HIP_vector_typeIfLj2EEffffjfiS6_IjLj3EEiiiiiiiiiiiliiliiiiil,comdat
.Lfunc_end31:
	.size	_ZL18flash_attn_ext_vecILi256ELi2EL9ggml_type6ELS0_6ELb1EEvPKcS2_S2_S2_S2_PKiPfP15HIP_vector_typeIfLj2EEffffjfiS6_IjLj3EEiiiiiiiiiiiliiliiiiil, .Lfunc_end31-_ZL18flash_attn_ext_vecILi256ELi2EL9ggml_type6ELS0_6ELb1EEvPKcS2_S2_S2_S2_PKiPfP15HIP_vector_typeIfLj2EEffffjfiS6_IjLj3EEiiiiiiiiiiiliiliiiiil
                                        ; -- End function
	.set _ZL18flash_attn_ext_vecILi256ELi2EL9ggml_type6ELS0_6ELb1EEvPKcS2_S2_S2_S2_PKiPfP15HIP_vector_typeIfLj2EEffffjfiS6_IjLj3EEiiiiiiiiiiiliiliiiiil.num_vgpr, 335
	.set _ZL18flash_attn_ext_vecILi256ELi2EL9ggml_type6ELS0_6ELb1EEvPKcS2_S2_S2_S2_PKiPfP15HIP_vector_typeIfLj2EEffffjfiS6_IjLj3EEiiiiiiiiiiiliiliiiiil.num_agpr, 0
	.set _ZL18flash_attn_ext_vecILi256ELi2EL9ggml_type6ELS0_6ELb1EEvPKcS2_S2_S2_S2_PKiPfP15HIP_vector_typeIfLj2EEffffjfiS6_IjLj3EEiiiiiiiiiiiliiliiiiil.numbered_sgpr, 51
	.set _ZL18flash_attn_ext_vecILi256ELi2EL9ggml_type6ELS0_6ELb1EEvPKcS2_S2_S2_S2_PKiPfP15HIP_vector_typeIfLj2EEffffjfiS6_IjLj3EEiiiiiiiiiiiliiliiiiil.num_named_barrier, 0
	.set _ZL18flash_attn_ext_vecILi256ELi2EL9ggml_type6ELS0_6ELb1EEvPKcS2_S2_S2_S2_PKiPfP15HIP_vector_typeIfLj2EEffffjfiS6_IjLj3EEiiiiiiiiiiiliiliiiiil.private_seg_size, 0
	.set _ZL18flash_attn_ext_vecILi256ELi2EL9ggml_type6ELS0_6ELb1EEvPKcS2_S2_S2_S2_PKiPfP15HIP_vector_typeIfLj2EEffffjfiS6_IjLj3EEiiiiiiiiiiiliiliiiiil.uses_vcc, 1
	.set _ZL18flash_attn_ext_vecILi256ELi2EL9ggml_type6ELS0_6ELb1EEvPKcS2_S2_S2_S2_PKiPfP15HIP_vector_typeIfLj2EEffffjfiS6_IjLj3EEiiiiiiiiiiiliiliiiiil.uses_flat_scratch, 0
	.set _ZL18flash_attn_ext_vecILi256ELi2EL9ggml_type6ELS0_6ELb1EEvPKcS2_S2_S2_S2_PKiPfP15HIP_vector_typeIfLj2EEffffjfiS6_IjLj3EEiiiiiiiiiiiliiliiiiil.has_dyn_sized_stack, 0
	.set _ZL18flash_attn_ext_vecILi256ELi2EL9ggml_type6ELS0_6ELb1EEvPKcS2_S2_S2_S2_PKiPfP15HIP_vector_typeIfLj2EEffffjfiS6_IjLj3EEiiiiiiiiiiiliiliiiiil.has_recursion, 0
	.set _ZL18flash_attn_ext_vecILi256ELi2EL9ggml_type6ELS0_6ELb1EEvPKcS2_S2_S2_S2_PKiPfP15HIP_vector_typeIfLj2EEffffjfiS6_IjLj3EEiiiiiiiiiiiliiliiiiil.has_indirect_call, 0
	.section	.AMDGPU.csdata,"",@progbits
; Kernel info:
; codeLenInByte = 59104
; TotalNumSgprs: 53
; NumVgprs: 335
; ScratchSize: 0
; MemoryBound: 0
; FloatMode: 240
; IeeeMode: 1
; LDSByteSize: 6656 bytes/workgroup (compile time only)
; SGPRBlocks: 0
; VGPRBlocks: 20
; NumSGPRsForWavesPerEU: 53
; NumVGPRsForWavesPerEU: 335
; NamedBarCnt: 0
; Occupancy: 3
; WaveLimiterHint : 0
; COMPUTE_PGM_RSRC2:SCRATCH_EN: 0
; COMPUTE_PGM_RSRC2:USER_SGPR: 4
; COMPUTE_PGM_RSRC2:TRAP_HANDLER: 0
; COMPUTE_PGM_RSRC2:TGID_X_EN: 1
; COMPUTE_PGM_RSRC2:TGID_Y_EN: 1
; COMPUTE_PGM_RSRC2:TGID_Z_EN: 1
; COMPUTE_PGM_RSRC2:TIDIG_COMP_CNT: 2
	.text
	.p2alignl 7, 3214868480
	.fill 96, 4, 3214868480
	.section	.AMDGPU.gpr_maximums,"",@progbits
	.set amdgpu.max_num_vgpr, 50
	.set amdgpu.max_num_agpr, 0
	.set amdgpu.max_num_sgpr, 34
	.text
	.type	.str.3,@object                  ; @.str.3
	.section	.rodata.str1.1,"aMS",@progbits,1
.str.3:
	.asciz	"/root/src/amdgpu-assembly/repos/ggml-org__llama.cpp/ggml/src/ggml-cuda/template-instances/../fattn-vec.cuh"
	.size	.str.3, 107

	.type	__FUNCTION__._ZL18flash_attn_ext_vecILi64ELi1EL9ggml_type6ELS0_6ELb1EEvPKcS2_S2_S2_S2_PKiPfP15HIP_vector_typeIfLj2EEffffjfiS6_IjLj3EEiiiiiiiiiiiliiliiiiil,@object ; @__FUNCTION__._ZL18flash_attn_ext_vecILi64ELi1EL9ggml_type6ELS0_6ELb1EEvPKcS2_S2_S2_S2_PKiPfP15HIP_vector_typeIfLj2EEffffjfiS6_IjLj3EEiiiiiiiiiiiliiliiiiil
__FUNCTION__._ZL18flash_attn_ext_vecILi64ELi1EL9ggml_type6ELS0_6ELb1EEvPKcS2_S2_S2_S2_PKiPfP15HIP_vector_typeIfLj2EEffffjfiS6_IjLj3EEiiiiiiiiiiiliiliiiiil:
	.asciz	"flash_attn_ext_vec"
	.size	__FUNCTION__._ZL18flash_attn_ext_vecILi64ELi1EL9ggml_type6ELS0_6ELb1EEvPKcS2_S2_S2_S2_PKiPfP15HIP_vector_typeIfLj2EEffffjfiS6_IjLj3EEiiiiiiiiiiiliiliiiiil, 19

	.type	.str.5,@object                  ; @.str.5
.str.5:
	.asciz	"%s:%d: ERROR: HIP kernel %s has no device code compatible with HIP arch %d.\n"
	.size	.str.5, 77

	.type	__hip_cuid_c45cf9addfc7d5,@object ; @__hip_cuid_c45cf9addfc7d5
	.section	.bss,"aw",@nobits
	.globl	__hip_cuid_c45cf9addfc7d5
__hip_cuid_c45cf9addfc7d5:
	.byte	0                               ; 0x0
	.size	__hip_cuid_c45cf9addfc7d5, 1

	.ident	"AMD clang version 22.0.0git (https://github.com/RadeonOpenCompute/llvm-project roc-7.2.4 26084 f58b06dce1f9c15707c5f808fd002e18c2accf7e)"
	.section	".note.GNU-stack","",@progbits
	.addrsig
	.addrsig_sym __hip_cuid_c45cf9addfc7d5
	.amdgpu_metadata
---
amdhsa.kernels:
  - .args:
      - .address_space:  global
        .offset:         0
        .size:           8
        .value_kind:     global_buffer
      - .address_space:  global
        .offset:         8
        .size:           8
        .value_kind:     global_buffer
      - .address_space:  global
        .offset:         16
        .size:           8
        .value_kind:     global_buffer
      - .address_space:  global
        .offset:         24
        .size:           8
        .value_kind:     global_buffer
      - .address_space:  global
        .offset:         32
        .size:           8
        .value_kind:     global_buffer
      - .address_space:  global
        .offset:         40
        .size:           8
        .value_kind:     global_buffer
      - .address_space:  global
        .offset:         48
        .size:           8
        .value_kind:     global_buffer
      - .address_space:  global
        .offset:         56
        .size:           8
        .value_kind:     global_buffer
      - .offset:         64
        .size:           4
        .value_kind:     by_value
      - .offset:         68
        .size:           4
        .value_kind:     by_value
      - .offset:         72
        .size:           4
        .value_kind:     by_value
      - .offset:         76
        .size:           4
        .value_kind:     by_value
      - .offset:         80
        .size:           4
        .value_kind:     by_value
      - .offset:         84
        .size:           4
        .value_kind:     by_value
      - .offset:         88
        .size:           4
        .value_kind:     by_value
      - .offset:         92
        .size:           12
        .value_kind:     by_value
      - .offset:         104
        .size:           4
        .value_kind:     by_value
      - .offset:         108
        .size:           4
        .value_kind:     by_value
      - .offset:         112
        .size:           4
        .value_kind:     by_value
      - .offset:         116
        .size:           4
        .value_kind:     by_value
      - .offset:         120
        .size:           4
        .value_kind:     by_value
      - .offset:         124
        .size:           4
        .value_kind:     by_value
      - .offset:         128
        .size:           4
        .value_kind:     by_value
      - .offset:         132
        .size:           4
        .value_kind:     by_value
      - .offset:         136
        .size:           4
        .value_kind:     by_value
      - .offset:         140
        .size:           4
        .value_kind:     by_value
      - .offset:         144
        .size:           4
        .value_kind:     by_value
      - .offset:         152
        .size:           8
        .value_kind:     by_value
      - .offset:         160
        .size:           4
        .value_kind:     by_value
      - .offset:         164
        .size:           4
        .value_kind:     by_value
      - .offset:         168
        .size:           8
        .value_kind:     by_value
      - .offset:         176
        .size:           4
        .value_kind:     by_value
      - .offset:         180
        .size:           4
        .value_kind:     by_value
      - .offset:         184
        .size:           4
        .value_kind:     by_value
      - .offset:         188
        .size:           4
        .value_kind:     by_value
      - .offset:         192
        .size:           4
        .value_kind:     by_value
      - .offset:         200
        .size:           8
        .value_kind:     by_value
      - .offset:         208
        .size:           4
        .value_kind:     hidden_block_count_x
      - .offset:         212
        .size:           4
        .value_kind:     hidden_block_count_y
      - .offset:         216
        .size:           4
        .value_kind:     hidden_block_count_z
      - .offset:         220
        .size:           2
        .value_kind:     hidden_group_size_x
      - .offset:         222
        .size:           2
        .value_kind:     hidden_group_size_y
      - .offset:         224
        .size:           2
        .value_kind:     hidden_group_size_z
      - .offset:         226
        .size:           2
        .value_kind:     hidden_remainder_x
      - .offset:         228
        .size:           2
        .value_kind:     hidden_remainder_y
      - .offset:         230
        .size:           2
        .value_kind:     hidden_remainder_z
      - .offset:         248
        .size:           8
        .value_kind:     hidden_global_offset_x
      - .offset:         256
        .size:           8
        .value_kind:     hidden_global_offset_y
      - .offset:         264
        .size:           8
        .value_kind:     hidden_global_offset_z
      - .offset:         272
        .size:           2
        .value_kind:     hidden_grid_dims
    .group_segment_fixed_size: 1280
    .kernarg_segment_align: 8
    .kernarg_segment_size: 464
    .language:       OpenCL C
    .language_version:
      - 2
      - 0
    .max_flat_workgroup_size: 128
    .name:           _ZL18flash_attn_ext_vecILi64ELi1EL9ggml_type6ELS0_6ELb0EEvPKcS2_S2_S2_S2_PKiPfP15HIP_vector_typeIfLj2EEffffjfiS6_IjLj3EEiiiiiiiiiiiliiliiiiil
    .private_segment_fixed_size: 0
    .sgpr_count:     54
    .sgpr_spill_count: 0
    .symbol:         _ZL18flash_attn_ext_vecILi64ELi1EL9ggml_type6ELS0_6ELb0EEvPKcS2_S2_S2_S2_PKiPfP15HIP_vector_typeIfLj2EEffffjfiS6_IjLj3EEiiiiiiiiiiiliiliiiiil.kd
    .uniform_work_group_size: 1
    .uses_dynamic_stack: false
    .vgpr_count:     138
    .vgpr_spill_count: 0
    .wavefront_size: 32
  - .args:
      - .actual_access:  read_only
        .address_space:  global
        .offset:         0
        .size:           8
        .value_kind:     global_buffer
      - .actual_access:  write_only
        .address_space:  global
        .offset:         8
        .size:           8
        .value_kind:     global_buffer
      - .offset:         16
        .size:           4
        .value_kind:     by_value
      - .offset:         20
        .size:           4
        .value_kind:     by_value
      - .offset:         24
        .size:           4
        .value_kind:     by_value
      - .offset:         32
        .size:           4
        .value_kind:     hidden_block_count_x
      - .offset:         36
        .size:           4
        .value_kind:     hidden_block_count_y
      - .offset:         40
        .size:           4
        .value_kind:     hidden_block_count_z
      - .offset:         44
        .size:           2
        .value_kind:     hidden_group_size_x
      - .offset:         46
        .size:           2
        .value_kind:     hidden_group_size_y
      - .offset:         48
        .size:           2
        .value_kind:     hidden_group_size_z
      - .offset:         50
        .size:           2
        .value_kind:     hidden_remainder_x
      - .offset:         52
        .size:           2
        .value_kind:     hidden_remainder_y
      - .offset:         54
        .size:           2
        .value_kind:     hidden_remainder_z
      - .offset:         72
        .size:           8
        .value_kind:     hidden_global_offset_x
      - .offset:         80
        .size:           8
        .value_kind:     hidden_global_offset_y
      - .offset:         88
        .size:           8
        .value_kind:     hidden_global_offset_z
      - .offset:         96
        .size:           2
        .value_kind:     hidden_grid_dims
    .group_segment_fixed_size: 128
    .kernarg_segment_align: 8
    .kernarg_segment_size: 288
    .language:       OpenCL C
    .language_version:
      - 2
      - 0
    .max_flat_workgroup_size: 128
    .name:           _ZL25flash_attn_mask_to_KV_maxILi1EEvPK7__half2Piiii
    .private_segment_fixed_size: 0
    .sgpr_count:     15
    .sgpr_spill_count: 0
    .symbol:         _ZL25flash_attn_mask_to_KV_maxILi1EEvPK7__half2Piiii.kd
    .uniform_work_group_size: 1
    .uses_dynamic_stack: false
    .vgpr_count:     5
    .vgpr_spill_count: 0
    .wavefront_size: 32
  - .args:
      - .address_space:  global
        .offset:         0
        .size:           8
        .value_kind:     global_buffer
      - .address_space:  global
        .offset:         8
        .size:           8
        .value_kind:     global_buffer
      - .offset:         16
        .size:           4
        .value_kind:     by_value
      - .offset:         20
        .size:           4
        .value_kind:     by_value
      - .offset:         24
        .size:           4
        .value_kind:     by_value
      - .offset:         28
        .size:           4
        .value_kind:     by_value
      - .offset:         32
        .size:           4
        .value_kind:     by_value
      - .offset:         36
        .size:           4
        .value_kind:     by_value
      - .offset:         40
        .size:           12
        .value_kind:     by_value
      - .offset:         52
        .size:           12
        .value_kind:     by_value
      - .offset:         64
        .size:           12
        .value_kind:     by_value
    .group_segment_fixed_size: 0
    .kernarg_segment_align: 8
    .kernarg_segment_size: 76
    .language:       OpenCL C
    .language_version:
      - 2
      - 0
    .max_flat_workgroup_size: 64
    .name:           _ZL33flash_attn_stream_k_fixup_uniformILi64ELi1ELi1EEvPfPK15HIP_vector_typeIfLj2EEiiiiiiS1_IjLj3EES5_S5_
    .private_segment_fixed_size: 0
    .sgpr_count:     23
    .sgpr_spill_count: 0
    .symbol:         _ZL33flash_attn_stream_k_fixup_uniformILi64ELi1ELi1EEvPfPK15HIP_vector_typeIfLj2EEiiiiiiS1_IjLj3EES5_S5_.kd
    .uniform_work_group_size: 1
    .uses_dynamic_stack: false
    .vgpr_count:     12
    .vgpr_spill_count: 0
    .wavefront_size: 32
  - .args:
      - .address_space:  global
        .offset:         0
        .size:           8
        .value_kind:     global_buffer
      - .address_space:  global
        .offset:         8
        .size:           8
        .value_kind:     global_buffer
      - .offset:         16
        .size:           4
        .value_kind:     by_value
      - .offset:         20
        .size:           4
        .value_kind:     by_value
      - .offset:         24
        .size:           4
        .value_kind:     by_value
      - .offset:         28
        .size:           4
        .value_kind:     by_value
      - .offset:         32
        .size:           12
        .value_kind:     by_value
      - .offset:         44
        .size:           12
        .value_kind:     by_value
      - .offset:         56
        .size:           12
        .value_kind:     by_value
      - .offset:         68
        .size:           12
        .value_kind:     by_value
      - .offset:         80
        .size:           4
        .value_kind:     hidden_block_count_x
      - .offset:         84
        .size:           4
        .value_kind:     hidden_block_count_y
      - .offset:         88
        .size:           4
        .value_kind:     hidden_block_count_z
      - .offset:         92
        .size:           2
        .value_kind:     hidden_group_size_x
      - .offset:         94
        .size:           2
        .value_kind:     hidden_group_size_y
      - .offset:         96
        .size:           2
        .value_kind:     hidden_group_size_z
      - .offset:         98
        .size:           2
        .value_kind:     hidden_remainder_x
      - .offset:         100
        .size:           2
        .value_kind:     hidden_remainder_y
      - .offset:         102
        .size:           2
        .value_kind:     hidden_remainder_z
      - .offset:         120
        .size:           8
        .value_kind:     hidden_global_offset_x
      - .offset:         128
        .size:           8
        .value_kind:     hidden_global_offset_y
      - .offset:         136
        .size:           8
        .value_kind:     hidden_global_offset_z
      - .offset:         144
        .size:           2
        .value_kind:     hidden_grid_dims
    .group_segment_fixed_size: 0
    .kernarg_segment_align: 8
    .kernarg_segment_size: 336
    .language:       OpenCL C
    .language_version:
      - 2
      - 0
    .max_flat_workgroup_size: 64
    .name:           _ZL33flash_attn_stream_k_fixup_generalILi64ELi1ELi1EEvPfPK15HIP_vector_typeIfLj2EEiiiiS1_IjLj3EES5_S5_S5_
    .private_segment_fixed_size: 0
    .sgpr_count:     48
    .sgpr_spill_count: 0
    .symbol:         _ZL33flash_attn_stream_k_fixup_generalILi64ELi1ELi1EEvPfPK15HIP_vector_typeIfLj2EEiiiiS1_IjLj3EES5_S5_S5_.kd
    .uniform_work_group_size: 1
    .uses_dynamic_stack: false
    .vgpr_count:     12
    .vgpr_spill_count: 0
    .wavefront_size: 32
  - .args:
      - .address_space:  global
        .offset:         0
        .size:           8
        .value_kind:     global_buffer
      - .address_space:  global
        .offset:         8
        .size:           8
        .value_kind:     global_buffer
      - .address_space:  global
        .offset:         16
        .size:           8
        .value_kind:     global_buffer
      - .offset:         24
        .size:           4
        .value_kind:     by_value
      - .offset:         32
        .size:           4
        .value_kind:     hidden_block_count_x
      - .offset:         36
        .size:           4
        .value_kind:     hidden_block_count_y
      - .offset:         40
        .size:           4
        .value_kind:     hidden_block_count_z
      - .offset:         44
        .size:           2
        .value_kind:     hidden_group_size_x
      - .offset:         46
        .size:           2
        .value_kind:     hidden_group_size_y
      - .offset:         48
        .size:           2
        .value_kind:     hidden_group_size_z
      - .offset:         50
        .size:           2
        .value_kind:     hidden_remainder_x
      - .offset:         52
        .size:           2
        .value_kind:     hidden_remainder_y
      - .offset:         54
        .size:           2
        .value_kind:     hidden_remainder_z
      - .offset:         72
        .size:           8
        .value_kind:     hidden_global_offset_x
      - .offset:         80
        .size:           8
        .value_kind:     hidden_global_offset_y
      - .offset:         88
        .size:           8
        .value_kind:     hidden_global_offset_z
      - .offset:         96
        .size:           2
        .value_kind:     hidden_grid_dims
      - .offset:         152
        .size:           4
        .value_kind:     hidden_dynamic_lds_size
    .group_segment_fixed_size: 0
    .kernarg_segment_align: 8
    .kernarg_segment_size: 288
    .language:       OpenCL C
    .language_version:
      - 2
      - 0
    .max_flat_workgroup_size: 64
    .name:           _ZL26flash_attn_combine_resultsILi64EEvPKfPK15HIP_vector_typeIfLj2EEPfi
    .private_segment_fixed_size: 0
    .sgpr_count:     45
    .sgpr_spill_count: 0
    .symbol:         _ZL26flash_attn_combine_resultsILi64EEvPKfPK15HIP_vector_typeIfLj2EEPfi.kd
    .uniform_work_group_size: 1
    .uses_dynamic_stack: false
    .vgpr_count:     36
    .vgpr_spill_count: 0
    .wavefront_size: 32
  - .args:
      - .address_space:  global
        .offset:         0
        .size:           8
        .value_kind:     global_buffer
      - .address_space:  global
        .offset:         8
        .size:           8
        .value_kind:     global_buffer
      - .address_space:  global
        .offset:         16
        .size:           8
        .value_kind:     global_buffer
      - .address_space:  global
        .offset:         24
        .size:           8
        .value_kind:     global_buffer
      - .address_space:  global
        .offset:         32
        .size:           8
        .value_kind:     global_buffer
      - .address_space:  global
        .offset:         40
        .size:           8
        .value_kind:     global_buffer
      - .address_space:  global
        .offset:         48
        .size:           8
        .value_kind:     global_buffer
      - .address_space:  global
        .offset:         56
        .size:           8
        .value_kind:     global_buffer
      - .offset:         64
        .size:           4
        .value_kind:     by_value
      - .offset:         68
        .size:           4
        .value_kind:     by_value
      - .offset:         72
        .size:           4
        .value_kind:     by_value
      - .offset:         76
        .size:           4
        .value_kind:     by_value
      - .offset:         80
        .size:           4
        .value_kind:     by_value
      - .offset:         84
        .size:           4
        .value_kind:     by_value
      - .offset:         88
        .size:           4
        .value_kind:     by_value
      - .offset:         92
        .size:           12
        .value_kind:     by_value
      - .offset:         104
        .size:           4
        .value_kind:     by_value
      - .offset:         108
        .size:           4
        .value_kind:     by_value
      - .offset:         112
        .size:           4
        .value_kind:     by_value
      - .offset:         116
        .size:           4
        .value_kind:     by_value
      - .offset:         120
        .size:           4
        .value_kind:     by_value
      - .offset:         124
        .size:           4
        .value_kind:     by_value
      - .offset:         128
        .size:           4
        .value_kind:     by_value
      - .offset:         132
        .size:           4
        .value_kind:     by_value
      - .offset:         136
        .size:           4
        .value_kind:     by_value
      - .offset:         140
        .size:           4
        .value_kind:     by_value
      - .offset:         144
        .size:           4
        .value_kind:     by_value
      - .offset:         152
        .size:           8
        .value_kind:     by_value
      - .offset:         160
        .size:           4
        .value_kind:     by_value
      - .offset:         164
        .size:           4
        .value_kind:     by_value
      - .offset:         168
        .size:           8
        .value_kind:     by_value
      - .offset:         176
        .size:           4
        .value_kind:     by_value
      - .offset:         180
        .size:           4
        .value_kind:     by_value
      - .offset:         184
        .size:           4
        .value_kind:     by_value
      - .offset:         188
        .size:           4
        .value_kind:     by_value
      - .offset:         192
        .size:           4
        .value_kind:     by_value
      - .offset:         200
        .size:           8
        .value_kind:     by_value
      - .offset:         208
        .size:           4
        .value_kind:     hidden_block_count_x
      - .offset:         212
        .size:           4
        .value_kind:     hidden_block_count_y
      - .offset:         216
        .size:           4
        .value_kind:     hidden_block_count_z
      - .offset:         220
        .size:           2
        .value_kind:     hidden_group_size_x
      - .offset:         222
        .size:           2
        .value_kind:     hidden_group_size_y
      - .offset:         224
        .size:           2
        .value_kind:     hidden_group_size_z
      - .offset:         226
        .size:           2
        .value_kind:     hidden_remainder_x
      - .offset:         228
        .size:           2
        .value_kind:     hidden_remainder_y
      - .offset:         230
        .size:           2
        .value_kind:     hidden_remainder_z
      - .offset:         248
        .size:           8
        .value_kind:     hidden_global_offset_x
      - .offset:         256
        .size:           8
        .value_kind:     hidden_global_offset_y
      - .offset:         264
        .size:           8
        .value_kind:     hidden_global_offset_z
      - .offset:         272
        .size:           2
        .value_kind:     hidden_grid_dims
      - .offset:         288
        .size:           8
        .value_kind:     hidden_hostcall_buffer
    .group_segment_fixed_size: 0
    .kernarg_segment_align: 8
    .kernarg_segment_size: 464
    .language:       OpenCL C
    .language_version:
      - 2
      - 0
    .max_flat_workgroup_size: 128
    .name:           _ZL18flash_attn_ext_vecILi64ELi1EL9ggml_type6ELS0_6ELb1EEvPKcS2_S2_S2_S2_PKiPfP15HIP_vector_typeIfLj2EEffffjfiS6_IjLj3EEiiiiiiiiiiiliiliiiiil
    .private_segment_fixed_size: 16
    .sgpr_count:     36
    .sgpr_spill_count: 0
    .symbol:         _ZL18flash_attn_ext_vecILi64ELi1EL9ggml_type6ELS0_6ELb1EEvPKcS2_S2_S2_S2_PKiPfP15HIP_vector_typeIfLj2EEffffjfiS6_IjLj3EEiiiiiiiiiiiliiliiiiil.kd
    .uniform_work_group_size: 1
    .uses_dynamic_stack: false
    .vgpr_count:     50
    .vgpr_spill_count: 0
    .wavefront_size: 32
  - .args:
      - .address_space:  global
        .offset:         0
        .size:           8
        .value_kind:     global_buffer
      - .address_space:  global
        .offset:         8
        .size:           8
        .value_kind:     global_buffer
      - .address_space:  global
        .offset:         16
        .size:           8
        .value_kind:     global_buffer
      - .address_space:  global
        .offset:         24
        .size:           8
        .value_kind:     global_buffer
      - .address_space:  global
        .offset:         32
        .size:           8
        .value_kind:     global_buffer
      - .address_space:  global
        .offset:         40
        .size:           8
        .value_kind:     global_buffer
      - .address_space:  global
        .offset:         48
        .size:           8
        .value_kind:     global_buffer
      - .address_space:  global
        .offset:         56
        .size:           8
        .value_kind:     global_buffer
      - .offset:         64
        .size:           4
        .value_kind:     by_value
      - .offset:         68
        .size:           4
        .value_kind:     by_value
      - .offset:         72
        .size:           4
        .value_kind:     by_value
      - .offset:         76
        .size:           4
        .value_kind:     by_value
      - .offset:         80
        .size:           4
        .value_kind:     by_value
      - .offset:         84
        .size:           4
        .value_kind:     by_value
      - .offset:         88
        .size:           4
        .value_kind:     by_value
      - .offset:         92
        .size:           12
        .value_kind:     by_value
      - .offset:         104
        .size:           4
        .value_kind:     by_value
      - .offset:         108
        .size:           4
        .value_kind:     by_value
      - .offset:         112
        .size:           4
        .value_kind:     by_value
      - .offset:         116
        .size:           4
        .value_kind:     by_value
      - .offset:         120
        .size:           4
        .value_kind:     by_value
      - .offset:         124
        .size:           4
        .value_kind:     by_value
      - .offset:         128
        .size:           4
        .value_kind:     by_value
      - .offset:         132
        .size:           4
        .value_kind:     by_value
      - .offset:         136
        .size:           4
        .value_kind:     by_value
      - .offset:         140
        .size:           4
        .value_kind:     by_value
      - .offset:         144
        .size:           4
        .value_kind:     by_value
      - .offset:         152
        .size:           8
        .value_kind:     by_value
      - .offset:         160
        .size:           4
        .value_kind:     by_value
      - .offset:         164
        .size:           4
        .value_kind:     by_value
      - .offset:         168
        .size:           8
        .value_kind:     by_value
      - .offset:         176
        .size:           4
        .value_kind:     by_value
      - .offset:         180
        .size:           4
        .value_kind:     by_value
      - .offset:         184
        .size:           4
        .value_kind:     by_value
      - .offset:         188
        .size:           4
        .value_kind:     by_value
      - .offset:         192
        .size:           4
        .value_kind:     by_value
      - .offset:         200
        .size:           8
        .value_kind:     by_value
      - .offset:         208
        .size:           4
        .value_kind:     hidden_block_count_x
      - .offset:         212
        .size:           4
        .value_kind:     hidden_block_count_y
      - .offset:         216
        .size:           4
        .value_kind:     hidden_block_count_z
      - .offset:         220
        .size:           2
        .value_kind:     hidden_group_size_x
      - .offset:         222
        .size:           2
        .value_kind:     hidden_group_size_y
      - .offset:         224
        .size:           2
        .value_kind:     hidden_group_size_z
      - .offset:         226
        .size:           2
        .value_kind:     hidden_remainder_x
      - .offset:         228
        .size:           2
        .value_kind:     hidden_remainder_y
      - .offset:         230
        .size:           2
        .value_kind:     hidden_remainder_z
      - .offset:         248
        .size:           8
        .value_kind:     hidden_global_offset_x
      - .offset:         256
        .size:           8
        .value_kind:     hidden_global_offset_y
      - .offset:         264
        .size:           8
        .value_kind:     hidden_global_offset_z
      - .offset:         272
        .size:           2
        .value_kind:     hidden_grid_dims
    .group_segment_fixed_size: 3584
    .kernarg_segment_align: 8
    .kernarg_segment_size: 464
    .language:       OpenCL C
    .language_version:
      - 2
      - 0
    .max_flat_workgroup_size: 128
    .name:           _ZL18flash_attn_ext_vecILi64ELi2EL9ggml_type6ELS0_6ELb0EEvPKcS2_S2_S2_S2_PKiPfP15HIP_vector_typeIfLj2EEffffjfiS6_IjLj3EEiiiiiiiiiiiliiliiiiil
    .private_segment_fixed_size: 0
    .sgpr_count:     58
    .sgpr_spill_count: 0
    .symbol:         _ZL18flash_attn_ext_vecILi64ELi2EL9ggml_type6ELS0_6ELb0EEvPKcS2_S2_S2_S2_PKiPfP15HIP_vector_typeIfLj2EEffffjfiS6_IjLj3EEiiiiiiiiiiiliiliiiiil.kd
    .uniform_work_group_size: 1
    .uses_dynamic_stack: false
    .vgpr_count:     190
    .vgpr_spill_count: 0
    .wavefront_size: 32
  - .args:
      - .actual_access:  read_only
        .address_space:  global
        .offset:         0
        .size:           8
        .value_kind:     global_buffer
      - .actual_access:  write_only
        .address_space:  global
        .offset:         8
        .size:           8
        .value_kind:     global_buffer
      - .offset:         16
        .size:           4
        .value_kind:     by_value
      - .offset:         20
        .size:           4
        .value_kind:     by_value
      - .offset:         24
        .size:           4
        .value_kind:     by_value
      - .offset:         32
        .size:           4
        .value_kind:     hidden_block_count_x
      - .offset:         36
        .size:           4
        .value_kind:     hidden_block_count_y
      - .offset:         40
        .size:           4
        .value_kind:     hidden_block_count_z
      - .offset:         44
        .size:           2
        .value_kind:     hidden_group_size_x
      - .offset:         46
        .size:           2
        .value_kind:     hidden_group_size_y
      - .offset:         48
        .size:           2
        .value_kind:     hidden_group_size_z
      - .offset:         50
        .size:           2
        .value_kind:     hidden_remainder_x
      - .offset:         52
        .size:           2
        .value_kind:     hidden_remainder_y
      - .offset:         54
        .size:           2
        .value_kind:     hidden_remainder_z
      - .offset:         72
        .size:           8
        .value_kind:     hidden_global_offset_x
      - .offset:         80
        .size:           8
        .value_kind:     hidden_global_offset_y
      - .offset:         88
        .size:           8
        .value_kind:     hidden_global_offset_z
      - .offset:         96
        .size:           2
        .value_kind:     hidden_grid_dims
    .group_segment_fixed_size: 128
    .kernarg_segment_align: 8
    .kernarg_segment_size: 288
    .language:       OpenCL C
    .language_version:
      - 2
      - 0
    .max_flat_workgroup_size: 128
    .name:           _ZL25flash_attn_mask_to_KV_maxILi2EEvPK7__half2Piiii
    .private_segment_fixed_size: 0
    .sgpr_count:     17
    .sgpr_spill_count: 0
    .symbol:         _ZL25flash_attn_mask_to_KV_maxILi2EEvPK7__half2Piiii.kd
    .uniform_work_group_size: 1
    .uses_dynamic_stack: false
    .vgpr_count:     6
    .vgpr_spill_count: 0
    .wavefront_size: 32
  - .args:
      - .address_space:  global
        .offset:         0
        .size:           8
        .value_kind:     global_buffer
      - .address_space:  global
        .offset:         8
        .size:           8
        .value_kind:     global_buffer
      - .offset:         16
        .size:           4
        .value_kind:     by_value
      - .offset:         20
        .size:           4
        .value_kind:     by_value
      - .offset:         24
        .size:           4
        .value_kind:     by_value
      - .offset:         28
        .size:           4
        .value_kind:     by_value
      - .offset:         32
        .size:           4
        .value_kind:     by_value
      - .offset:         36
        .size:           4
        .value_kind:     by_value
      - .offset:         40
        .size:           12
        .value_kind:     by_value
      - .offset:         52
        .size:           12
        .value_kind:     by_value
      - .offset:         64
        .size:           12
        .value_kind:     by_value
    .group_segment_fixed_size: 0
    .kernarg_segment_align: 8
    .kernarg_segment_size: 76
    .language:       OpenCL C
    .language_version:
      - 2
      - 0
    .max_flat_workgroup_size: 64
    .name:           _ZL33flash_attn_stream_k_fixup_uniformILi64ELi2ELi1EEvPfPK15HIP_vector_typeIfLj2EEiiiiiiS1_IjLj3EES5_S5_
    .private_segment_fixed_size: 0
    .sgpr_count:     23
    .sgpr_spill_count: 0
    .symbol:         _ZL33flash_attn_stream_k_fixup_uniformILi64ELi2ELi1EEvPfPK15HIP_vector_typeIfLj2EEiiiiiiS1_IjLj3EES5_S5_.kd
    .uniform_work_group_size: 1
    .uses_dynamic_stack: false
    .vgpr_count:     12
    .vgpr_spill_count: 0
    .wavefront_size: 32
  - .args:
      - .address_space:  global
        .offset:         0
        .size:           8
        .value_kind:     global_buffer
      - .address_space:  global
        .offset:         8
        .size:           8
        .value_kind:     global_buffer
      - .offset:         16
        .size:           4
        .value_kind:     by_value
      - .offset:         20
        .size:           4
        .value_kind:     by_value
      - .offset:         24
        .size:           4
        .value_kind:     by_value
      - .offset:         28
        .size:           4
        .value_kind:     by_value
      - .offset:         32
        .size:           12
        .value_kind:     by_value
      - .offset:         44
        .size:           12
        .value_kind:     by_value
      - .offset:         56
        .size:           12
        .value_kind:     by_value
      - .offset:         68
        .size:           12
        .value_kind:     by_value
      - .offset:         80
        .size:           4
        .value_kind:     hidden_block_count_x
      - .offset:         84
        .size:           4
        .value_kind:     hidden_block_count_y
      - .offset:         88
        .size:           4
        .value_kind:     hidden_block_count_z
      - .offset:         92
        .size:           2
        .value_kind:     hidden_group_size_x
      - .offset:         94
        .size:           2
        .value_kind:     hidden_group_size_y
      - .offset:         96
        .size:           2
        .value_kind:     hidden_group_size_z
      - .offset:         98
        .size:           2
        .value_kind:     hidden_remainder_x
      - .offset:         100
        .size:           2
        .value_kind:     hidden_remainder_y
      - .offset:         102
        .size:           2
        .value_kind:     hidden_remainder_z
      - .offset:         120
        .size:           8
        .value_kind:     hidden_global_offset_x
      - .offset:         128
        .size:           8
        .value_kind:     hidden_global_offset_y
      - .offset:         136
        .size:           8
        .value_kind:     hidden_global_offset_z
      - .offset:         144
        .size:           2
        .value_kind:     hidden_grid_dims
    .group_segment_fixed_size: 0
    .kernarg_segment_align: 8
    .kernarg_segment_size: 336
    .language:       OpenCL C
    .language_version:
      - 2
      - 0
    .max_flat_workgroup_size: 64
    .name:           _ZL33flash_attn_stream_k_fixup_generalILi64ELi2ELi1EEvPfPK15HIP_vector_typeIfLj2EEiiiiS1_IjLj3EES5_S5_S5_
    .private_segment_fixed_size: 0
    .sgpr_count:     48
    .sgpr_spill_count: 0
    .symbol:         _ZL33flash_attn_stream_k_fixup_generalILi64ELi2ELi1EEvPfPK15HIP_vector_typeIfLj2EEiiiiS1_IjLj3EES5_S5_S5_.kd
    .uniform_work_group_size: 1
    .uses_dynamic_stack: false
    .vgpr_count:     12
    .vgpr_spill_count: 0
    .wavefront_size: 32
  - .args:
      - .address_space:  global
        .offset:         0
        .size:           8
        .value_kind:     global_buffer
      - .address_space:  global
        .offset:         8
        .size:           8
        .value_kind:     global_buffer
      - .address_space:  global
        .offset:         16
        .size:           8
        .value_kind:     global_buffer
      - .address_space:  global
        .offset:         24
        .size:           8
        .value_kind:     global_buffer
      - .address_space:  global
        .offset:         32
        .size:           8
        .value_kind:     global_buffer
      - .address_space:  global
        .offset:         40
        .size:           8
        .value_kind:     global_buffer
      - .address_space:  global
        .offset:         48
        .size:           8
        .value_kind:     global_buffer
      - .address_space:  global
        .offset:         56
        .size:           8
        .value_kind:     global_buffer
      - .offset:         64
        .size:           4
        .value_kind:     by_value
      - .offset:         68
        .size:           4
        .value_kind:     by_value
      - .offset:         72
        .size:           4
        .value_kind:     by_value
      - .offset:         76
        .size:           4
        .value_kind:     by_value
      - .offset:         80
        .size:           4
        .value_kind:     by_value
      - .offset:         84
        .size:           4
        .value_kind:     by_value
      - .offset:         88
        .size:           4
        .value_kind:     by_value
      - .offset:         92
        .size:           12
        .value_kind:     by_value
      - .offset:         104
        .size:           4
        .value_kind:     by_value
      - .offset:         108
        .size:           4
        .value_kind:     by_value
      - .offset:         112
        .size:           4
        .value_kind:     by_value
      - .offset:         116
        .size:           4
        .value_kind:     by_value
      - .offset:         120
        .size:           4
        .value_kind:     by_value
      - .offset:         124
        .size:           4
        .value_kind:     by_value
      - .offset:         128
        .size:           4
        .value_kind:     by_value
      - .offset:         132
        .size:           4
        .value_kind:     by_value
      - .offset:         136
        .size:           4
        .value_kind:     by_value
      - .offset:         140
        .size:           4
        .value_kind:     by_value
      - .offset:         144
        .size:           4
        .value_kind:     by_value
      - .offset:         152
        .size:           8
        .value_kind:     by_value
      - .offset:         160
        .size:           4
        .value_kind:     by_value
      - .offset:         164
        .size:           4
        .value_kind:     by_value
      - .offset:         168
        .size:           8
        .value_kind:     by_value
      - .offset:         176
        .size:           4
        .value_kind:     by_value
      - .offset:         180
        .size:           4
        .value_kind:     by_value
      - .offset:         184
        .size:           4
        .value_kind:     by_value
      - .offset:         188
        .size:           4
        .value_kind:     by_value
      - .offset:         192
        .size:           4
        .value_kind:     by_value
      - .offset:         200
        .size:           8
        .value_kind:     by_value
      - .offset:         208
        .size:           4
        .value_kind:     hidden_block_count_x
      - .offset:         212
        .size:           4
        .value_kind:     hidden_block_count_y
      - .offset:         216
        .size:           4
        .value_kind:     hidden_block_count_z
      - .offset:         220
        .size:           2
        .value_kind:     hidden_group_size_x
      - .offset:         222
        .size:           2
        .value_kind:     hidden_group_size_y
      - .offset:         224
        .size:           2
        .value_kind:     hidden_group_size_z
      - .offset:         226
        .size:           2
        .value_kind:     hidden_remainder_x
      - .offset:         228
        .size:           2
        .value_kind:     hidden_remainder_y
      - .offset:         230
        .size:           2
        .value_kind:     hidden_remainder_z
      - .offset:         248
        .size:           8
        .value_kind:     hidden_global_offset_x
      - .offset:         256
        .size:           8
        .value_kind:     hidden_global_offset_y
      - .offset:         264
        .size:           8
        .value_kind:     hidden_global_offset_z
      - .offset:         272
        .size:           2
        .value_kind:     hidden_grid_dims
      - .offset:         288
        .size:           8
        .value_kind:     hidden_hostcall_buffer
    .group_segment_fixed_size: 0
    .kernarg_segment_align: 8
    .kernarg_segment_size: 464
    .language:       OpenCL C
    .language_version:
      - 2
      - 0
    .max_flat_workgroup_size: 128
    .name:           _ZL18flash_attn_ext_vecILi64ELi2EL9ggml_type6ELS0_6ELb1EEvPKcS2_S2_S2_S2_PKiPfP15HIP_vector_typeIfLj2EEffffjfiS6_IjLj3EEiiiiiiiiiiiliiliiiiil
    .private_segment_fixed_size: 16
    .sgpr_count:     36
    .sgpr_spill_count: 0
    .symbol:         _ZL18flash_attn_ext_vecILi64ELi2EL9ggml_type6ELS0_6ELb1EEvPKcS2_S2_S2_S2_PKiPfP15HIP_vector_typeIfLj2EEffffjfiS6_IjLj3EEiiiiiiiiiiiliiliiiiil.kd
    .uniform_work_group_size: 1
    .uses_dynamic_stack: false
    .vgpr_count:     50
    .vgpr_spill_count: 0
    .wavefront_size: 32
  - .args:
      - .address_space:  global
        .offset:         0
        .size:           8
        .value_kind:     global_buffer
      - .address_space:  global
        .offset:         8
        .size:           8
        .value_kind:     global_buffer
      - .address_space:  global
        .offset:         16
        .size:           8
        .value_kind:     global_buffer
      - .address_space:  global
        .offset:         24
        .size:           8
        .value_kind:     global_buffer
      - .address_space:  global
        .offset:         32
        .size:           8
        .value_kind:     global_buffer
      - .address_space:  global
        .offset:         40
        .size:           8
        .value_kind:     global_buffer
      - .address_space:  global
        .offset:         48
        .size:           8
        .value_kind:     global_buffer
      - .address_space:  global
        .offset:         56
        .size:           8
        .value_kind:     global_buffer
      - .offset:         64
        .size:           4
        .value_kind:     by_value
      - .offset:         68
        .size:           4
        .value_kind:     by_value
      - .offset:         72
        .size:           4
        .value_kind:     by_value
      - .offset:         76
        .size:           4
        .value_kind:     by_value
      - .offset:         80
        .size:           4
        .value_kind:     by_value
      - .offset:         84
        .size:           4
        .value_kind:     by_value
      - .offset:         88
        .size:           4
        .value_kind:     by_value
      - .offset:         92
        .size:           12
        .value_kind:     by_value
      - .offset:         104
        .size:           4
        .value_kind:     by_value
      - .offset:         108
        .size:           4
        .value_kind:     by_value
      - .offset:         112
        .size:           4
        .value_kind:     by_value
      - .offset:         116
        .size:           4
        .value_kind:     by_value
      - .offset:         120
        .size:           4
        .value_kind:     by_value
      - .offset:         124
        .size:           4
        .value_kind:     by_value
      - .offset:         128
        .size:           4
        .value_kind:     by_value
      - .offset:         132
        .size:           4
        .value_kind:     by_value
      - .offset:         136
        .size:           4
        .value_kind:     by_value
      - .offset:         140
        .size:           4
        .value_kind:     by_value
      - .offset:         144
        .size:           4
        .value_kind:     by_value
      - .offset:         152
        .size:           8
        .value_kind:     by_value
      - .offset:         160
        .size:           4
        .value_kind:     by_value
      - .offset:         164
        .size:           4
        .value_kind:     by_value
      - .offset:         168
        .size:           8
        .value_kind:     by_value
      - .offset:         176
        .size:           4
        .value_kind:     by_value
      - .offset:         180
        .size:           4
        .value_kind:     by_value
      - .offset:         184
        .size:           4
        .value_kind:     by_value
      - .offset:         188
        .size:           4
        .value_kind:     by_value
      - .offset:         192
        .size:           4
        .value_kind:     by_value
      - .offset:         200
        .size:           8
        .value_kind:     by_value
      - .offset:         208
        .size:           4
        .value_kind:     hidden_block_count_x
      - .offset:         212
        .size:           4
        .value_kind:     hidden_block_count_y
      - .offset:         216
        .size:           4
        .value_kind:     hidden_block_count_z
      - .offset:         220
        .size:           2
        .value_kind:     hidden_group_size_x
      - .offset:         222
        .size:           2
        .value_kind:     hidden_group_size_y
      - .offset:         224
        .size:           2
        .value_kind:     hidden_group_size_z
      - .offset:         226
        .size:           2
        .value_kind:     hidden_remainder_x
      - .offset:         228
        .size:           2
        .value_kind:     hidden_remainder_y
      - .offset:         230
        .size:           2
        .value_kind:     hidden_remainder_z
      - .offset:         248
        .size:           8
        .value_kind:     hidden_global_offset_x
      - .offset:         256
        .size:           8
        .value_kind:     hidden_global_offset_y
      - .offset:         264
        .size:           8
        .value_kind:     hidden_global_offset_z
      - .offset:         272
        .size:           2
        .value_kind:     hidden_grid_dims
    .group_segment_fixed_size: 1280
    .kernarg_segment_align: 8
    .kernarg_segment_size: 464
    .language:       OpenCL C
    .language_version:
      - 2
      - 0
    .max_flat_workgroup_size: 128
    .name:           _ZL18flash_attn_ext_vecILi128ELi1EL9ggml_type6ELS0_6ELb0EEvPKcS2_S2_S2_S2_PKiPfP15HIP_vector_typeIfLj2EEffffjfiS6_IjLj3EEiiiiiiiiiiiliiliiiiil
    .private_segment_fixed_size: 0
    .sgpr_count:     54
    .sgpr_spill_count: 0
    .symbol:         _ZL18flash_attn_ext_vecILi128ELi1EL9ggml_type6ELS0_6ELb0EEvPKcS2_S2_S2_S2_PKiPfP15HIP_vector_typeIfLj2EEffffjfiS6_IjLj3EEiiiiiiiiiiiliiliiiiil.kd
    .uniform_work_group_size: 1
    .uses_dynamic_stack: false
    .vgpr_count:     220
    .vgpr_spill_count: 0
    .wavefront_size: 32
  - .args:
      - .address_space:  global
        .offset:         0
        .size:           8
        .value_kind:     global_buffer
      - .address_space:  global
        .offset:         8
        .size:           8
        .value_kind:     global_buffer
      - .offset:         16
        .size:           4
        .value_kind:     by_value
      - .offset:         20
        .size:           4
        .value_kind:     by_value
      - .offset:         24
        .size:           4
        .value_kind:     by_value
      - .offset:         28
        .size:           4
        .value_kind:     by_value
      - .offset:         32
        .size:           4
        .value_kind:     by_value
      - .offset:         36
        .size:           4
        .value_kind:     by_value
      - .offset:         40
        .size:           12
        .value_kind:     by_value
      - .offset:         52
        .size:           12
        .value_kind:     by_value
      - .offset:         64
        .size:           12
        .value_kind:     by_value
    .group_segment_fixed_size: 0
    .kernarg_segment_align: 8
    .kernarg_segment_size: 76
    .language:       OpenCL C
    .language_version:
      - 2
      - 0
    .max_flat_workgroup_size: 128
    .name:           _ZL33flash_attn_stream_k_fixup_uniformILi128ELi1ELi1EEvPfPK15HIP_vector_typeIfLj2EEiiiiiiS1_IjLj3EES5_S5_
    .private_segment_fixed_size: 0
    .sgpr_count:     23
    .sgpr_spill_count: 0
    .symbol:         _ZL33flash_attn_stream_k_fixup_uniformILi128ELi1ELi1EEvPfPK15HIP_vector_typeIfLj2EEiiiiiiS1_IjLj3EES5_S5_.kd
    .uniform_work_group_size: 1
    .uses_dynamic_stack: false
    .vgpr_count:     12
    .vgpr_spill_count: 0
    .wavefront_size: 32
  - .args:
      - .address_space:  global
        .offset:         0
        .size:           8
        .value_kind:     global_buffer
      - .address_space:  global
        .offset:         8
        .size:           8
        .value_kind:     global_buffer
      - .offset:         16
        .size:           4
        .value_kind:     by_value
      - .offset:         20
        .size:           4
        .value_kind:     by_value
      - .offset:         24
        .size:           4
        .value_kind:     by_value
      - .offset:         28
        .size:           4
        .value_kind:     by_value
      - .offset:         32
        .size:           12
        .value_kind:     by_value
      - .offset:         44
        .size:           12
        .value_kind:     by_value
      - .offset:         56
        .size:           12
        .value_kind:     by_value
      - .offset:         68
        .size:           12
        .value_kind:     by_value
      - .offset:         80
        .size:           4
        .value_kind:     hidden_block_count_x
      - .offset:         84
        .size:           4
        .value_kind:     hidden_block_count_y
      - .offset:         88
        .size:           4
        .value_kind:     hidden_block_count_z
      - .offset:         92
        .size:           2
        .value_kind:     hidden_group_size_x
      - .offset:         94
        .size:           2
        .value_kind:     hidden_group_size_y
      - .offset:         96
        .size:           2
        .value_kind:     hidden_group_size_z
      - .offset:         98
        .size:           2
        .value_kind:     hidden_remainder_x
      - .offset:         100
        .size:           2
        .value_kind:     hidden_remainder_y
      - .offset:         102
        .size:           2
        .value_kind:     hidden_remainder_z
      - .offset:         120
        .size:           8
        .value_kind:     hidden_global_offset_x
      - .offset:         128
        .size:           8
        .value_kind:     hidden_global_offset_y
      - .offset:         136
        .size:           8
        .value_kind:     hidden_global_offset_z
      - .offset:         144
        .size:           2
        .value_kind:     hidden_grid_dims
    .group_segment_fixed_size: 0
    .kernarg_segment_align: 8
    .kernarg_segment_size: 336
    .language:       OpenCL C
    .language_version:
      - 2
      - 0
    .max_flat_workgroup_size: 128
    .name:           _ZL33flash_attn_stream_k_fixup_generalILi128ELi1ELi1EEvPfPK15HIP_vector_typeIfLj2EEiiiiS1_IjLj3EES5_S5_S5_
    .private_segment_fixed_size: 0
    .sgpr_count:     48
    .sgpr_spill_count: 0
    .symbol:         _ZL33flash_attn_stream_k_fixup_generalILi128ELi1ELi1EEvPfPK15HIP_vector_typeIfLj2EEiiiiS1_IjLj3EES5_S5_S5_.kd
    .uniform_work_group_size: 1
    .uses_dynamic_stack: false
    .vgpr_count:     12
    .vgpr_spill_count: 0
    .wavefront_size: 32
  - .args:
      - .address_space:  global
        .offset:         0
        .size:           8
        .value_kind:     global_buffer
      - .address_space:  global
        .offset:         8
        .size:           8
        .value_kind:     global_buffer
      - .address_space:  global
        .offset:         16
        .size:           8
        .value_kind:     global_buffer
      - .offset:         24
        .size:           4
        .value_kind:     by_value
      - .offset:         32
        .size:           4
        .value_kind:     hidden_block_count_x
      - .offset:         36
        .size:           4
        .value_kind:     hidden_block_count_y
      - .offset:         40
        .size:           4
        .value_kind:     hidden_block_count_z
      - .offset:         44
        .size:           2
        .value_kind:     hidden_group_size_x
      - .offset:         46
        .size:           2
        .value_kind:     hidden_group_size_y
      - .offset:         48
        .size:           2
        .value_kind:     hidden_group_size_z
      - .offset:         50
        .size:           2
        .value_kind:     hidden_remainder_x
      - .offset:         52
        .size:           2
        .value_kind:     hidden_remainder_y
      - .offset:         54
        .size:           2
        .value_kind:     hidden_remainder_z
      - .offset:         72
        .size:           8
        .value_kind:     hidden_global_offset_x
      - .offset:         80
        .size:           8
        .value_kind:     hidden_global_offset_y
      - .offset:         88
        .size:           8
        .value_kind:     hidden_global_offset_z
      - .offset:         96
        .size:           2
        .value_kind:     hidden_grid_dims
      - .offset:         152
        .size:           4
        .value_kind:     hidden_dynamic_lds_size
    .group_segment_fixed_size: 0
    .kernarg_segment_align: 8
    .kernarg_segment_size: 288
    .language:       OpenCL C
    .language_version:
      - 2
      - 0
    .max_flat_workgroup_size: 128
    .name:           _ZL26flash_attn_combine_resultsILi128EEvPKfPK15HIP_vector_typeIfLj2EEPfi
    .private_segment_fixed_size: 0
    .sgpr_count:     45
    .sgpr_spill_count: 0
    .symbol:         _ZL26flash_attn_combine_resultsILi128EEvPKfPK15HIP_vector_typeIfLj2EEPfi.kd
    .uniform_work_group_size: 1
    .uses_dynamic_stack: false
    .vgpr_count:     36
    .vgpr_spill_count: 0
    .wavefront_size: 32
  - .args:
      - .address_space:  global
        .offset:         0
        .size:           8
        .value_kind:     global_buffer
      - .address_space:  global
        .offset:         8
        .size:           8
        .value_kind:     global_buffer
      - .address_space:  global
        .offset:         16
        .size:           8
        .value_kind:     global_buffer
      - .address_space:  global
        .offset:         24
        .size:           8
        .value_kind:     global_buffer
      - .address_space:  global
        .offset:         32
        .size:           8
        .value_kind:     global_buffer
      - .address_space:  global
        .offset:         40
        .size:           8
        .value_kind:     global_buffer
      - .address_space:  global
        .offset:         48
        .size:           8
        .value_kind:     global_buffer
      - .address_space:  global
        .offset:         56
        .size:           8
        .value_kind:     global_buffer
      - .offset:         64
        .size:           4
        .value_kind:     by_value
      - .offset:         68
        .size:           4
        .value_kind:     by_value
      - .offset:         72
        .size:           4
        .value_kind:     by_value
      - .offset:         76
        .size:           4
        .value_kind:     by_value
      - .offset:         80
        .size:           4
        .value_kind:     by_value
      - .offset:         84
        .size:           4
        .value_kind:     by_value
      - .offset:         88
        .size:           4
        .value_kind:     by_value
      - .offset:         92
        .size:           12
        .value_kind:     by_value
      - .offset:         104
        .size:           4
        .value_kind:     by_value
      - .offset:         108
        .size:           4
        .value_kind:     by_value
      - .offset:         112
        .size:           4
        .value_kind:     by_value
      - .offset:         116
        .size:           4
        .value_kind:     by_value
      - .offset:         120
        .size:           4
        .value_kind:     by_value
      - .offset:         124
        .size:           4
        .value_kind:     by_value
      - .offset:         128
        .size:           4
        .value_kind:     by_value
      - .offset:         132
        .size:           4
        .value_kind:     by_value
      - .offset:         136
        .size:           4
        .value_kind:     by_value
      - .offset:         140
        .size:           4
        .value_kind:     by_value
      - .offset:         144
        .size:           4
        .value_kind:     by_value
      - .offset:         152
        .size:           8
        .value_kind:     by_value
      - .offset:         160
        .size:           4
        .value_kind:     by_value
      - .offset:         164
        .size:           4
        .value_kind:     by_value
      - .offset:         168
        .size:           8
        .value_kind:     by_value
      - .offset:         176
        .size:           4
        .value_kind:     by_value
      - .offset:         180
        .size:           4
        .value_kind:     by_value
      - .offset:         184
        .size:           4
        .value_kind:     by_value
      - .offset:         188
        .size:           4
        .value_kind:     by_value
      - .offset:         192
        .size:           4
        .value_kind:     by_value
      - .offset:         200
        .size:           8
        .value_kind:     by_value
      - .offset:         208
        .size:           4
        .value_kind:     hidden_block_count_x
      - .offset:         212
        .size:           4
        .value_kind:     hidden_block_count_y
      - .offset:         216
        .size:           4
        .value_kind:     hidden_block_count_z
      - .offset:         220
        .size:           2
        .value_kind:     hidden_group_size_x
      - .offset:         222
        .size:           2
        .value_kind:     hidden_group_size_y
      - .offset:         224
        .size:           2
        .value_kind:     hidden_group_size_z
      - .offset:         226
        .size:           2
        .value_kind:     hidden_remainder_x
      - .offset:         228
        .size:           2
        .value_kind:     hidden_remainder_y
      - .offset:         230
        .size:           2
        .value_kind:     hidden_remainder_z
      - .offset:         248
        .size:           8
        .value_kind:     hidden_global_offset_x
      - .offset:         256
        .size:           8
        .value_kind:     hidden_global_offset_y
      - .offset:         264
        .size:           8
        .value_kind:     hidden_global_offset_z
      - .offset:         272
        .size:           2
        .value_kind:     hidden_grid_dims
    .group_segment_fixed_size: 1280
    .kernarg_segment_align: 8
    .kernarg_segment_size: 464
    .language:       OpenCL C
    .language_version:
      - 2
      - 0
    .max_flat_workgroup_size: 128
    .name:           _ZL18flash_attn_ext_vecILi128ELi1EL9ggml_type6ELS0_6ELb1EEvPKcS2_S2_S2_S2_PKiPfP15HIP_vector_typeIfLj2EEffffjfiS6_IjLj3EEiiiiiiiiiiiliiliiiiil
    .private_segment_fixed_size: 0
    .sgpr_count:     57
    .sgpr_spill_count: 0
    .symbol:         _ZL18flash_attn_ext_vecILi128ELi1EL9ggml_type6ELS0_6ELb1EEvPKcS2_S2_S2_S2_PKiPfP15HIP_vector_typeIfLj2EEffffjfiS6_IjLj3EEiiiiiiiiiiiliiliiiiil.kd
    .uniform_work_group_size: 1
    .uses_dynamic_stack: false
    .vgpr_count:     220
    .vgpr_spill_count: 0
    .wavefront_size: 32
  - .args:
      - .address_space:  global
        .offset:         0
        .size:           8
        .value_kind:     global_buffer
      - .address_space:  global
        .offset:         8
        .size:           8
        .value_kind:     global_buffer
      - .address_space:  global
        .offset:         16
        .size:           8
        .value_kind:     global_buffer
      - .address_space:  global
        .offset:         24
        .size:           8
        .value_kind:     global_buffer
      - .address_space:  global
        .offset:         32
        .size:           8
        .value_kind:     global_buffer
      - .address_space:  global
        .offset:         40
        .size:           8
        .value_kind:     global_buffer
      - .address_space:  global
        .offset:         48
        .size:           8
        .value_kind:     global_buffer
      - .address_space:  global
        .offset:         56
        .size:           8
        .value_kind:     global_buffer
      - .offset:         64
        .size:           4
        .value_kind:     by_value
      - .offset:         68
        .size:           4
        .value_kind:     by_value
      - .offset:         72
        .size:           4
        .value_kind:     by_value
      - .offset:         76
        .size:           4
        .value_kind:     by_value
      - .offset:         80
        .size:           4
        .value_kind:     by_value
      - .offset:         84
        .size:           4
        .value_kind:     by_value
      - .offset:         88
        .size:           4
        .value_kind:     by_value
      - .offset:         92
        .size:           12
        .value_kind:     by_value
      - .offset:         104
        .size:           4
        .value_kind:     by_value
      - .offset:         108
        .size:           4
        .value_kind:     by_value
      - .offset:         112
        .size:           4
        .value_kind:     by_value
      - .offset:         116
        .size:           4
        .value_kind:     by_value
      - .offset:         120
        .size:           4
        .value_kind:     by_value
      - .offset:         124
        .size:           4
        .value_kind:     by_value
      - .offset:         128
        .size:           4
        .value_kind:     by_value
      - .offset:         132
        .size:           4
        .value_kind:     by_value
      - .offset:         136
        .size:           4
        .value_kind:     by_value
      - .offset:         140
        .size:           4
        .value_kind:     by_value
      - .offset:         144
        .size:           4
        .value_kind:     by_value
      - .offset:         152
        .size:           8
        .value_kind:     by_value
      - .offset:         160
        .size:           4
        .value_kind:     by_value
      - .offset:         164
        .size:           4
        .value_kind:     by_value
      - .offset:         168
        .size:           8
        .value_kind:     by_value
      - .offset:         176
        .size:           4
        .value_kind:     by_value
      - .offset:         180
        .size:           4
        .value_kind:     by_value
      - .offset:         184
        .size:           4
        .value_kind:     by_value
      - .offset:         188
        .size:           4
        .value_kind:     by_value
      - .offset:         192
        .size:           4
        .value_kind:     by_value
      - .offset:         200
        .size:           8
        .value_kind:     by_value
      - .offset:         208
        .size:           4
        .value_kind:     hidden_block_count_x
      - .offset:         212
        .size:           4
        .value_kind:     hidden_block_count_y
      - .offset:         216
        .size:           4
        .value_kind:     hidden_block_count_z
      - .offset:         220
        .size:           2
        .value_kind:     hidden_group_size_x
      - .offset:         222
        .size:           2
        .value_kind:     hidden_group_size_y
      - .offset:         224
        .size:           2
        .value_kind:     hidden_group_size_z
      - .offset:         226
        .size:           2
        .value_kind:     hidden_remainder_x
      - .offset:         228
        .size:           2
        .value_kind:     hidden_remainder_y
      - .offset:         230
        .size:           2
        .value_kind:     hidden_remainder_z
      - .offset:         248
        .size:           8
        .value_kind:     hidden_global_offset_x
      - .offset:         256
        .size:           8
        .value_kind:     hidden_global_offset_y
      - .offset:         264
        .size:           8
        .value_kind:     hidden_global_offset_z
      - .offset:         272
        .size:           2
        .value_kind:     hidden_grid_dims
    .group_segment_fixed_size: 3584
    .kernarg_segment_align: 8
    .kernarg_segment_size: 464
    .language:       OpenCL C
    .language_version:
      - 2
      - 0
    .max_flat_workgroup_size: 128
    .name:           _ZL18flash_attn_ext_vecILi128ELi2EL9ggml_type6ELS0_6ELb0EEvPKcS2_S2_S2_S2_PKiPfP15HIP_vector_typeIfLj2EEffffjfiS6_IjLj3EEiiiiiiiiiiiliiliiiiil
    .private_segment_fixed_size: 0
    .sgpr_count:     60
    .sgpr_spill_count: 0
    .symbol:         _ZL18flash_attn_ext_vecILi128ELi2EL9ggml_type6ELS0_6ELb0EEvPKcS2_S2_S2_S2_PKiPfP15HIP_vector_typeIfLj2EEffffjfiS6_IjLj3EEiiiiiiiiiiiliiliiiiil.kd
    .uniform_work_group_size: 1
    .uses_dynamic_stack: false
    .vgpr_count:     325
    .vgpr_spill_count: 0
    .wavefront_size: 32
  - .args:
      - .address_space:  global
        .offset:         0
        .size:           8
        .value_kind:     global_buffer
      - .address_space:  global
        .offset:         8
        .size:           8
        .value_kind:     global_buffer
      - .offset:         16
        .size:           4
        .value_kind:     by_value
      - .offset:         20
        .size:           4
        .value_kind:     by_value
      - .offset:         24
        .size:           4
        .value_kind:     by_value
      - .offset:         28
        .size:           4
        .value_kind:     by_value
      - .offset:         32
        .size:           4
        .value_kind:     by_value
      - .offset:         36
        .size:           4
        .value_kind:     by_value
      - .offset:         40
        .size:           12
        .value_kind:     by_value
      - .offset:         52
        .size:           12
        .value_kind:     by_value
      - .offset:         64
        .size:           12
        .value_kind:     by_value
    .group_segment_fixed_size: 0
    .kernarg_segment_align: 8
    .kernarg_segment_size: 76
    .language:       OpenCL C
    .language_version:
      - 2
      - 0
    .max_flat_workgroup_size: 128
    .name:           _ZL33flash_attn_stream_k_fixup_uniformILi128ELi2ELi1EEvPfPK15HIP_vector_typeIfLj2EEiiiiiiS1_IjLj3EES5_S5_
    .private_segment_fixed_size: 0
    .sgpr_count:     23
    .sgpr_spill_count: 0
    .symbol:         _ZL33flash_attn_stream_k_fixup_uniformILi128ELi2ELi1EEvPfPK15HIP_vector_typeIfLj2EEiiiiiiS1_IjLj3EES5_S5_.kd
    .uniform_work_group_size: 1
    .uses_dynamic_stack: false
    .vgpr_count:     12
    .vgpr_spill_count: 0
    .wavefront_size: 32
  - .args:
      - .address_space:  global
        .offset:         0
        .size:           8
        .value_kind:     global_buffer
      - .address_space:  global
        .offset:         8
        .size:           8
        .value_kind:     global_buffer
      - .offset:         16
        .size:           4
        .value_kind:     by_value
      - .offset:         20
        .size:           4
        .value_kind:     by_value
      - .offset:         24
        .size:           4
        .value_kind:     by_value
      - .offset:         28
        .size:           4
        .value_kind:     by_value
      - .offset:         32
        .size:           12
        .value_kind:     by_value
      - .offset:         44
        .size:           12
        .value_kind:     by_value
      - .offset:         56
        .size:           12
        .value_kind:     by_value
      - .offset:         68
        .size:           12
        .value_kind:     by_value
      - .offset:         80
        .size:           4
        .value_kind:     hidden_block_count_x
      - .offset:         84
        .size:           4
        .value_kind:     hidden_block_count_y
      - .offset:         88
        .size:           4
        .value_kind:     hidden_block_count_z
      - .offset:         92
        .size:           2
        .value_kind:     hidden_group_size_x
      - .offset:         94
        .size:           2
        .value_kind:     hidden_group_size_y
      - .offset:         96
        .size:           2
        .value_kind:     hidden_group_size_z
      - .offset:         98
        .size:           2
        .value_kind:     hidden_remainder_x
      - .offset:         100
        .size:           2
        .value_kind:     hidden_remainder_y
      - .offset:         102
        .size:           2
        .value_kind:     hidden_remainder_z
      - .offset:         120
        .size:           8
        .value_kind:     hidden_global_offset_x
      - .offset:         128
        .size:           8
        .value_kind:     hidden_global_offset_y
      - .offset:         136
        .size:           8
        .value_kind:     hidden_global_offset_z
      - .offset:         144
        .size:           2
        .value_kind:     hidden_grid_dims
    .group_segment_fixed_size: 0
    .kernarg_segment_align: 8
    .kernarg_segment_size: 336
    .language:       OpenCL C
    .language_version:
      - 2
      - 0
    .max_flat_workgroup_size: 128
    .name:           _ZL33flash_attn_stream_k_fixup_generalILi128ELi2ELi1EEvPfPK15HIP_vector_typeIfLj2EEiiiiS1_IjLj3EES5_S5_S5_
    .private_segment_fixed_size: 0
    .sgpr_count:     48
    .sgpr_spill_count: 0
    .symbol:         _ZL33flash_attn_stream_k_fixup_generalILi128ELi2ELi1EEvPfPK15HIP_vector_typeIfLj2EEiiiiS1_IjLj3EES5_S5_S5_.kd
    .uniform_work_group_size: 1
    .uses_dynamic_stack: false
    .vgpr_count:     12
    .vgpr_spill_count: 0
    .wavefront_size: 32
  - .args:
      - .address_space:  global
        .offset:         0
        .size:           8
        .value_kind:     global_buffer
      - .address_space:  global
        .offset:         8
        .size:           8
        .value_kind:     global_buffer
      - .address_space:  global
        .offset:         16
        .size:           8
        .value_kind:     global_buffer
      - .address_space:  global
        .offset:         24
        .size:           8
        .value_kind:     global_buffer
      - .address_space:  global
        .offset:         32
        .size:           8
        .value_kind:     global_buffer
      - .address_space:  global
        .offset:         40
        .size:           8
        .value_kind:     global_buffer
      - .address_space:  global
        .offset:         48
        .size:           8
        .value_kind:     global_buffer
      - .address_space:  global
        .offset:         56
        .size:           8
        .value_kind:     global_buffer
      - .offset:         64
        .size:           4
        .value_kind:     by_value
      - .offset:         68
        .size:           4
        .value_kind:     by_value
      - .offset:         72
        .size:           4
        .value_kind:     by_value
      - .offset:         76
        .size:           4
        .value_kind:     by_value
      - .offset:         80
        .size:           4
        .value_kind:     by_value
      - .offset:         84
        .size:           4
        .value_kind:     by_value
      - .offset:         88
        .size:           4
        .value_kind:     by_value
      - .offset:         92
        .size:           12
        .value_kind:     by_value
      - .offset:         104
        .size:           4
        .value_kind:     by_value
      - .offset:         108
        .size:           4
        .value_kind:     by_value
      - .offset:         112
        .size:           4
        .value_kind:     by_value
      - .offset:         116
        .size:           4
        .value_kind:     by_value
      - .offset:         120
        .size:           4
        .value_kind:     by_value
      - .offset:         124
        .size:           4
        .value_kind:     by_value
      - .offset:         128
        .size:           4
        .value_kind:     by_value
      - .offset:         132
        .size:           4
        .value_kind:     by_value
      - .offset:         136
        .size:           4
        .value_kind:     by_value
      - .offset:         140
        .size:           4
        .value_kind:     by_value
      - .offset:         144
        .size:           4
        .value_kind:     by_value
      - .offset:         152
        .size:           8
        .value_kind:     by_value
      - .offset:         160
        .size:           4
        .value_kind:     by_value
      - .offset:         164
        .size:           4
        .value_kind:     by_value
      - .offset:         168
        .size:           8
        .value_kind:     by_value
      - .offset:         176
        .size:           4
        .value_kind:     by_value
      - .offset:         180
        .size:           4
        .value_kind:     by_value
      - .offset:         184
        .size:           4
        .value_kind:     by_value
      - .offset:         188
        .size:           4
        .value_kind:     by_value
      - .offset:         192
        .size:           4
        .value_kind:     by_value
      - .offset:         200
        .size:           8
        .value_kind:     by_value
      - .offset:         208
        .size:           4
        .value_kind:     hidden_block_count_x
      - .offset:         212
        .size:           4
        .value_kind:     hidden_block_count_y
      - .offset:         216
        .size:           4
        .value_kind:     hidden_block_count_z
      - .offset:         220
        .size:           2
        .value_kind:     hidden_group_size_x
      - .offset:         222
        .size:           2
        .value_kind:     hidden_group_size_y
      - .offset:         224
        .size:           2
        .value_kind:     hidden_group_size_z
      - .offset:         226
        .size:           2
        .value_kind:     hidden_remainder_x
      - .offset:         228
        .size:           2
        .value_kind:     hidden_remainder_y
      - .offset:         230
        .size:           2
        .value_kind:     hidden_remainder_z
      - .offset:         248
        .size:           8
        .value_kind:     hidden_global_offset_x
      - .offset:         256
        .size:           8
        .value_kind:     hidden_global_offset_y
      - .offset:         264
        .size:           8
        .value_kind:     hidden_global_offset_z
      - .offset:         272
        .size:           2
        .value_kind:     hidden_grid_dims
    .group_segment_fixed_size: 3584
    .kernarg_segment_align: 8
    .kernarg_segment_size: 464
    .language:       OpenCL C
    .language_version:
      - 2
      - 0
    .max_flat_workgroup_size: 128
    .name:           _ZL18flash_attn_ext_vecILi128ELi2EL9ggml_type6ELS0_6ELb1EEvPKcS2_S2_S2_S2_PKiPfP15HIP_vector_typeIfLj2EEffffjfiS6_IjLj3EEiiiiiiiiiiiliiliiiiil
    .private_segment_fixed_size: 0
    .sgpr_count:     60
    .sgpr_spill_count: 0
    .symbol:         _ZL18flash_attn_ext_vecILi128ELi2EL9ggml_type6ELS0_6ELb1EEvPKcS2_S2_S2_S2_PKiPfP15HIP_vector_typeIfLj2EEffffjfiS6_IjLj3EEiiiiiiiiiiiliiliiiiil.kd
    .uniform_work_group_size: 1
    .uses_dynamic_stack: false
    .vgpr_count:     326
    .vgpr_spill_count: 0
    .wavefront_size: 32
  - .args:
      - .address_space:  global
        .offset:         0
        .size:           8
        .value_kind:     global_buffer
      - .address_space:  global
        .offset:         8
        .size:           8
        .value_kind:     global_buffer
      - .address_space:  global
        .offset:         16
        .size:           8
        .value_kind:     global_buffer
      - .address_space:  global
        .offset:         24
        .size:           8
        .value_kind:     global_buffer
      - .address_space:  global
        .offset:         32
        .size:           8
        .value_kind:     global_buffer
      - .address_space:  global
        .offset:         40
        .size:           8
        .value_kind:     global_buffer
      - .address_space:  global
        .offset:         48
        .size:           8
        .value_kind:     global_buffer
      - .address_space:  global
        .offset:         56
        .size:           8
        .value_kind:     global_buffer
      - .offset:         64
        .size:           4
        .value_kind:     by_value
      - .offset:         68
        .size:           4
        .value_kind:     by_value
      - .offset:         72
        .size:           4
        .value_kind:     by_value
      - .offset:         76
        .size:           4
        .value_kind:     by_value
      - .offset:         80
        .size:           4
        .value_kind:     by_value
      - .offset:         84
        .size:           4
        .value_kind:     by_value
      - .offset:         88
        .size:           4
        .value_kind:     by_value
      - .offset:         92
        .size:           12
        .value_kind:     by_value
      - .offset:         104
        .size:           4
        .value_kind:     by_value
      - .offset:         108
        .size:           4
        .value_kind:     by_value
      - .offset:         112
        .size:           4
        .value_kind:     by_value
      - .offset:         116
        .size:           4
        .value_kind:     by_value
      - .offset:         120
        .size:           4
        .value_kind:     by_value
      - .offset:         124
        .size:           4
        .value_kind:     by_value
      - .offset:         128
        .size:           4
        .value_kind:     by_value
      - .offset:         132
        .size:           4
        .value_kind:     by_value
      - .offset:         136
        .size:           4
        .value_kind:     by_value
      - .offset:         140
        .size:           4
        .value_kind:     by_value
      - .offset:         144
        .size:           4
        .value_kind:     by_value
      - .offset:         152
        .size:           8
        .value_kind:     by_value
      - .offset:         160
        .size:           4
        .value_kind:     by_value
      - .offset:         164
        .size:           4
        .value_kind:     by_value
      - .offset:         168
        .size:           8
        .value_kind:     by_value
      - .offset:         176
        .size:           4
        .value_kind:     by_value
      - .offset:         180
        .size:           4
        .value_kind:     by_value
      - .offset:         184
        .size:           4
        .value_kind:     by_value
      - .offset:         188
        .size:           4
        .value_kind:     by_value
      - .offset:         192
        .size:           4
        .value_kind:     by_value
      - .offset:         200
        .size:           8
        .value_kind:     by_value
      - .offset:         208
        .size:           4
        .value_kind:     hidden_block_count_x
      - .offset:         212
        .size:           4
        .value_kind:     hidden_block_count_y
      - .offset:         216
        .size:           4
        .value_kind:     hidden_block_count_z
      - .offset:         220
        .size:           2
        .value_kind:     hidden_group_size_x
      - .offset:         222
        .size:           2
        .value_kind:     hidden_group_size_y
      - .offset:         224
        .size:           2
        .value_kind:     hidden_group_size_z
      - .offset:         226
        .size:           2
        .value_kind:     hidden_remainder_x
      - .offset:         228
        .size:           2
        .value_kind:     hidden_remainder_y
      - .offset:         230
        .size:           2
        .value_kind:     hidden_remainder_z
      - .offset:         248
        .size:           8
        .value_kind:     hidden_global_offset_x
      - .offset:         256
        .size:           8
        .value_kind:     hidden_global_offset_y
      - .offset:         264
        .size:           8
        .value_kind:     hidden_global_offset_z
      - .offset:         272
        .size:           2
        .value_kind:     hidden_grid_dims
    .group_segment_fixed_size: 2304
    .kernarg_segment_align: 8
    .kernarg_segment_size: 464
    .language:       OpenCL C
    .language_version:
      - 2
      - 0
    .max_flat_workgroup_size: 128
    .name:           _ZL18flash_attn_ext_vecILi256ELi1EL9ggml_type6ELS0_6ELb0EEvPKcS2_S2_S2_S2_PKiPfP15HIP_vector_typeIfLj2EEffffjfiS6_IjLj3EEiiiiiiiiiiiliiliiiiil
    .private_segment_fixed_size: 0
    .sgpr_count:     57
    .sgpr_spill_count: 0
    .symbol:         _ZL18flash_attn_ext_vecILi256ELi1EL9ggml_type6ELS0_6ELb0EEvPKcS2_S2_S2_S2_PKiPfP15HIP_vector_typeIfLj2EEffffjfiS6_IjLj3EEiiiiiiiiiiiliiliiiiil.kd
    .uniform_work_group_size: 1
    .uses_dynamic_stack: false
    .vgpr_count:     212
    .vgpr_spill_count: 0
    .wavefront_size: 32
  - .args:
      - .address_space:  global
        .offset:         0
        .size:           8
        .value_kind:     global_buffer
      - .address_space:  global
        .offset:         8
        .size:           8
        .value_kind:     global_buffer
      - .offset:         16
        .size:           4
        .value_kind:     by_value
      - .offset:         20
        .size:           4
        .value_kind:     by_value
      - .offset:         24
        .size:           4
        .value_kind:     by_value
      - .offset:         28
        .size:           4
        .value_kind:     by_value
      - .offset:         32
        .size:           4
        .value_kind:     by_value
      - .offset:         36
        .size:           4
        .value_kind:     by_value
      - .offset:         40
        .size:           12
        .value_kind:     by_value
      - .offset:         52
        .size:           12
        .value_kind:     by_value
      - .offset:         64
        .size:           12
        .value_kind:     by_value
    .group_segment_fixed_size: 0
    .kernarg_segment_align: 8
    .kernarg_segment_size: 76
    .language:       OpenCL C
    .language_version:
      - 2
      - 0
    .max_flat_workgroup_size: 256
    .name:           _ZL33flash_attn_stream_k_fixup_uniformILi256ELi1ELi1EEvPfPK15HIP_vector_typeIfLj2EEiiiiiiS1_IjLj3EES5_S5_
    .private_segment_fixed_size: 0
    .sgpr_count:     23
    .sgpr_spill_count: 0
    .symbol:         _ZL33flash_attn_stream_k_fixup_uniformILi256ELi1ELi1EEvPfPK15HIP_vector_typeIfLj2EEiiiiiiS1_IjLj3EES5_S5_.kd
    .uniform_work_group_size: 1
    .uses_dynamic_stack: false
    .vgpr_count:     12
    .vgpr_spill_count: 0
    .wavefront_size: 32
  - .args:
      - .address_space:  global
        .offset:         0
        .size:           8
        .value_kind:     global_buffer
      - .address_space:  global
        .offset:         8
        .size:           8
        .value_kind:     global_buffer
      - .offset:         16
        .size:           4
        .value_kind:     by_value
      - .offset:         20
        .size:           4
        .value_kind:     by_value
      - .offset:         24
        .size:           4
        .value_kind:     by_value
      - .offset:         28
        .size:           4
        .value_kind:     by_value
      - .offset:         32
        .size:           12
        .value_kind:     by_value
      - .offset:         44
        .size:           12
        .value_kind:     by_value
      - .offset:         56
        .size:           12
        .value_kind:     by_value
      - .offset:         68
        .size:           12
        .value_kind:     by_value
      - .offset:         80
        .size:           4
        .value_kind:     hidden_block_count_x
      - .offset:         84
        .size:           4
        .value_kind:     hidden_block_count_y
      - .offset:         88
        .size:           4
        .value_kind:     hidden_block_count_z
      - .offset:         92
        .size:           2
        .value_kind:     hidden_group_size_x
      - .offset:         94
        .size:           2
        .value_kind:     hidden_group_size_y
      - .offset:         96
        .size:           2
        .value_kind:     hidden_group_size_z
      - .offset:         98
        .size:           2
        .value_kind:     hidden_remainder_x
      - .offset:         100
        .size:           2
        .value_kind:     hidden_remainder_y
      - .offset:         102
        .size:           2
        .value_kind:     hidden_remainder_z
      - .offset:         120
        .size:           8
        .value_kind:     hidden_global_offset_x
      - .offset:         128
        .size:           8
        .value_kind:     hidden_global_offset_y
      - .offset:         136
        .size:           8
        .value_kind:     hidden_global_offset_z
      - .offset:         144
        .size:           2
        .value_kind:     hidden_grid_dims
    .group_segment_fixed_size: 0
    .kernarg_segment_align: 8
    .kernarg_segment_size: 336
    .language:       OpenCL C
    .language_version:
      - 2
      - 0
    .max_flat_workgroup_size: 256
    .name:           _ZL33flash_attn_stream_k_fixup_generalILi256ELi1ELi1EEvPfPK15HIP_vector_typeIfLj2EEiiiiS1_IjLj3EES5_S5_S5_
    .private_segment_fixed_size: 0
    .sgpr_count:     48
    .sgpr_spill_count: 0
    .symbol:         _ZL33flash_attn_stream_k_fixup_generalILi256ELi1ELi1EEvPfPK15HIP_vector_typeIfLj2EEiiiiS1_IjLj3EES5_S5_S5_.kd
    .uniform_work_group_size: 1
    .uses_dynamic_stack: false
    .vgpr_count:     12
    .vgpr_spill_count: 0
    .wavefront_size: 32
  - .args:
      - .address_space:  global
        .offset:         0
        .size:           8
        .value_kind:     global_buffer
      - .address_space:  global
        .offset:         8
        .size:           8
        .value_kind:     global_buffer
      - .address_space:  global
        .offset:         16
        .size:           8
        .value_kind:     global_buffer
      - .offset:         24
        .size:           4
        .value_kind:     by_value
      - .offset:         32
        .size:           4
        .value_kind:     hidden_block_count_x
      - .offset:         36
        .size:           4
        .value_kind:     hidden_block_count_y
      - .offset:         40
        .size:           4
        .value_kind:     hidden_block_count_z
      - .offset:         44
        .size:           2
        .value_kind:     hidden_group_size_x
      - .offset:         46
        .size:           2
        .value_kind:     hidden_group_size_y
      - .offset:         48
        .size:           2
        .value_kind:     hidden_group_size_z
      - .offset:         50
        .size:           2
        .value_kind:     hidden_remainder_x
      - .offset:         52
        .size:           2
        .value_kind:     hidden_remainder_y
      - .offset:         54
        .size:           2
        .value_kind:     hidden_remainder_z
      - .offset:         72
        .size:           8
        .value_kind:     hidden_global_offset_x
      - .offset:         80
        .size:           8
        .value_kind:     hidden_global_offset_y
      - .offset:         88
        .size:           8
        .value_kind:     hidden_global_offset_z
      - .offset:         96
        .size:           2
        .value_kind:     hidden_grid_dims
      - .offset:         152
        .size:           4
        .value_kind:     hidden_dynamic_lds_size
    .group_segment_fixed_size: 0
    .kernarg_segment_align: 8
    .kernarg_segment_size: 288
    .language:       OpenCL C
    .language_version:
      - 2
      - 0
    .max_flat_workgroup_size: 256
    .name:           _ZL26flash_attn_combine_resultsILi256EEvPKfPK15HIP_vector_typeIfLj2EEPfi
    .private_segment_fixed_size: 0
    .sgpr_count:     45
    .sgpr_spill_count: 0
    .symbol:         _ZL26flash_attn_combine_resultsILi256EEvPKfPK15HIP_vector_typeIfLj2EEPfi.kd
    .uniform_work_group_size: 1
    .uses_dynamic_stack: false
    .vgpr_count:     36
    .vgpr_spill_count: 0
    .wavefront_size: 32
  - .args:
      - .address_space:  global
        .offset:         0
        .size:           8
        .value_kind:     global_buffer
      - .address_space:  global
        .offset:         8
        .size:           8
        .value_kind:     global_buffer
      - .address_space:  global
        .offset:         16
        .size:           8
        .value_kind:     global_buffer
      - .address_space:  global
        .offset:         24
        .size:           8
        .value_kind:     global_buffer
      - .address_space:  global
        .offset:         32
        .size:           8
        .value_kind:     global_buffer
      - .address_space:  global
        .offset:         40
        .size:           8
        .value_kind:     global_buffer
      - .address_space:  global
        .offset:         48
        .size:           8
        .value_kind:     global_buffer
      - .address_space:  global
        .offset:         56
        .size:           8
        .value_kind:     global_buffer
      - .offset:         64
        .size:           4
        .value_kind:     by_value
      - .offset:         68
        .size:           4
        .value_kind:     by_value
      - .offset:         72
        .size:           4
        .value_kind:     by_value
      - .offset:         76
        .size:           4
        .value_kind:     by_value
      - .offset:         80
        .size:           4
        .value_kind:     by_value
      - .offset:         84
        .size:           4
        .value_kind:     by_value
      - .offset:         88
        .size:           4
        .value_kind:     by_value
      - .offset:         92
        .size:           12
        .value_kind:     by_value
      - .offset:         104
        .size:           4
        .value_kind:     by_value
      - .offset:         108
        .size:           4
        .value_kind:     by_value
      - .offset:         112
        .size:           4
        .value_kind:     by_value
      - .offset:         116
        .size:           4
        .value_kind:     by_value
      - .offset:         120
        .size:           4
        .value_kind:     by_value
      - .offset:         124
        .size:           4
        .value_kind:     by_value
      - .offset:         128
        .size:           4
        .value_kind:     by_value
      - .offset:         132
        .size:           4
        .value_kind:     by_value
      - .offset:         136
        .size:           4
        .value_kind:     by_value
      - .offset:         140
        .size:           4
        .value_kind:     by_value
      - .offset:         144
        .size:           4
        .value_kind:     by_value
      - .offset:         152
        .size:           8
        .value_kind:     by_value
      - .offset:         160
        .size:           4
        .value_kind:     by_value
      - .offset:         164
        .size:           4
        .value_kind:     by_value
      - .offset:         168
        .size:           8
        .value_kind:     by_value
      - .offset:         176
        .size:           4
        .value_kind:     by_value
      - .offset:         180
        .size:           4
        .value_kind:     by_value
      - .offset:         184
        .size:           4
        .value_kind:     by_value
      - .offset:         188
        .size:           4
        .value_kind:     by_value
      - .offset:         192
        .size:           4
        .value_kind:     by_value
      - .offset:         200
        .size:           8
        .value_kind:     by_value
      - .offset:         208
        .size:           4
        .value_kind:     hidden_block_count_x
      - .offset:         212
        .size:           4
        .value_kind:     hidden_block_count_y
      - .offset:         216
        .size:           4
        .value_kind:     hidden_block_count_z
      - .offset:         220
        .size:           2
        .value_kind:     hidden_group_size_x
      - .offset:         222
        .size:           2
        .value_kind:     hidden_group_size_y
      - .offset:         224
        .size:           2
        .value_kind:     hidden_group_size_z
      - .offset:         226
        .size:           2
        .value_kind:     hidden_remainder_x
      - .offset:         228
        .size:           2
        .value_kind:     hidden_remainder_y
      - .offset:         230
        .size:           2
        .value_kind:     hidden_remainder_z
      - .offset:         248
        .size:           8
        .value_kind:     hidden_global_offset_x
      - .offset:         256
        .size:           8
        .value_kind:     hidden_global_offset_y
      - .offset:         264
        .size:           8
        .value_kind:     hidden_global_offset_z
      - .offset:         272
        .size:           2
        .value_kind:     hidden_grid_dims
    .group_segment_fixed_size: 2304
    .kernarg_segment_align: 8
    .kernarg_segment_size: 464
    .language:       OpenCL C
    .language_version:
      - 2
      - 0
    .max_flat_workgroup_size: 128
    .name:           _ZL18flash_attn_ext_vecILi256ELi1EL9ggml_type6ELS0_6ELb1EEvPKcS2_S2_S2_S2_PKiPfP15HIP_vector_typeIfLj2EEffffjfiS6_IjLj3EEiiiiiiiiiiiliiliiiiil
    .private_segment_fixed_size: 0
    .sgpr_count:     61
    .sgpr_spill_count: 0
    .symbol:         _ZL18flash_attn_ext_vecILi256ELi1EL9ggml_type6ELS0_6ELb1EEvPKcS2_S2_S2_S2_PKiPfP15HIP_vector_typeIfLj2EEffffjfiS6_IjLj3EEiiiiiiiiiiiliiliiiiil.kd
    .uniform_work_group_size: 1
    .uses_dynamic_stack: false
    .vgpr_count:     213
    .vgpr_spill_count: 0
    .wavefront_size: 32
  - .args:
      - .address_space:  global
        .offset:         0
        .size:           8
        .value_kind:     global_buffer
      - .address_space:  global
        .offset:         8
        .size:           8
        .value_kind:     global_buffer
      - .address_space:  global
        .offset:         16
        .size:           8
        .value_kind:     global_buffer
      - .address_space:  global
        .offset:         24
        .size:           8
        .value_kind:     global_buffer
      - .address_space:  global
        .offset:         32
        .size:           8
        .value_kind:     global_buffer
      - .address_space:  global
        .offset:         40
        .size:           8
        .value_kind:     global_buffer
      - .address_space:  global
        .offset:         48
        .size:           8
        .value_kind:     global_buffer
      - .address_space:  global
        .offset:         56
        .size:           8
        .value_kind:     global_buffer
      - .offset:         64
        .size:           4
        .value_kind:     by_value
      - .offset:         68
        .size:           4
        .value_kind:     by_value
      - .offset:         72
        .size:           4
        .value_kind:     by_value
      - .offset:         76
        .size:           4
        .value_kind:     by_value
      - .offset:         80
        .size:           4
        .value_kind:     by_value
      - .offset:         84
        .size:           4
        .value_kind:     by_value
      - .offset:         88
        .size:           4
        .value_kind:     by_value
      - .offset:         92
        .size:           12
        .value_kind:     by_value
      - .offset:         104
        .size:           4
        .value_kind:     by_value
      - .offset:         108
        .size:           4
        .value_kind:     by_value
      - .offset:         112
        .size:           4
        .value_kind:     by_value
      - .offset:         116
        .size:           4
        .value_kind:     by_value
      - .offset:         120
        .size:           4
        .value_kind:     by_value
      - .offset:         124
        .size:           4
        .value_kind:     by_value
      - .offset:         128
        .size:           4
        .value_kind:     by_value
      - .offset:         132
        .size:           4
        .value_kind:     by_value
      - .offset:         136
        .size:           4
        .value_kind:     by_value
      - .offset:         140
        .size:           4
        .value_kind:     by_value
      - .offset:         144
        .size:           4
        .value_kind:     by_value
      - .offset:         152
        .size:           8
        .value_kind:     by_value
      - .offset:         160
        .size:           4
        .value_kind:     by_value
      - .offset:         164
        .size:           4
        .value_kind:     by_value
      - .offset:         168
        .size:           8
        .value_kind:     by_value
      - .offset:         176
        .size:           4
        .value_kind:     by_value
      - .offset:         180
        .size:           4
        .value_kind:     by_value
      - .offset:         184
        .size:           4
        .value_kind:     by_value
      - .offset:         188
        .size:           4
        .value_kind:     by_value
      - .offset:         192
        .size:           4
        .value_kind:     by_value
      - .offset:         200
        .size:           8
        .value_kind:     by_value
      - .offset:         208
        .size:           4
        .value_kind:     hidden_block_count_x
      - .offset:         212
        .size:           4
        .value_kind:     hidden_block_count_y
      - .offset:         216
        .size:           4
        .value_kind:     hidden_block_count_z
      - .offset:         220
        .size:           2
        .value_kind:     hidden_group_size_x
      - .offset:         222
        .size:           2
        .value_kind:     hidden_group_size_y
      - .offset:         224
        .size:           2
        .value_kind:     hidden_group_size_z
      - .offset:         226
        .size:           2
        .value_kind:     hidden_remainder_x
      - .offset:         228
        .size:           2
        .value_kind:     hidden_remainder_y
      - .offset:         230
        .size:           2
        .value_kind:     hidden_remainder_z
      - .offset:         248
        .size:           8
        .value_kind:     hidden_global_offset_x
      - .offset:         256
        .size:           8
        .value_kind:     hidden_global_offset_y
      - .offset:         264
        .size:           8
        .value_kind:     hidden_global_offset_z
      - .offset:         272
        .size:           2
        .value_kind:     hidden_grid_dims
    .group_segment_fixed_size: 6656
    .kernarg_segment_align: 8
    .kernarg_segment_size: 464
    .language:       OpenCL C
    .language_version:
      - 2
      - 0
    .max_flat_workgroup_size: 128
    .name:           _ZL18flash_attn_ext_vecILi256ELi2EL9ggml_type6ELS0_6ELb0EEvPKcS2_S2_S2_S2_PKiPfP15HIP_vector_typeIfLj2EEffffjfiS6_IjLj3EEiiiiiiiiiiiliiliiiiil
    .private_segment_fixed_size: 0
    .sgpr_count:     53
    .sgpr_spill_count: 0
    .symbol:         _ZL18flash_attn_ext_vecILi256ELi2EL9ggml_type6ELS0_6ELb0EEvPKcS2_S2_S2_S2_PKiPfP15HIP_vector_typeIfLj2EEffffjfiS6_IjLj3EEiiiiiiiiiiiliiliiiiil.kd
    .uniform_work_group_size: 1
    .uses_dynamic_stack: false
    .vgpr_count:     335
    .vgpr_spill_count: 0
    .wavefront_size: 32
  - .args:
      - .address_space:  global
        .offset:         0
        .size:           8
        .value_kind:     global_buffer
      - .address_space:  global
        .offset:         8
        .size:           8
        .value_kind:     global_buffer
      - .offset:         16
        .size:           4
        .value_kind:     by_value
      - .offset:         20
        .size:           4
        .value_kind:     by_value
      - .offset:         24
        .size:           4
        .value_kind:     by_value
      - .offset:         28
        .size:           4
        .value_kind:     by_value
      - .offset:         32
        .size:           4
        .value_kind:     by_value
      - .offset:         36
        .size:           4
        .value_kind:     by_value
      - .offset:         40
        .size:           12
        .value_kind:     by_value
      - .offset:         52
        .size:           12
        .value_kind:     by_value
      - .offset:         64
        .size:           12
        .value_kind:     by_value
    .group_segment_fixed_size: 0
    .kernarg_segment_align: 8
    .kernarg_segment_size: 76
    .language:       OpenCL C
    .language_version:
      - 2
      - 0
    .max_flat_workgroup_size: 256
    .name:           _ZL33flash_attn_stream_k_fixup_uniformILi256ELi2ELi1EEvPfPK15HIP_vector_typeIfLj2EEiiiiiiS1_IjLj3EES5_S5_
    .private_segment_fixed_size: 0
    .sgpr_count:     23
    .sgpr_spill_count: 0
    .symbol:         _ZL33flash_attn_stream_k_fixup_uniformILi256ELi2ELi1EEvPfPK15HIP_vector_typeIfLj2EEiiiiiiS1_IjLj3EES5_S5_.kd
    .uniform_work_group_size: 1
    .uses_dynamic_stack: false
    .vgpr_count:     12
    .vgpr_spill_count: 0
    .wavefront_size: 32
  - .args:
      - .address_space:  global
        .offset:         0
        .size:           8
        .value_kind:     global_buffer
      - .address_space:  global
        .offset:         8
        .size:           8
        .value_kind:     global_buffer
      - .offset:         16
        .size:           4
        .value_kind:     by_value
      - .offset:         20
        .size:           4
        .value_kind:     by_value
      - .offset:         24
        .size:           4
        .value_kind:     by_value
      - .offset:         28
        .size:           4
        .value_kind:     by_value
      - .offset:         32
        .size:           12
        .value_kind:     by_value
      - .offset:         44
        .size:           12
        .value_kind:     by_value
      - .offset:         56
        .size:           12
        .value_kind:     by_value
      - .offset:         68
        .size:           12
        .value_kind:     by_value
      - .offset:         80
        .size:           4
        .value_kind:     hidden_block_count_x
      - .offset:         84
        .size:           4
        .value_kind:     hidden_block_count_y
      - .offset:         88
        .size:           4
        .value_kind:     hidden_block_count_z
      - .offset:         92
        .size:           2
        .value_kind:     hidden_group_size_x
      - .offset:         94
        .size:           2
        .value_kind:     hidden_group_size_y
      - .offset:         96
        .size:           2
        .value_kind:     hidden_group_size_z
      - .offset:         98
        .size:           2
        .value_kind:     hidden_remainder_x
      - .offset:         100
        .size:           2
        .value_kind:     hidden_remainder_y
      - .offset:         102
        .size:           2
        .value_kind:     hidden_remainder_z
      - .offset:         120
        .size:           8
        .value_kind:     hidden_global_offset_x
      - .offset:         128
        .size:           8
        .value_kind:     hidden_global_offset_y
      - .offset:         136
        .size:           8
        .value_kind:     hidden_global_offset_z
      - .offset:         144
        .size:           2
        .value_kind:     hidden_grid_dims
    .group_segment_fixed_size: 0
    .kernarg_segment_align: 8
    .kernarg_segment_size: 336
    .language:       OpenCL C
    .language_version:
      - 2
      - 0
    .max_flat_workgroup_size: 256
    .name:           _ZL33flash_attn_stream_k_fixup_generalILi256ELi2ELi1EEvPfPK15HIP_vector_typeIfLj2EEiiiiS1_IjLj3EES5_S5_S5_
    .private_segment_fixed_size: 0
    .sgpr_count:     48
    .sgpr_spill_count: 0
    .symbol:         _ZL33flash_attn_stream_k_fixup_generalILi256ELi2ELi1EEvPfPK15HIP_vector_typeIfLj2EEiiiiS1_IjLj3EES5_S5_S5_.kd
    .uniform_work_group_size: 1
    .uses_dynamic_stack: false
    .vgpr_count:     12
    .vgpr_spill_count: 0
    .wavefront_size: 32
  - .args:
      - .address_space:  global
        .offset:         0
        .size:           8
        .value_kind:     global_buffer
      - .address_space:  global
        .offset:         8
        .size:           8
        .value_kind:     global_buffer
      - .address_space:  global
        .offset:         16
        .size:           8
        .value_kind:     global_buffer
      - .address_space:  global
        .offset:         24
        .size:           8
        .value_kind:     global_buffer
      - .address_space:  global
        .offset:         32
        .size:           8
        .value_kind:     global_buffer
      - .address_space:  global
        .offset:         40
        .size:           8
        .value_kind:     global_buffer
      - .address_space:  global
        .offset:         48
        .size:           8
        .value_kind:     global_buffer
      - .address_space:  global
        .offset:         56
        .size:           8
        .value_kind:     global_buffer
      - .offset:         64
        .size:           4
        .value_kind:     by_value
      - .offset:         68
        .size:           4
        .value_kind:     by_value
      - .offset:         72
        .size:           4
        .value_kind:     by_value
      - .offset:         76
        .size:           4
        .value_kind:     by_value
      - .offset:         80
        .size:           4
        .value_kind:     by_value
      - .offset:         84
        .size:           4
        .value_kind:     by_value
      - .offset:         88
        .size:           4
        .value_kind:     by_value
      - .offset:         92
        .size:           12
        .value_kind:     by_value
      - .offset:         104
        .size:           4
        .value_kind:     by_value
      - .offset:         108
        .size:           4
        .value_kind:     by_value
      - .offset:         112
        .size:           4
        .value_kind:     by_value
      - .offset:         116
        .size:           4
        .value_kind:     by_value
      - .offset:         120
        .size:           4
        .value_kind:     by_value
      - .offset:         124
        .size:           4
        .value_kind:     by_value
      - .offset:         128
        .size:           4
        .value_kind:     by_value
      - .offset:         132
        .size:           4
        .value_kind:     by_value
      - .offset:         136
        .size:           4
        .value_kind:     by_value
      - .offset:         140
        .size:           4
        .value_kind:     by_value
      - .offset:         144
        .size:           4
        .value_kind:     by_value
      - .offset:         152
        .size:           8
        .value_kind:     by_value
      - .offset:         160
        .size:           4
        .value_kind:     by_value
      - .offset:         164
        .size:           4
        .value_kind:     by_value
      - .offset:         168
        .size:           8
        .value_kind:     by_value
      - .offset:         176
        .size:           4
        .value_kind:     by_value
      - .offset:         180
        .size:           4
        .value_kind:     by_value
      - .offset:         184
        .size:           4
        .value_kind:     by_value
      - .offset:         188
        .size:           4
        .value_kind:     by_value
      - .offset:         192
        .size:           4
        .value_kind:     by_value
      - .offset:         200
        .size:           8
        .value_kind:     by_value
      - .offset:         208
        .size:           4
        .value_kind:     hidden_block_count_x
      - .offset:         212
        .size:           4
        .value_kind:     hidden_block_count_y
      - .offset:         216
        .size:           4
        .value_kind:     hidden_block_count_z
      - .offset:         220
        .size:           2
        .value_kind:     hidden_group_size_x
      - .offset:         222
        .size:           2
        .value_kind:     hidden_group_size_y
      - .offset:         224
        .size:           2
        .value_kind:     hidden_group_size_z
      - .offset:         226
        .size:           2
        .value_kind:     hidden_remainder_x
      - .offset:         228
        .size:           2
        .value_kind:     hidden_remainder_y
      - .offset:         230
        .size:           2
        .value_kind:     hidden_remainder_z
      - .offset:         248
        .size:           8
        .value_kind:     hidden_global_offset_x
      - .offset:         256
        .size:           8
        .value_kind:     hidden_global_offset_y
      - .offset:         264
        .size:           8
        .value_kind:     hidden_global_offset_z
      - .offset:         272
        .size:           2
        .value_kind:     hidden_grid_dims
    .group_segment_fixed_size: 6656
    .kernarg_segment_align: 8
    .kernarg_segment_size: 464
    .language:       OpenCL C
    .language_version:
      - 2
      - 0
    .max_flat_workgroup_size: 128
    .name:           _ZL18flash_attn_ext_vecILi256ELi2EL9ggml_type6ELS0_6ELb1EEvPKcS2_S2_S2_S2_PKiPfP15HIP_vector_typeIfLj2EEffffjfiS6_IjLj3EEiiiiiiiiiiiliiliiiiil
    .private_segment_fixed_size: 0
    .sgpr_count:     53
    .sgpr_spill_count: 0
    .symbol:         _ZL18flash_attn_ext_vecILi256ELi2EL9ggml_type6ELS0_6ELb1EEvPKcS2_S2_S2_S2_PKiPfP15HIP_vector_typeIfLj2EEffffjfiS6_IjLj3EEiiiiiiiiiiiliiliiiiil.kd
    .uniform_work_group_size: 1
    .uses_dynamic_stack: false
    .vgpr_count:     335
    .vgpr_spill_count: 0
    .wavefront_size: 32
amdhsa.target:   amdgcn-amd-amdhsa--gfx1250
amdhsa.version:
  - 1
  - 2
...

	.end_amdgpu_metadata
